;; amdgpu-corpus repo=ggml-org/llama.cpp kind=compiled arch=gfx1201 opt=O3
	.amdgcn_target "amdgcn-amd-amdhsa--gfx1201"
	.amdhsa_code_object_version 6
	.section	.text._ZL18flash_attn_ext_f16ILi64ELi64ELi8ELi2ELb0ELb0EEvPKcS1_S1_S1_S1_PKiPfP15HIP_vector_typeIfLj2EEffffjfiS5_IjLj3EEiiiiiiiiiiiliiliiiiil,"axG",@progbits,_ZL18flash_attn_ext_f16ILi64ELi64ELi8ELi2ELb0ELb0EEvPKcS1_S1_S1_S1_PKiPfP15HIP_vector_typeIfLj2EEffffjfiS5_IjLj3EEiiiiiiiiiiiliiliiiiil,comdat
	.globl	_ZL18flash_attn_ext_f16ILi64ELi64ELi8ELi2ELb0ELb0EEvPKcS1_S1_S1_S1_PKiPfP15HIP_vector_typeIfLj2EEffffjfiS5_IjLj3EEiiiiiiiiiiiliiliiiiil ; -- Begin function _ZL18flash_attn_ext_f16ILi64ELi64ELi8ELi2ELb0ELb0EEvPKcS1_S1_S1_S1_PKiPfP15HIP_vector_typeIfLj2EEffffjfiS5_IjLj3EEiiiiiiiiiiiliiliiiiil
	.p2align	8
	.type	_ZL18flash_attn_ext_f16ILi64ELi64ELi8ELi2ELb0ELb0EEvPKcS1_S1_S1_S1_PKiPfP15HIP_vector_typeIfLj2EEffffjfiS5_IjLj3EEiiiiiiiiiiiliiliiiiil,@function
_ZL18flash_attn_ext_f16ILi64ELi64ELi8ELi2ELb0ELb0EEvPKcS1_S1_S1_S1_PKiPfP15HIP_vector_typeIfLj2EEffffjfiS5_IjLj3EEiiiiiiiiiiiliiliiiiil: ; @_ZL18flash_attn_ext_f16ILi64ELi64ELi8ELi2ELb0ELb0EEvPKcS1_S1_S1_S1_PKiPfP15HIP_vector_typeIfLj2EEffffjfiS5_IjLj3EEiiiiiiiiiiiliiliiiiil
; %bb.0:
	s_clause 0x1
	s_load_b64 s[2:3], s[0:1], 0x80
	s_load_b128 s[24:27], s[0:1], 0x64
	s_mov_b32 s50, ttmp9
	s_mov_b32 s51, 0
                                        ; implicit-def: $vgpr207 : SGPR spill to VGPR lane
	s_wait_kmcnt 0x0
	s_abs_i32 s4, s3
	s_abs_i32 s7, s25
	s_cvt_f32_u32 s5, s4
	s_sub_co_i32 s6, 0, s4
	s_delay_alu instid0(SALU_CYCLE_2) | instskip(NEXT) | instid1(TRANS32_DEP_1)
	v_rcp_iflag_f32_e32 v1, s5
	v_readfirstlane_b32 s5, v1
	s_mul_f32 s5, s5, 0x4f7ffffe
	s_wait_alu 0xfffe
	s_delay_alu instid0(SALU_CYCLE_2) | instskip(SKIP_1) | instid1(SALU_CYCLE_2)
	s_cvt_u32_f32 s5, s5
	s_wait_alu 0xfffe
	s_mul_i32 s6, s6, s5
	s_delay_alu instid0(SALU_CYCLE_1) | instskip(NEXT) | instid1(SALU_CYCLE_1)
	s_mul_hi_u32 s6, s5, s6
	s_add_co_i32 s5, s5, s6
	s_xor_b32 s6, s25, s3
	s_wait_alu 0xfffe
	s_mul_hi_u32 s5, s7, s5
	s_ashr_i32 s6, s6, 31
	s_wait_alu 0xfffe
	s_mul_i32 s8, s5, s4
	s_delay_alu instid0(SALU_CYCLE_1)
	s_sub_co_i32 s7, s7, s8
	s_add_co_i32 s8, s5, 1
	s_sub_co_i32 s9, s7, s4
	s_cmp_ge_u32 s7, s4
	s_cselect_b32 s5, s8, s5
	s_cselect_b32 s7, s9, s7
	s_wait_alu 0xfffe
	s_add_co_i32 s8, s5, 1
	s_cmp_ge_u32 s7, s4
	s_cselect_b32 s4, s8, s5
	s_add_co_i32 s2, s2, 63
	s_wait_alu 0xfffe
	s_xor_b32 s4, s4, s6
	s_add_co_i32 s5, s24, 7
	s_ashr_i32 s7, s2, 31
	s_wait_alu 0xfffe
	s_sub_co_i32 s33, s4, s6
	s_lshr_b32 s8, s5, 3
	s_lshr_b32 s4, s7, 26
	s_add_co_i32 s5, s33, 1
	s_wait_alu 0xfffe
	s_add_co_i32 s2, s2, s4
	s_lshr_b32 s4, s5, 31
	s_ashr_i32 s100, s2, 6
	s_wait_alu 0xfffe
	s_add_co_i32 s5, s5, s4
	s_mul_i32 s97, s8, s100
	s_wait_alu 0xfffe
	s_ashr_i32 s2, s5, 1
	s_mov_b32 s4, s51
	s_mul_i32 s98, s97, s2
	v_writelane_b32 v207, s8, 0
	s_mul_i32 s99, s98, s3
	s_delay_alu instid0(SALU_CYCLE_1) | instskip(NEXT) | instid1(SALU_CYCLE_1)
	s_mul_i32 s2, s99, s26
	s_ashr_i32 s3, s2, 31
	s_delay_alu instid0(SALU_CYCLE_1)
	s_mul_u64 s[6:7], s[2:3], s[50:51]
	s_load_b32 s50, s[0:1], 0xd0
	s_mov_b32 s5, s7
	s_wait_alu 0xfffe
	s_cmp_lg_u64 s[4:5], 0
	s_wait_kmcnt 0x0
	s_add_nc_u64 s[4:5], s[50:51], 0
	s_cbranch_scc0 .LBB0_257
; %bb.1:
	s_wait_alu 0xfffe
	s_xor_b64 s[8:9], s[4:5], 0
	s_mov_b32 s15, s51
	s_wait_alu 0xfffe
	s_cvt_f32_u32 s10, s8
	s_cvt_f32_u32 s11, s9
	s_sub_nc_u64 s[12:13], 0, s[8:9]
	s_mov_b32 s19, s51
	s_delay_alu instid0(SALU_CYCLE_1) | instskip(NEXT) | instid1(SALU_CYCLE_3)
	s_fmamk_f32 s10, s11, 0x4f800000, s10
	v_s_rcp_f32 s10, s10
	s_delay_alu instid0(TRANS32_DEP_1) | instskip(SKIP_1) | instid1(SALU_CYCLE_2)
	s_mul_f32 s10, s10, 0x5f7ffffc
	s_wait_alu 0xfffe
	s_mul_f32 s11, s10, 0x2f800000
	s_wait_alu 0xfffe
	s_delay_alu instid0(SALU_CYCLE_2) | instskip(SKIP_1) | instid1(SALU_CYCLE_2)
	s_trunc_f32 s11, s11
	s_wait_alu 0xfffe
	s_fmamk_f32 s10, s11, 0xcf800000, s10
	s_cvt_u32_f32 s11, s11
	s_wait_alu 0xfffe
	s_delay_alu instid0(SALU_CYCLE_1) | instskip(SKIP_1) | instid1(SALU_CYCLE_2)
	s_cvt_u32_f32 s10, s10
	s_wait_alu 0xfffe
	s_mul_u64 s[16:17], s[12:13], s[10:11]
	s_delay_alu instid0(SALU_CYCLE_1)
	s_mul_hi_u32 s21, s10, s17
	s_mul_i32 s20, s10, s17
	s_mul_hi_u32 s14, s10, s16
	s_mul_i32 s22, s11, s16
	s_add_nc_u64 s[14:15], s[14:15], s[20:21]
	s_mul_hi_u32 s18, s11, s16
	s_mul_hi_u32 s23, s11, s17
	s_add_co_u32 s14, s14, s22
	s_add_co_ci_u32 s18, s15, s18
	s_mul_i32 s16, s11, s17
	s_add_co_ci_u32 s17, s23, 0
	s_delay_alu instid0(SALU_CYCLE_1) | instskip(SKIP_3) | instid1(SALU_CYCLE_1)
	s_add_nc_u64 s[14:15], s[18:19], s[16:17]
	s_mov_b32 s17, s51
	s_add_co_u32 s10, s10, s14
	s_cselect_b32 s14, -1, 0
	s_cmp_lg_u32 s14, 0
	s_add_co_ci_u32 s11, s11, s15
	s_mov_b32 s15, s51
	s_wait_alu 0xfffe
	s_mul_u64 s[12:13], s[12:13], s[10:11]
	s_delay_alu instid0(SALU_CYCLE_1)
	s_mul_hi_u32 s19, s10, s13
	s_mul_i32 s18, s10, s13
	s_mul_hi_u32 s14, s10, s12
	s_mul_i32 s20, s11, s12
	s_add_nc_u64 s[14:15], s[14:15], s[18:19]
	s_mul_hi_u32 s16, s11, s12
	s_mul_hi_u32 s21, s11, s13
	s_mul_i32 s12, s11, s13
	s_add_co_u32 s13, s14, s20
	s_add_co_ci_u32 s16, s15, s16
	s_add_co_ci_u32 s13, s21, 0
	s_mov_b32 s15, s51
	s_add_nc_u64 s[12:13], s[16:17], s[12:13]
	s_delay_alu instid0(SALU_CYCLE_1)
	s_add_co_u32 s16, s10, s12
	s_cselect_b32 s10, -1, 0
	s_wait_alu 0xfffe
	s_cmp_lg_u32 s10, 0
	s_add_co_ci_u32 s20, s11, s13
	s_ashr_i32 s10, s7, 31
	s_wait_alu 0xfffe
	s_mov_b32 s11, s10
	s_wait_alu 0xfffe
	s_add_nc_u64 s[12:13], s[6:7], s[10:11]
	s_delay_alu instid0(SALU_CYCLE_1) | instskip(NEXT) | instid1(SALU_CYCLE_1)
	s_xor_b64 s[12:13], s[12:13], s[10:11]
	s_mul_hi_u32 s19, s12, s20
	s_mul_i32 s18, s12, s20
	s_mul_hi_u32 s14, s12, s16
	s_mul_hi_u32 s21, s13, s16
	s_mul_i32 s16, s13, s16
	s_add_nc_u64 s[14:15], s[14:15], s[18:19]
	s_mul_hi_u32 s7, s13, s20
	s_add_co_u32 s14, s14, s16
	s_add_co_ci_u32 s16, s15, s21
	s_mul_i32 s18, s13, s20
	s_add_co_ci_u32 s19, s7, 0
	s_delay_alu instid0(SALU_CYCLE_1) | instskip(NEXT) | instid1(SALU_CYCLE_1)
	s_add_nc_u64 s[14:15], s[16:17], s[18:19]
	s_mul_u64 s[16:17], s[8:9], s[14:15]
	s_delay_alu instid0(SALU_CYCLE_1)
	s_sub_co_u32 s7, s12, s16
	s_cselect_b32 s12, -1, 0
	s_sub_co_i32 s16, s13, s17
	s_cmp_lg_u32 s12, 0
	s_sub_co_ci_u32 s16, s16, s9
	s_sub_co_u32 s18, s7, s8
	s_cselect_b32 s19, -1, 0
	s_delay_alu instid0(SALU_CYCLE_1) | instskip(SKIP_1) | instid1(SALU_CYCLE_1)
	s_cmp_lg_u32 s19, 0
	s_sub_co_ci_u32 s16, s16, 0
	s_cmp_ge_u32 s16, s9
	s_cselect_b32 s20, -1, 0
	s_cmp_ge_u32 s18, s8
	s_add_nc_u64 s[18:19], s[14:15], 1
	s_cselect_b32 s21, -1, 0
	s_cmp_eq_u32 s16, s9
	s_cselect_b32 s16, s21, s20
	s_add_nc_u64 s[20:21], s[14:15], 2
	s_cmp_lg_u32 s16, 0
	s_cselect_b32 s16, s20, s18
	s_cselect_b32 s18, s21, s19
	s_cmp_lg_u32 s12, 0
	s_sub_co_ci_u32 s12, s13, s17
	s_delay_alu instid0(SALU_CYCLE_1)
	s_cmp_ge_u32 s12, s9
	s_cselect_b32 s13, -1, 0
	s_cmp_ge_u32 s7, s8
	s_cselect_b32 s7, -1, 0
	s_cmp_eq_u32 s12, s9
	s_cselect_b32 s7, s7, s13
	s_delay_alu instid0(SALU_CYCLE_1)
	s_cmp_lg_u32 s7, 0
	s_cselect_b32 s9, s18, s15
	s_cselect_b32 s8, s16, s14
	s_xor_b64 s[10:11], s[10:11], 0
	s_wait_alu 0xfffe
	s_xor_b64 s[8:9], s[8:9], s[10:11]
	s_wait_alu 0xfffe
	s_sub_nc_u64 s[48:49], s[8:9], s[10:11]
	s_load_b64 s[44:45], s[0:1], 0x74
	v_cvt_f32_u32_e32 v1, s50
	s_and_not1_b32 vcc_lo, exec_lo, s51
	s_cbranch_vccnz .LBB0_3
.LBB0_2:
	s_delay_alu instid0(VALU_DEP_1) | instskip(SKIP_1) | instid1(TRANS32_DEP_1)
	v_rcp_iflag_f32_e32 v2, v1
	s_sub_co_i32 s8, 0, s50
	v_mul_f32_e32 v2, 0x4f7ffffe, v2
	s_delay_alu instid0(VALU_DEP_1) | instskip(NEXT) | instid1(VALU_DEP_1)
	v_cvt_u32_f32_e32 v2, v2
	v_readfirstlane_b32 s7, v2
	s_wait_alu 0xfffe
	s_mul_i32 s8, s8, s7
	s_wait_alu 0xfffe
	s_mul_hi_u32 s8, s7, s8
	s_wait_alu 0xfffe
	s_add_co_i32 s7, s7, s8
	s_delay_alu instid0(SALU_CYCLE_1) | instskip(NEXT) | instid1(SALU_CYCLE_1)
	s_mul_hi_u32 s7, s6, s7
	s_mul_i32 s8, s7, s50
	s_wait_alu 0xfffe
	s_sub_co_i32 s6, s6, s8
	s_add_co_i32 s8, s7, 1
	s_sub_co_i32 s9, s6, s50
	s_cmp_ge_u32 s6, s50
	s_wait_alu 0xfffe
	s_cselect_b32 s7, s8, s7
	s_cselect_b32 s6, s9, s6
	s_add_co_i32 s8, s7, 1
	s_cmp_ge_u32 s6, s50
	s_wait_alu 0xfffe
	s_cselect_b32 s48, s8, s7
.LBB0_3:
	s_add_co_i32 s8, ttmp9, 1
	s_mov_b32 s9, 0
	s_wait_alu 0xfffe
	s_mul_u64 s[2:3], s[2:3], s[8:9]
	s_mov_b32 s6, s9
	s_mov_b32 s7, s3
	s_delay_alu instid0(SALU_CYCLE_1)
	s_cmp_lg_u64 s[6:7], 0
	s_cbranch_scc0 .LBB0_258
; %bb.4:
	s_xor_b64 s[4:5], s[4:5], 0
	s_wait_alu 0xfffe
	s_cvt_f32_u32 s6, s4
	s_cvt_f32_u32 s7, s5
	s_sub_nc_u64 s[10:11], 0, s[4:5]
	s_delay_alu instid0(SALU_CYCLE_2) | instskip(NEXT) | instid1(SALU_CYCLE_3)
	s_fmamk_f32 s6, s7, 0x4f800000, s6
	v_s_rcp_f32 s6, s6
	s_delay_alu instid0(TRANS32_DEP_1) | instskip(SKIP_1) | instid1(SALU_CYCLE_2)
	s_mul_f32 s6, s6, 0x5f7ffffc
	s_wait_alu 0xfffe
	s_mul_f32 s7, s6, 0x2f800000
	s_wait_alu 0xfffe
	s_delay_alu instid0(SALU_CYCLE_2) | instskip(SKIP_1) | instid1(SALU_CYCLE_2)
	s_trunc_f32 s7, s7
	s_wait_alu 0xfffe
	s_fmamk_f32 s6, s7, 0xcf800000, s6
	s_cvt_u32_f32 s7, s7
	s_wait_alu 0xfffe
	s_delay_alu instid0(SALU_CYCLE_1) | instskip(SKIP_1) | instid1(SALU_CYCLE_2)
	s_cvt_u32_f32 s6, s6
	s_wait_alu 0xfffe
	s_mul_u64 s[12:13], s[10:11], s[6:7]
	s_delay_alu instid0(SALU_CYCLE_1)
	s_mul_hi_u32 s15, s6, s13
	s_mul_i32 s14, s6, s13
	s_mul_hi_u32 s8, s6, s12
	s_mul_i32 s17, s7, s12
	s_wait_alu 0xfffe
	s_add_nc_u64 s[14:15], s[8:9], s[14:15]
	s_mul_hi_u32 s16, s7, s12
	s_mul_hi_u32 s18, s7, s13
	s_add_co_u32 s8, s14, s17
	s_add_co_ci_u32 s8, s15, s16
	s_mul_i32 s12, s7, s13
	s_add_co_ci_u32 s13, s18, 0
	s_wait_alu 0xfffe
	s_add_nc_u64 s[12:13], s[8:9], s[12:13]
	s_delay_alu instid0(SALU_CYCLE_1)
	s_add_co_u32 s6, s6, s12
	s_cselect_b32 s8, -1, 0
	s_wait_alu 0xfffe
	s_cmp_lg_u32 s8, 0
	s_add_co_ci_u32 s7, s7, s13
	s_wait_alu 0xfffe
	s_mul_u64 s[10:11], s[10:11], s[6:7]
	s_wait_alu 0xfffe
	s_mul_hi_u32 s13, s6, s11
	s_mul_i32 s12, s6, s11
	s_mul_hi_u32 s8, s6, s10
	s_mul_i32 s15, s7, s10
	s_wait_alu 0xfffe
	s_add_nc_u64 s[12:13], s[8:9], s[12:13]
	s_mul_hi_u32 s14, s7, s10
	s_mul_hi_u32 s16, s7, s11
	s_add_co_u32 s8, s12, s15
	s_add_co_ci_u32 s8, s13, s14
	s_mul_i32 s10, s7, s11
	s_add_co_ci_u32 s11, s16, 0
	s_wait_alu 0xfffe
	s_add_nc_u64 s[10:11], s[8:9], s[10:11]
	s_wait_alu 0xfffe
	s_add_co_u32 s14, s6, s10
	s_cselect_b32 s6, -1, 0
	s_wait_alu 0xfffe
	s_cmp_lg_u32 s6, 0
	s_add_co_ci_u32 s15, s7, s11
	s_ashr_i32 s6, s3, 31
	s_wait_alu 0xfffe
	s_mov_b32 s7, s6
	s_wait_alu 0xfffe
	s_add_nc_u64 s[10:11], s[2:3], s[6:7]
	s_wait_alu 0xfffe
	s_xor_b64 s[10:11], s[10:11], s[6:7]
	s_wait_alu 0xfffe
	s_mul_hi_u32 s13, s10, s15
	s_mul_i32 s12, s10, s15
	s_mul_hi_u32 s8, s10, s14
	s_mul_i32 s17, s11, s14
	s_wait_alu 0xfffe
	s_add_nc_u64 s[12:13], s[8:9], s[12:13]
	s_mul_hi_u32 s16, s11, s14
	s_mul_hi_u32 s3, s11, s15
	s_add_co_u32 s8, s12, s17
	s_add_co_ci_u32 s8, s13, s16
	s_mul_i32 s14, s11, s15
	s_add_co_ci_u32 s15, s3, 0
	s_wait_alu 0xfffe
	s_add_nc_u64 s[12:13], s[8:9], s[14:15]
	s_delay_alu instid0(SALU_CYCLE_1) | instskip(NEXT) | instid1(SALU_CYCLE_1)
	s_mul_u64 s[14:15], s[4:5], s[12:13]
	s_sub_co_u32 s3, s10, s14
	s_cselect_b32 s8, -1, 0
	s_sub_co_i32 s10, s11, s15
	s_wait_alu 0xfffe
	s_cmp_lg_u32 s8, 0
	s_sub_co_ci_u32 s10, s10, s5
	s_sub_co_u32 s14, s3, s4
	s_cselect_b32 s16, -1, 0
	s_delay_alu instid0(SALU_CYCLE_1)
	s_cmp_lg_u32 s16, 0
	s_add_nc_u64 s[16:17], s[12:13], 1
	s_wait_alu 0xfffe
	s_sub_co_ci_u32 s10, s10, 0
	s_wait_alu 0xfffe
	s_cmp_ge_u32 s10, s5
	s_cselect_b32 s18, -1, 0
	s_cmp_ge_u32 s14, s4
	s_cselect_b32 s14, -1, 0
	s_cmp_eq_u32 s10, s5
	s_cselect_b32 s10, s14, s18
	s_add_nc_u64 s[18:19], s[12:13], 2
	s_wait_alu 0xfffe
	s_cmp_lg_u32 s10, 0
	s_cselect_b32 s10, s18, s16
	s_cselect_b32 s14, s19, s17
	s_cmp_lg_u32 s8, 0
	s_sub_co_ci_u32 s8, s11, s15
	s_wait_alu 0xfffe
	s_cmp_ge_u32 s8, s5
	s_cselect_b32 s11, -1, 0
	s_cmp_ge_u32 s3, s4
	s_cselect_b32 s3, -1, 0
	s_cmp_eq_u32 s8, s5
	s_wait_alu 0xfffe
	s_cselect_b32 s3, s3, s11
	s_delay_alu instid0(SALU_CYCLE_1)
	s_cmp_lg_u32 s3, 0
	s_cselect_b32 s5, s14, s13
	s_cselect_b32 s4, s10, s12
	s_xor_b64 s[6:7], s[6:7], 0
	s_wait_alu 0xfffe
	s_xor_b64 s[4:5], s[4:5], s[6:7]
	s_wait_alu 0xfffe
	s_sub_nc_u64 s[54:55], s[4:5], s[6:7]
	s_load_b64 s[6:7], s[0:1], 0x5c
	s_and_not1_b32 vcc_lo, exec_lo, s9
	s_cbranch_vccnz .LBB0_6
.LBB0_5:
	v_rcp_iflag_f32_e32 v1, v1
	s_sub_co_i32 s4, 0, s50
	s_delay_alu instid0(TRANS32_DEP_1) | instskip(NEXT) | instid1(VALU_DEP_1)
	v_mul_f32_e32 v1, 0x4f7ffffe, v1
	v_cvt_u32_f32_e32 v1, v1
	s_delay_alu instid0(VALU_DEP_1)
	v_readfirstlane_b32 s3, v1
	s_wait_alu 0xfffe
	s_mul_i32 s4, s4, s3
	s_wait_alu 0xfffe
	s_mul_hi_u32 s4, s3, s4
	s_wait_alu 0xfffe
	s_add_co_i32 s3, s3, s4
	s_delay_alu instid0(SALU_CYCLE_1) | instskip(NEXT) | instid1(SALU_CYCLE_1)
	s_mul_hi_u32 s3, s2, s3
	s_mul_i32 s4, s3, s50
	s_wait_alu 0xfffe
	s_sub_co_i32 s2, s2, s4
	s_add_co_i32 s4, s3, 1
	s_sub_co_i32 s5, s2, s50
	s_cmp_ge_u32 s2, s50
	s_wait_alu 0xfffe
	s_cselect_b32 s3, s4, s3
	s_cselect_b32 s2, s5, s2
	s_add_co_i32 s4, s3, 1
	s_cmp_ge_u32 s2, s50
	s_wait_alu 0xfffe
	s_cselect_b32 s54, s4, s3
.LBB0_6:
	s_abs_i32 s55, s100
	s_load_b64 s[46:47], s[0:1], 0x8c
	s_cvt_f32_u32 s2, s55
	s_clause 0x1
	s_load_b64 s[58:59], s[0:1], 0xb8
	s_load_b128 s[28:31], s[0:1], 0x98
	s_sub_co_i32 s3, 0, s55
	s_abs_i32 s5, s48
	v_rcp_iflag_f32_e32 v1, s2
	s_ashr_i32 s35, s27, 3
	s_wait_kmcnt 0x0
	s_ashr_i32 s67, s44, 3
	s_ashr_i32 s4, s48, 31
	;; [unrolled: 1-line block ×3, first 2 shown]
	s_clause 0x2
	s_load_b64 s[40:41], s[0:1], 0xa8
	s_load_b64 s[42:43], s[0:1], 0xc8
	s_load_b512 s[8:23], s[0:1], 0x0
	v_bfe_u32 v65, v0, 10, 10
	v_bfe_u32 v68, v0, 10, 1
	v_and_b32_e32 v36, 0x3ff, v0
	v_readfirstlane_b32 s2, v1
	v_lshrrev_b32_e32 v71, 10, v0
	v_lshlrev_b32_e32 v66, 2, v65
	v_add_nc_u32_e32 v67, 4, v65
	v_add_nc_u32_e32 v70, 8, v65
	s_mul_f32 s2, s2, 0x4f7ffffe
	s_ashr_i32 s38, s59, 1
	s_ashr_i32 s36, s30, 2
	v_add_nc_u32_e32 v69, 12, v65
	s_wait_alu 0xfffe
	s_cvt_u32_f32 s2, s2
	s_mov_b32 s57, 0
	s_delay_alu instid0(SALU_CYCLE_1)
	s_mov_b32 s53, s57
	s_wait_alu 0xfffe
	s_mul_i32 s3, s3, s2
	s_wait_alu 0xfffe
	s_mul_hi_u32 s3, s2, s3
	s_wait_alu 0xfffe
	s_add_co_i32 s52, s2, s3
	s_delay_alu instid0(SALU_CYCLE_1)
	s_mul_hi_u32 s2, s5, s52
	s_wait_alu 0xfffe
	s_mul_i32 s2, s2, s55
	s_wait_alu 0xfffe
	s_sub_co_i32 s2, s5, s2
	s_load_b32 s5, s[0:1], 0x40
	s_ashr_i32 s26, s46, 2
	s_sub_co_i32 s3, s2, s55
	s_cmp_ge_u32 s2, s55
	s_wait_alu 0xfffe
	s_cselect_b32 s2, s3, s2
	s_wait_alu 0xfffe
	s_sub_co_i32 s0, s2, s55
	s_cmp_ge_u32 s2, s55
	s_cselect_b32 s0, s0, s2
	s_sub_co_i32 s1, s54, s48
	s_xor_b32 s0, s0, s4
	s_delay_alu instid0(SALU_CYCLE_1) | instskip(NEXT) | instid1(SALU_CYCLE_1)
	s_sub_co_i32 s34, s0, s4
	s_add_co_i32 s1, s1, s34
	s_delay_alu instid0(SALU_CYCLE_1)
	s_min_i32 s46, s100, s1
	s_cmp_gt_i32 s54, s48
	s_wait_kmcnt 0x0
	s_cvt_f16_f32 s27, s5
	s_cselect_b32 s3, -1, 0
	s_cmp_le_i32 s54, s48
	s_cselect_b32 s0, -1, 0
	s_cmp_gt_i32 s100, s1
	s_cselect_b32 s1, -1, 0
	s_delay_alu instid0(SALU_CYCLE_1) | instskip(NEXT) | instid1(SALU_CYCLE_1)
	s_or_b32 s0, s1, s0
	s_and_b32 vcc_lo, exec_lo, s0
	s_cbranch_vccz .LBB0_9
; %bb.7:
	s_wait_alu 0xfffe
	s_and_not1_b32 vcc_lo, exec_lo, s3
	s_cbranch_vccz .LBB0_237
.LBB0_8:
	s_endpgm
.LBB0_9:
	v_bfe_u32 v1, v0, 3, 7
	v_writelane_b32 v207, s50, 1
	v_dual_mov_b32 v75, 0 :: v_dual_and_b32 v2, 0x1f0, v66
	v_and_b32_e32 v17, 15, v0
	s_delay_alu instid0(VALU_DEP_4)
	v_add_nc_u32_e32 v4, v1, v66
	v_writelane_b32 v207, s51, 2
	s_cmp_eq_u64 s[16:17], 0
	v_mad_u32_u24 v3, 0x90, v2, 0
	v_mul_u32_u24_e32 v19, 0x90, v17
	v_mul_lo_u32 v1, s26, v4
	v_and_b32_e32 v20, 0x70, v0
	s_cselect_b32 s0, -1, 0
	s_cmp_lg_u64 s[18:19], 0
	v_writelane_b32 v207, s0, 3
	s_cselect_b32 s51, -1, 0
	s_lshl_b32 s0, s26, 4
	v_add3_u32 v73, v3, v19, v20
	s_wait_alu 0xfffe
	v_add_nc_u32_e32 v3, s0, v1
	v_lshlrev_b32_e32 v21, 4, v65
	v_bfe_u32 v12, v0, 1, 9
	v_mul_lo_u32 v7, s36, v4
	v_and_or_b32 v6, v0, 14, v2
	v_add_nc_u32_e32 v5, s0, v3
	v_and_b32_e32 v22, 48, v21
	v_and_b32_e32 v23, 56, v12
	v_lshlrev_b32_e32 v18, 2, v36
	v_lshrrev_b32_e32 v13, 1, v6
	v_add_nc_u32_e32 v9, s0, v5
	s_lshl_b32 s0, s36, 4
	v_add_nc_u16 v8, v22, v23
	s_wait_alu 0xfffe
	v_add_nc_u32_e32 v11, s0, v7
	v_mad_u32_u24 v22, 0x90, v22, 0
	v_and_b32_e32 v24, 28, v18
	v_mul_u32_u24_e32 v25, 0x90, v13
	v_lshrrev_b16 v8, 1, v8
	v_add_nc_u32_e32 v13, s0, v11
	v_and_b32_e32 v27, 62, v12
	v_add3_u32 v81, v22, v19, v20
	v_bfe_u32 v19, v0, 10, 2
	v_or_b32_e32 v20, v66, v36
	s_lshl_b32 s56, ttmp9, 4
	v_mul_u32_u24_e32 v16, 0x90, v4
	v_and_b32_e32 v26, 0xffff, v8
	v_lshlrev_b32_e32 v28, 2, v24
	v_add_nc_u32_e32 v15, s0, v13
	v_or_b32_e32 v29, 6, v27
	v_or_b32_e32 v27, 7, v27
	v_cmp_eq_u32_e64 s0, 0, v19
	v_cmp_ne_u32_e64 s1, 0, v19
	v_lshlrev_b32_e32 v19, 3, v20
	s_lshl_b64 s[4:5], s[56:57], 3
	v_add3_u32 v77, 0, v16, v28
	s_wait_alu 0xfffe
	s_add_nc_u64 s[4:5], s[22:23], s[4:5]
	v_mul_u32_u24_e32 v28, 0x90, v23
	v_mul_u32_u24_e32 v29, 0x90, v29
	;; [unrolled: 1-line block ×3, first 2 shown]
	v_lshlrev_b32_e32 v26, 2, v26
	v_lshlrev_b32_e32 v30, 2, v17
	s_wait_alu 0xfffe
	v_add_co_u32 v32, s3, s4, v19
	v_bfe_u32 v19, v71, 2, 8
	v_add3_u32 v82, 0, v25, v26
	v_add3_u32 v83, v22, v28, v30
	;; [unrolled: 1-line block ×4, first 2 shown]
	v_add_nc_u32_e32 v22, v21, v36
	v_add_nc_u32_e32 v25, 1, v19
	v_or_b32_e32 v20, v21, v36
	v_or_b32_e32 v17, v21, v17
	v_lshl_add_u32 v94, v23, 2, 0
	v_mul_u32_u24_e32 v93, 0x90, v22
	v_lshlrev_b32_e32 v21, 2, v25
	v_and_b32_e32 v22, 15, v25
	v_mul_u32_u24_e32 v95, 0x90, v17
	v_mul_u32_u24_e32 v92, 0x90, v20
	v_bfe_u32 v20, v65, 2, 4
	v_add_nc_u32_e32 v23, 5, v19
	v_and_or_b32 v17, 0xc0, v21, v22
	v_add_nc_u32_e32 v22, 4, v19
	v_add_nc_u32_e32 v21, 2, v19
	v_and_or_b32 v20, v71, 64, v20
	v_lshrrev_b32_e32 v98, 1, v25
	v_mul_u32_u24_e32 v99, 0x90, v17
	v_add_nc_u32_e32 v17, 3, v19
	v_and_b32_e32 v34, 1, v25
	v_lshlrev_b32_e32 v27, 2, v22
	v_and_b32_e32 v28, 15, v22
	v_lshlrev_b32_e32 v29, 2, v23
	v_lshlrev_b32_e32 v25, 2, v17
	v_and_b32_e32 v26, 15, v17
	v_and_b32_e32 v30, 15, v23
	v_mul_u32_u24_e32 v97, 0x90, v20
	v_lshrrev_b32_e32 v100, 1, v21
	v_lshlrev_b32_e32 v20, 2, v21
	v_and_b32_e32 v21, 15, v21
	v_and_or_b32 v25, 0xc0, v25, v26
	v_and_or_b32 v26, 0xc0, v27, v28
	;; [unrolled: 1-line block ×3, first 2 shown]
	v_add_nc_u32_e32 v30, 8, v19
	v_add_nc_u32_e32 v55, 9, v19
	v_and_or_b32 v20, 0xc0, v20, v21
	v_add_nc_u32_e32 v21, 6, v19
	v_add_nc_u32_e32 v28, 7, v19
	v_lshlrev_b32_e32 v38, 2, v30
	v_and_b32_e32 v39, 15, v30
	v_lshlrev_b32_e32 v40, 2, v55
	v_and_b32_e32 v41, 15, v55
	;; [unrolled: 2-line block ×3, first 2 shown]
	v_and_or_b32 v38, 0xc0, v38, v39
	v_add_nc_u32_e32 v56, 11, v19
	v_and_or_b32 v39, 0xc0, v40, v41
	v_add_nc_u32_e32 v40, 12, v19
	v_add_nc_u32_e32 v57, 13, v19
	s_abs_i32 s103, s99
	v_lshlrev_b32_e32 v35, 2, v28
	v_and_b32_e32 v37, 15, v28
	v_and_or_b32 v29, 0xc0, v29, v31
	v_add_nc_u32_e32 v31, 10, v19
	v_lshlrev_b32_e32 v41, 2, v56
	v_and_b32_e32 v43, 15, v56
	v_lshlrev_b32_e32 v44, 2, v40
	v_and_b32_e32 v45, 15, v40
	;; [unrolled: 2-line block ×3, first 2 shown]
	s_wait_alu 0xf1ff
	v_add_co_ci_u32_e64 v33, null, s5, 0, s3
	s_cvt_f32_u32 s3, s103
	s_abs_i32 s104, s98
	v_and_or_b32 v42, 0xc0, v35, v37
	v_lshlrev_b32_e32 v35, 2, v31
	v_and_b32_e32 v37, 15, v31
	v_add_nc_u32_e32 v48, 14, v19
	v_and_or_b32 v41, 0xc0, v41, v43
	v_and_or_b32 v43, 0xc0, v44, v45
	;; [unrolled: 1-line block ×3, first 2 shown]
	s_wait_alu 0xfffe
	v_rcp_iflag_f32_e32 v47, s3
	s_cvt_f32_u32 s4, s104
	v_writelane_b32 v207, s27, 4
	s_abs_i32 vcc_hi, s97
	v_and_or_b32 v49, 0xc0, v35, v37
	v_lshlrev_b32_e32 v35, 2, v48
	v_and_b32_e32 v37, 15, v48
	s_wait_alu 0xfffe
	v_rcp_iflag_f32_e32 v50, s4
	s_mov_b32 s4, s58
	v_add_nc_u32_e32 v19, 15, v19
	s_cvt_f32_u32 s3, vcc_hi
	s_wait_alu 0xfffe
	v_writelane_b32 v207, s4, 5
	s_abs_i32 s30, s58
	v_mul_u32_u24_e32 v101, 0x90, v20
	v_and_or_b32 v20, 0xc0, v35, v37
	v_rcp_iflag_f32_e32 v37, s3
	v_readfirstlane_b32 s3, v47
	v_lshlrev_b32_e32 v45, 2, v19
	v_and_b32_e32 v46, 15, v19
	v_writelane_b32 v207, s5, 6
	s_cvt_f32_u32 s4, s30
	s_mul_f32 s3, s3, 0x4f7ffffe
	s_sub_co_i32 s49, 0, s103
	v_and_or_b32 v45, 0xc0, v45, v46
	s_wait_alu 0xfffe
	v_rcp_iflag_f32_e32 v46, s4
	v_readfirstlane_b32 s4, v50
	s_cvt_u32_f32 s3, s3
	v_ashrrev_i32_e32 v8, 31, v7
	v_readfirstlane_b32 s5, v37
	v_ashrrev_i32_e32 v12, 31, v11
	s_mul_f32 s4, s4, 0x4f7ffffe
	s_wait_alu 0xfffe
	s_mul_i32 s50, s49, s3
	v_ashrrev_i32_e32 v14, 31, v13
	s_wait_alu 0xfffe
	s_mul_hi_u32 s50, s3, s50
	s_cvt_u32_f32 s4, s4
	s_wait_alu 0xfffe
	s_add_co_i32 s58, s3, s50
	s_sub_co_i32 s3, 0, s104
	v_readfirstlane_b32 s56, v46
	s_wait_alu 0xfffe
	s_mul_i32 s3, s3, s4
	v_mul_u32_u24_e32 v112, 0x90, v38
	v_mul_u32_u24_e32 v113, 0x90, v39
	v_lshlrev_b64_e32 v[38:39], 2, v[7:8]
	v_ashrrev_i32_e32 v16, 31, v15
	s_wait_alu 0xfffe
	s_mul_hi_u32 s3, s4, s3
	s_mul_f32 s5, s5, 0x4f7ffffe
	v_mul_u32_u24_e32 v116, 0x90, v41
	v_lshrrev_b32_e32 v117, 1, v40
	v_lshlrev_b64_e32 v[40:41], 2, v[11:12]
	v_ashrrev_i32_e32 v2, 31, v1
	s_wait_alu 0xfffe
	s_add_co_i32 s60, s4, s3
	s_mul_f32 s3, s56, 0x4f7ffffe
	v_mul_u32_u24_e32 v110, 0x90, v42
	v_mul_u32_u24_e32 v118, 0x90, v43
	v_lshlrev_b64_e32 v[42:43], 2, v[13:14]
	v_ashrrev_i32_e32 v4, 31, v3
	s_cvt_u32_f32 s4, s5
	v_mul_u32_u24_e32 v119, 0x90, v44
	v_mul_u32_u24_e32 v122, 0x90, v45
	v_lshlrev_b64_e32 v[44:45], 2, v[15:16]
	v_add_co_u32 v132, vcc_lo, s12, v38
	v_ashrrev_i32_e32 v6, 31, v5
	s_sub_co_i32 s5, 0, vcc_hi
	s_wait_alu 0xfffe
	s_cvt_u32_f32 s3, s3
	v_lshlrev_b64_e32 v[46:47], 2, v[1:2]
	v_add_co_ci_u32_e64 v133, null, s13, v39, vcc_lo
	v_add_co_u32 v134, vcc_lo, s12, v40
	v_ashrrev_i32_e32 v10, 31, v9
	s_mul_i32 s5, s5, s4
	s_sub_co_i32 s56, 0, s30
	v_mul_u32_u24_e32 v115, 0x90, v49
	v_lshrrev_b32_e32 v120, 1, v48
	v_lshlrev_b64_e32 v[48:49], 2, v[3:4]
	s_wait_alu 0xfffd
	v_add_co_ci_u32_e64 v135, null, s13, v41, vcc_lo
	v_add_co_u32 v136, vcc_lo, s12, v42
	s_wait_alu 0xfffe
	s_mul_hi_u32 s5, s4, s5
	s_mul_i32 s56, s56, s3
	v_lshlrev_b64_e32 v[50:51], 2, v[5:6]
	s_wait_alu 0xfffd
	v_add_co_ci_u32_e64 v137, null, s13, v43, vcc_lo
	v_add_co_u32 v138, vcc_lo, s12, v44
	s_ashr_i32 s39, s38, 31
	s_wait_alu 0xfffe
	s_add_co_i32 s62, s4, s5
	s_mul_hi_u32 s4, s3, s56
	v_and_b32_e32 v37, 1, v23
	v_lshlrev_b64_e32 v[52:53], 2, v[9:10]
	s_wait_alu 0xfffd
	v_add_co_ci_u32_e64 v139, null, s13, v45, vcc_lo
	v_add_co_u32 v140, vcc_lo, s10, v46
	s_wait_alu 0xfffe
	s_add_co_i32 s64, s3, s4
	s_lshl_b64 s[4:5], s[38:39], 1
	s_wait_alu 0xfffd
	v_add_co_ci_u32_e64 v141, null, s11, v47, vcc_lo
	v_add_co_u32 v142, vcc_lo, s10, v48
	v_and_b32_e32 v86, 1, v0
	v_and_b32_e32 v0, 7, v0
	s_wait_alu 0xfffe
	v_writelane_b32 v207, s4, 7
	s_wait_alu 0xfffd
	v_add_co_ci_u32_e64 v143, null, s11, v49, vcc_lo
	v_add_co_u32 v144, vcc_lo, s10, v50
	v_mad_co_u64_u32 v[59:60], null, v68, s67, v[36:37]
	v_add_co_u32 v130, s3, s14, v18
	s_wait_alu 0xfffd
	v_add_co_ci_u32_e64 v145, null, s11, v51, vcc_lo
	v_add_co_u32 v146, vcc_lo, s10, v52
	v_add_nc_u32_e32 v72, 0, v18
	v_lshlrev_b32_e32 v74, 1, v36
	v_mul_u32_u24_e32 v76, 0x90, v65
	v_add_nc_u32_e32 v78, 0x900, v77
	v_add_nc_u32_e32 v79, 0x1200, v77
	;; [unrolled: 1-line block ×3, first 2 shown]
	v_cmp_gt_u32_e64 s2, 16, v36
	v_bfe_u32 v87, v71, 1, 9
	v_lshrrev_b32_e32 v88, 1, v67
	v_lshrrev_b32_e32 v89, 1, v70
	v_mul_u32_u24_e32 v90, 0x90, v70
	v_lshrrev_b32_e32 v91, 1, v69
	v_bfe_u32 v96, v71, 3, 7
	v_lshrrev_b32_e32 v102, 1, v17
	v_and_b32_e32 v35, 1, v17
	v_mul_u32_u24_e32 v103, 0x90, v25
	v_lshrrev_b32_e32 v104, 1, v22
	v_mul_u32_u24_e32 v105, 0x90, v26
	v_lshrrev_b32_e32 v106, 1, v23
	v_mul_u32_u24_e32 v107, 0x90, v27
	v_lshrrev_b32_e32 v108, 1, v21
	v_mul_u32_u24_e32 v109, 0x90, v29
	v_lshrrev_b32_e32 v111, 1, v30
	v_lshrrev_b32_e32 v114, 1, v31
	v_mul_u32_u24_e32 v121, 0x90, v20
	v_lshlrev_b32_e32 v123, 4, v0
	v_lshlrev_b32_e32 v124, 2, v24
	v_lshrrev_b32_e32 v125, 1, v28
	v_and_b32_e32 v54, 1, v28
	v_lshrrev_b32_e32 v126, 1, v55
	v_and_b32_e32 v55, 1, v55
	;; [unrolled: 2-line block ×5, first 2 shown]
	s_wait_alu 0xf1ff
	v_add_co_ci_u32_e64 v131, null, s15, 0, s3
	v_writelane_b32 v207, s5, 8
	s_wait_alu 0xfffd
	v_add_co_ci_u32_e64 v147, null, s11, v53, vcc_lo
	v_mbcnt_lo_u32_b32 v148, -1, 0
	v_bfe_u32 v60, v65, 2, 1
	s_and_b32 s102, 0xffff, s27
	s_ashr_i32 s27, s26, 31
	s_ashr_i32 s37, s36, 31
	s_mul_i32 s102, s102, 0x10001
	s_ashr_i32 s49, s99, 31
	s_mov_b32 s59, s57
	s_ashr_i32 s50, s98, 31
	s_mov_b32 s61, s57
	;; [unrolled: 2-line block ×3, first 2 shown]
	s_mov_b32 s65, s57
	s_wait_alu 0xfffe
	s_lshl_b64 s[68:69], s[36:37], 8
	s_lshl_b64 s[70:71], s[26:27], 8
	v_writelane_b32 v207, s67, 9
	s_branch .LBB0_12
.LBB0_10:                               ;   in Loop: Header=BB0_12 Depth=1
	s_wait_alu 0xfffe
	s_or_b32 exec_lo, exec_lo, s5
	s_wait_loadcnt 0x0
	s_wait_storecnt 0x0
	s_barrier_signal -1
	s_barrier_wait -1
.LBB0_11:                               ;   in Loop: Header=BB0_12 Depth=1
	s_add_co_i32 s3, s48, s100
	global_inv scope:SCOPE_SE
	s_wait_alu 0xfffe
	s_abs_i32 s56, s3
	s_wait_alu 0xfffe
	s_mul_u64 s[4:5], s[56:57], s[52:53]
	s_wait_alu 0xfffe
	s_mul_i32 s4, s5, s55
	s_ashr_i32 s5, s3, 31
	s_wait_alu 0xfffe
	s_sub_co_i32 s4, s56, s4
	s_wait_alu 0xfffe
	s_sub_co_i32 s34, s4, s55
	s_cmp_ge_u32 s4, s55
	s_wait_alu 0xfffe
	s_cselect_b32 s4, s34, s4
	s_wait_alu 0xfffe
	s_sub_co_i32 s34, s4, s55
	s_cmp_ge_u32 s4, s55
	s_wait_alu 0xfffe
	s_cselect_b32 s4, s34, s4
	s_mov_b32 s34, 0
	s_wait_alu 0xfffe
	s_xor_b32 s4, s4, s5
	s_wait_alu 0xfffe
	s_sub_co_i32 s4, s5, s4
	s_wait_alu 0xfffe
	s_add_co_i32 s48, s3, s4
	s_delay_alu instid0(SALU_CYCLE_1)
	s_sub_co_i32 s4, s54, s48
	s_wait_alu 0xfffe
	s_min_i32 s46, s100, s4
	s_cmp_gt_i32 s54, s48
	s_cselect_b32 s3, -1, 0
	s_cmp_le_i32 s100, s4
	s_cselect_b32 s4, -1, 0
	s_wait_alu 0xfffe
	s_and_b32 s4, s4, s3
	s_wait_alu 0xfffe
	s_and_b32 vcc_lo, exec_lo, s4
	s_wait_alu 0xfffe
	s_cbranch_vccz .LBB0_236
.LBB0_12:                               ; =>This Loop Header: Depth=1
                                        ;     Child Loop BB0_147 Depth 2
                                        ;     Child Loop BB0_35 Depth 2
	s_abs_i32 s56, s48
	s_ashr_i32 s3, s48, 31
	s_wait_alu 0xfffe
	s_mul_u64 s[4:5], s[56:57], s[58:59]
	s_xor_b32 s3, s3, s49
	s_wait_alu 0xfffe
	s_mul_i32 s4, s5, s103
	s_add_co_i32 s39, s5, 1
	s_wait_alu 0xfffe
	s_sub_co_i32 s4, s56, s4
	s_wait_alu 0xfffe
	s_sub_co_i32 s56, s4, s103
	s_cmp_ge_u32 s4, s103
	s_cselect_b32 s5, s39, s5
	s_wait_alu 0xfffe
	s_cselect_b32 s4, s56, s4
	s_add_co_i32 s39, s5, 1
	s_wait_alu 0xfffe
	s_cmp_ge_u32 s4, s103
	s_cselect_b32 s4, s39, s5
	s_wait_alu 0xfffe
	s_xor_b32 s4, s4, s3
	s_wait_alu 0xfffe
	s_sub_co_i32 s4, s4, s3
	s_wait_alu 0xfffe
	s_mul_i32 s3, s4, s99
	s_wait_alu 0xfffe
	s_sub_co_i32 s5, s48, s3
	s_wait_alu 0xfffe
	s_abs_i32 s56, s5
	s_ashr_i32 s3, s5, 31
	s_wait_alu 0xfffe
	s_mul_u64 s[72:73], s[56:57], s[60:61]
	s_xor_b32 s3, s3, s50
	s_wait_alu 0xfffe
	s_mul_i32 s39, s73, s104
	s_wait_alu 0xfffe
	s_sub_co_i32 s39, s56, s39
	s_add_co_i32 s56, s73, 1
	s_wait_alu 0xfffe
	s_sub_co_i32 s67, s39, s104
	s_cmp_ge_u32 s39, s104
	s_cselect_b32 s56, s56, s73
	s_wait_alu 0xfffe
	s_cselect_b32 s39, s67, s39
	s_add_co_i32 s67, s56, 1
	s_wait_alu 0xfffe
	s_cmp_ge_u32 s39, s104
	s_cselect_b32 s39, s67, s56
	s_wait_alu 0xfffe
	s_xor_b32 s39, s39, s3
	s_wait_alu 0xfffe
	s_sub_co_i32 s3, s39, s3
	s_wait_alu 0xfffe
	s_mul_i32 s39, s3, s98
	s_wait_alu 0xfffe
	s_sub_co_i32 s39, s5, s39
	s_wait_alu 0xfffe
	s_abs_i32 s56, s39
	s_ashr_i32 s5, s39, 31
	s_wait_alu 0xfffe
	s_mul_u64 s[72:73], s[56:57], s[62:63]
	s_xor_b32 s5, s5, s66
	s_wait_alu 0xfffe
	s_mul_i32 s67, s73, vcc_hi
	s_wait_alu 0xfffe
	s_sub_co_i32 s56, s56, s67
	s_add_co_i32 s67, s73, 1
	s_wait_alu 0xfffe
	s_sub_co_i32 s72, s56, vcc_hi
	s_cmp_ge_u32 s56, vcc_hi
	s_cselect_b32 s67, s67, s73
	s_wait_alu 0xfffe
	s_cselect_b32 s56, s72, s56
	s_add_co_i32 s72, s67, 1
	s_wait_alu 0xfffe
	s_cmp_ge_u32 s56, vcc_hi
	s_cselect_b32 s56, s72, s67
	s_wait_alu 0xfffe
	s_xor_b32 s56, s56, s5
	s_wait_alu 0xfffe
	s_sub_co_i32 s5, s56, s5
	s_wait_alu 0xfffe
	s_mul_i32 s56, s5, s97
	s_wait_alu 0xfffe
	s_sub_co_i32 s39, s39, s56
	s_wait_alu 0xfffe
	s_abs_i32 s56, s39
	s_ashr_i32 s39, s39, 31
	s_wait_alu 0xfffe
	s_mul_u64 s[72:73], s[56:57], s[52:53]
	s_xor_b32 s39, s39, s101
	s_wait_alu 0xfffe
	s_mul_i32 s67, s73, s55
	s_wait_alu 0xfffe
	s_sub_co_i32 s56, s56, s67
	s_add_co_i32 s67, s73, 1
	s_wait_alu 0xfffe
	s_sub_co_i32 s72, s56, s55
	s_cmp_ge_u32 s56, s55
	s_cselect_b32 s67, s67, s73
	s_wait_alu 0xfffe
	s_cselect_b32 s56, s72, s56
	s_add_co_i32 s72, s67, 1
	s_wait_alu 0xfffe
	s_cmp_ge_u32 s56, s55
	s_cselect_b32 s56, s72, s67
	s_and_not1_b32 vcc_lo, exec_lo, s51
	s_wait_alu 0xfffe
	s_xor_b32 s56, s56, s39
	s_wait_alu 0xfffe
	s_sub_co_i32 s96, s56, s39
	s_cbranch_vccnz .LBB0_14
; %bb.13:                               ;   in Loop: Header=BB0_12 Depth=1
	v_readlane_b32 s39, v207, 0
	s_mul_i32 s39, s4, s39
	s_wait_alu 0xfffe
	s_add_co_i32 s72, s96, s39
	s_wait_alu 0xfffe
	s_ashr_i32 s73, s72, 31
	s_wait_alu 0xfffe
	s_lshl_b64 s[72:73], s[72:73], 2
	s_wait_alu 0xfffe
	s_add_nc_u64 s[72:73], s[18:19], s[72:73]
	global_load_b32 v0, v75, s[72:73]
	s_wait_loadcnt 0x0
	v_readfirstlane_b32 s39, v0
	s_ashr_i32 s56, s39, 31
	s_wait_alu 0xfffe
	s_lshr_b32 s56, s56, 26
	s_wait_alu 0xfffe
	s_add_co_i32 s39, s39, s56
	s_wait_alu 0xfffe
	s_ashr_i32 s39, s39, 6
	s_wait_alu 0xfffe
	s_min_i32 s46, s46, s39
.LBB0_14:                               ;   in Loop: Header=BB0_12 Depth=1
	s_mul_i32 s56, s3, s33
	s_lshl_b32 s39, s5, 1
	s_mul_i32 s72, s4, s45
	s_wait_alu 0xfffe
	s_add_co_i32 s74, s39, s56
	s_abs_i32 s56, s4
	s_mul_i32 s78, s74, s44
	s_wait_alu 0xfffe
	s_mul_u64 s[76:77], s[56:57], s[64:65]
	s_mul_i32 s82, s3, s47
	s_mul_i32 s67, s77, s30
	s_ashr_i32 s73, s72, 31
	s_wait_alu 0xfffe
	s_sub_co_i32 s56, s56, s67
	s_ashr_i32 s79, s78, 31
	s_ashr_i32 s5, s4, 31
	;; [unrolled: 1-line block ×3, first 2 shown]
	s_wait_alu 0xfffe
	s_sub_co_i32 s67, s56, s30
	s_cmp_ge_u32 s56, s30
	s_add_nc_u64 s[72:73], s[8:9], s[72:73]
	s_wait_alu 0xfffe
	s_cselect_b32 s56, s67, s56
	s_mul_u64 s[84:85], s[28:29], s[4:5]
	s_wait_alu 0xfffe
	s_sub_co_i32 s67, s56, s30
	s_cmp_ge_u32 s56, s30
	s_add_nc_u64 s[92:93], s[72:73], s[78:79]
	s_wait_alu 0xfffe
	s_cselect_b32 s56, s67, s56
	s_mul_i32 s67, s24, s25
	s_add_nc_u64 s[72:73], s[10:11], s[84:85]
	s_wait_alu 0xfffe
	s_xor_b32 s56, s56, s5
	s_mul_i32 s67, s67, s4
	s_add_nc_u64 s[78:79], s[72:73], s[82:83]
	s_wait_alu 0xfffe
	s_sub_co_i32 s72, s56, s5
	s_add_co_i32 s56, s74, s67
	s_ashr_i32 s75, s74, 31
	s_mul_i32 s90, s3, s31
	v_readlane_b32 s3, v207, 3
	s_wait_alu 0xfffe
	s_ashr_i32 s73, s72, 31
	s_lshl_b32 s56, s56, 5
	s_mul_u64 s[88:89], s[40:41], s[4:5]
	s_lshl_b64 s[74:75], s[74:75], 2
	v_or_b32_e32 v149, s39, v68
	s_wait_alu 0xfffe
	s_mul_u64 s[86:87], s[42:43], s[72:73]
	s_lshl_b64 s[72:73], s[56:57], 3
	s_add_nc_u64 s[4:5], s[12:13], s[88:89]
	s_ashr_i32 s91, s90, 31
	s_add_nc_u64 s[74:75], s[16:17], s[74:75]
	s_and_b32 s3, s3, exec_lo
	s_wait_alu 0xfffe
	s_add_nc_u64 s[80:81], s[14:15], s[86:87]
	s_add_nc_u64 s[72:73], s[20:21], s[72:73]
	s_cselect_b32 s75, 0, s75
	s_cselect_b32 s74, 0, s74
	s_cmp_lg_u32 s34, 0
	s_add_nc_u64 s[76:77], s[4:5], s[90:91]
	s_cbranch_scc0 .LBB0_36
; %bb.15:                               ;   in Loop: Header=BB0_12 Depth=1
	s_lshl_b32 s56, s96, 3
	v_cmp_le_i32_e64 s4, s33, v149
	s_wait_alu 0xfffe
	v_add_nc_u32_e32 v0, s56, v87
	v_cmp_gt_i32_e32 vcc_lo, s33, v149
	s_delay_alu instid0(VALU_DEP_2)
	v_cmp_le_i32_e64 s3, s24, v0
	s_or_b32 s3, s3, s4
	s_wait_alu 0xfffe
	s_and_saveexec_b32 s4, s3
	s_wait_alu 0xfffe
	s_xor_b32 s3, exec_lo, s4
; %bb.16:                               ;   in Loop: Header=BB0_12 Depth=1
	v_add_nc_u32_e32 v0, v72, v76
	ds_store_b32 v0, v75
                                        ; implicit-def: $vgpr0
; %bb.17:                               ;   in Loop: Header=BB0_12 Depth=1
	s_wait_alu 0xfffe
	s_and_not1_saveexec_b32 s4, s3
	s_cbranch_execz .LBB0_19
; %bb.18:                               ;   in Loop: Header=BB0_12 Depth=1
	v_mad_co_u64_u32 v[0:1], null, v0, s35, v[59:60]
	s_delay_alu instid0(VALU_DEP_1) | instskip(NEXT) | instid1(VALU_DEP_1)
	v_ashrrev_i32_e32 v1, 31, v0
	v_lshlrev_b64_e32 v[0:1], 3, v[0:1]
	s_delay_alu instid0(VALU_DEP_1) | instskip(SKIP_1) | instid1(VALU_DEP_2)
	v_add_co_u32 v0, s3, s92, v0
	s_wait_alu 0xf1ff
	v_add_co_ci_u32_e64 v1, null, s93, v1, s3
	global_load_b64 v[0:1], v[0:1], off
	s_wait_loadcnt 0x0
	v_cvt_f16_f32_e32 v0, v0
	v_cvt_f16_f32_e32 v1, v1
	s_delay_alu instid0(VALU_DEP_1) | instskip(SKIP_1) | instid1(VALU_DEP_2)
	v_pack_b32_f16 v0, v0, v1
	v_add_nc_u32_e32 v1, v72, v76
	v_pk_mul_f16 v0, v0, s102
	ds_store_b32 v1, v0
.LBB0_19:                               ;   in Loop: Header=BB0_12 Depth=1
	s_wait_alu 0xfffe
	s_or_b32 exec_lo, exec_lo, s4
	v_add_nc_u32_e32 v0, s56, v88
	s_xor_b32 s4, vcc_lo, -1
	s_delay_alu instid0(VALU_DEP_1)
	v_cmp_le_i32_e64 s3, s24, v0
	s_wait_alu 0xfffe
	s_or_b32 s3, s3, s4
	s_wait_alu 0xfffe
	s_and_saveexec_b32 s5, s3
	s_wait_alu 0xfffe
	s_xor_b32 s3, exec_lo, s5
; %bb.20:                               ;   in Loop: Header=BB0_12 Depth=1
	v_add_nc_u32_e32 v0, v72, v76
	ds_store_b32 v0, v75 offset:576
                                        ; implicit-def: $vgpr0
; %bb.21:                               ;   in Loop: Header=BB0_12 Depth=1
	s_wait_alu 0xfffe
	s_and_not1_saveexec_b32 s3, s3
	s_cbranch_execz .LBB0_23
; %bb.22:                               ;   in Loop: Header=BB0_12 Depth=1
	v_mad_co_u64_u32 v[0:1], null, v0, s35, v[59:60]
	s_delay_alu instid0(VALU_DEP_1) | instskip(NEXT) | instid1(VALU_DEP_1)
	v_ashrrev_i32_e32 v1, 31, v0
	v_lshlrev_b64_e32 v[0:1], 3, v[0:1]
	s_delay_alu instid0(VALU_DEP_1) | instskip(SKIP_1) | instid1(VALU_DEP_2)
	v_add_co_u32 v0, vcc_lo, s92, v0
	s_wait_alu 0xfffd
	v_add_co_ci_u32_e64 v1, null, s93, v1, vcc_lo
	global_load_b64 v[0:1], v[0:1], off
	s_wait_loadcnt 0x0
	v_cvt_f16_f32_e32 v0, v0
	v_cvt_f16_f32_e32 v1, v1
	s_delay_alu instid0(VALU_DEP_1) | instskip(SKIP_1) | instid1(VALU_DEP_2)
	v_pack_b32_f16 v0, v0, v1
	v_add_nc_u32_e32 v1, v72, v76
	v_pk_mul_f16 v0, v0, s102
	ds_store_b32 v1, v0 offset:576
.LBB0_23:                               ;   in Loop: Header=BB0_12 Depth=1
	s_wait_alu 0xfffe
	s_or_b32 exec_lo, exec_lo, s3
	v_add_nc_u32_e32 v0, s56, v89
	s_delay_alu instid0(VALU_DEP_1)
	v_cmp_le_i32_e32 vcc_lo, s24, v0
	s_or_b32 s3, vcc_lo, s4
	s_wait_alu 0xfffe
	s_and_saveexec_b32 s5, s3
	s_wait_alu 0xfffe
	s_xor_b32 s3, exec_lo, s5
; %bb.24:                               ;   in Loop: Header=BB0_12 Depth=1
	v_add_nc_u32_e32 v0, v72, v90
	ds_store_b32 v0, v75
                                        ; implicit-def: $vgpr0
; %bb.25:                               ;   in Loop: Header=BB0_12 Depth=1
	s_wait_alu 0xfffe
	s_and_not1_saveexec_b32 s3, s3
	s_cbranch_execz .LBB0_27
; %bb.26:                               ;   in Loop: Header=BB0_12 Depth=1
	v_mad_co_u64_u32 v[0:1], null, v0, s35, v[59:60]
	s_delay_alu instid0(VALU_DEP_1) | instskip(NEXT) | instid1(VALU_DEP_1)
	v_ashrrev_i32_e32 v1, 31, v0
	v_lshlrev_b64_e32 v[0:1], 3, v[0:1]
	s_delay_alu instid0(VALU_DEP_1) | instskip(SKIP_1) | instid1(VALU_DEP_2)
	v_add_co_u32 v0, vcc_lo, s92, v0
	s_wait_alu 0xfffd
	v_add_co_ci_u32_e64 v1, null, s93, v1, vcc_lo
	global_load_b64 v[0:1], v[0:1], off
	s_wait_loadcnt 0x0
	v_cvt_f16_f32_e32 v0, v0
	v_cvt_f16_f32_e32 v1, v1
	s_delay_alu instid0(VALU_DEP_1) | instskip(SKIP_1) | instid1(VALU_DEP_2)
	v_pack_b32_f16 v0, v0, v1
	v_add_nc_u32_e32 v1, v72, v90
	v_pk_mul_f16 v0, v0, s102
	ds_store_b32 v1, v0
.LBB0_27:                               ;   in Loop: Header=BB0_12 Depth=1
	s_wait_alu 0xfffe
	s_or_b32 exec_lo, exec_lo, s3
	v_add_nc_u32_e32 v0, s56, v91
	s_delay_alu instid0(VALU_DEP_1)
	v_cmp_le_i32_e32 vcc_lo, s24, v0
	s_or_b32 s3, vcc_lo, s4
	s_wait_alu 0xfffe
	s_and_saveexec_b32 s4, s3
	s_wait_alu 0xfffe
	s_xor_b32 s3, exec_lo, s4
; %bb.28:                               ;   in Loop: Header=BB0_12 Depth=1
	v_add_nc_u32_e32 v0, v72, v90
	ds_store_b32 v0, v75 offset:576
                                        ; implicit-def: $vgpr0
; %bb.29:                               ;   in Loop: Header=BB0_12 Depth=1
	s_wait_alu 0xfffe
	s_and_not1_saveexec_b32 s3, s3
	s_cbranch_execz .LBB0_31
; %bb.30:                               ;   in Loop: Header=BB0_12 Depth=1
	v_mad_co_u64_u32 v[0:1], null, v0, s35, v[59:60]
	s_delay_alu instid0(VALU_DEP_1) | instskip(NEXT) | instid1(VALU_DEP_1)
	v_ashrrev_i32_e32 v1, 31, v0
	v_lshlrev_b64_e32 v[0:1], 3, v[0:1]
	s_delay_alu instid0(VALU_DEP_1) | instskip(SKIP_1) | instid1(VALU_DEP_2)
	v_add_co_u32 v0, vcc_lo, s92, v0
	s_wait_alu 0xfffd
	v_add_co_ci_u32_e64 v1, null, s93, v1, vcc_lo
	global_load_b64 v[0:1], v[0:1], off
	s_wait_loadcnt 0x0
	v_cvt_f16_f32_e32 v0, v0
	v_cvt_f16_f32_e32 v1, v1
	s_delay_alu instid0(VALU_DEP_1) | instskip(SKIP_1) | instid1(VALU_DEP_2)
	v_pack_b32_f16 v0, v0, v1
	v_add_nc_u32_e32 v1, v72, v90
	v_pk_mul_f16 v0, v0, s102
	ds_store_b32 v1, v0 offset:576
.LBB0_31:                               ;   in Loop: Header=BB0_12 Depth=1
	s_wait_alu 0xfffe
	s_or_b32 exec_lo, exec_lo, s3
	s_wait_dscnt 0x0
	s_barrier_signal -1
	s_barrier_wait -1
	global_inv scope:SCOPE_SE
	ds_load_b128 v[24:27], v73
	ds_load_b128 v[28:31], v73 offset:32
	ds_load_b128 v[20:23], v73 offset:64
	;; [unrolled: 1-line block ×3, first 2 shown]
	v_add_nc_u32_e32 v0, s56, v65
	v_add_nc_u32_e32 v1, s56, v67
	s_add_co_i32 s67, s46, -1
	s_mov_b32 s3, -1
	s_wait_alu 0xfffe
	s_cmp_lt_i32 s34, s67
	v_mul_hi_u32 v3, s6, v0
	v_mul_hi_u32 v2, s6, v1
	s_wait_loadcnt_dscnt 0x0
	s_barrier_signal -1
	s_barrier_wait -1
	global_inv scope:SCOPE_SE
                                        ; implicit-def: $vgpr151
                                        ; implicit-def: $vgpr152
                                        ; implicit-def: $vgpr63_vgpr64
                                        ; implicit-def: $vgpr61_vgpr62
	s_cbranch_scc1 .LBB0_33
; %bb.32:                               ;   in Loop: Header=BB0_12 Depth=1
	v_add_nc_u32_e32 v4, v0, v3
	v_dual_mov_b32 v152, 32 :: v_dual_add_nc_u32 v5, v1, v2
	v_xor_b32_e32 v151, 16, v148
	s_mov_b32 s3, 0
	s_delay_alu instid0(VALU_DEP_3) | instskip(NEXT) | instid1(VALU_DEP_3)
	v_lshrrev_b32_e32 v4, s7, v4
	v_lshrrev_b32_e32 v5, s7, v5
	s_delay_alu instid0(VALU_DEP_2) | instskip(NEXT) | instid1(VALU_DEP_2)
	v_mul_lo_u32 v4, v4, s24
	v_mul_lo_u32 v5, v5, s24
	s_delay_alu instid0(VALU_DEP_2) | instskip(NEXT) | instid1(VALU_DEP_2)
	v_sub_nc_u32_e32 v4, v0, v4
	v_sub_nc_u32_e32 v5, v1, v5
	s_delay_alu instid0(VALU_DEP_2) | instskip(NEXT) | instid1(VALU_DEP_2)
	v_mad_co_i64_i32 v[63:64], null, v4, s38, 0
	v_mad_co_i64_i32 v[61:62], null, v5, s38, 0
.LBB0_33:                               ;   in Loop: Header=BB0_12 Depth=1
	s_wait_alu 0xfffe
	s_and_not1_b32 vcc_lo, exec_lo, s3
	s_wait_alu 0xfffe
	s_cbranch_vccnz .LBB0_37
; %bb.34:                               ;   in Loop: Header=BB0_12 Depth=1
	v_xor_b32_e32 v151, 16, v148
	v_dual_mov_b32 v150, 0 :: v_dual_add_nc_u32 v3, v0, v3
	v_mov_b32_e32 v8, 0
	v_dual_mov_b32 v152, 32 :: v_dual_mov_b32 v153, 0xfeffffff
	s_delay_alu instid0(VALU_DEP_4)
	v_cmp_gt_i32_e32 vcc_lo, 32, v151
	v_add_nc_u32_e32 v2, v1, v2
	v_lshrrev_b32_e32 v3, s7, v3
	v_dual_mov_b32 v9, v150 :: v_dual_mov_b32 v10, v150
	v_mov_b32_e32 v11, v150
	s_wait_alu 0xfffd
	v_cndmask_b32_e32 v5, v148, v151, vcc_lo
	v_lshrrev_b32_e32 v2, s7, v2
	v_mul_lo_u32 v3, v3, s24
	v_mov_b32_e32 v12, 0
	s_lshl_b32 s94, s34, 6
	v_lshlrev_b32_e32 v155, 2, v5
	v_mul_lo_u32 v2, v2, s24
	s_delay_alu instid0(VALU_DEP_3) | instskip(SKIP_2) | instid1(VALU_DEP_3)
	v_dual_mov_b32 v13, v12 :: v_dual_lshlrev_b32 v4, 1, v74
	v_dual_mov_b32 v14, v12 :: v_dual_mov_b32 v15, v12
	v_sub_nc_u32_e32 v61, v0, v3
	v_add_co_u32 v154, s3, s80, v4
	v_sub_nc_u32_e32 v62, v1, v2
	v_dual_mov_b32 v4, v12 :: v_dual_mov_b32 v5, v12
	s_delay_alu instid0(VALU_DEP_4) | instskip(NEXT) | instid1(VALU_DEP_3)
	v_mad_co_i64_i32 v[63:64], null, v61, s38, 0
	v_mad_co_i64_i32 v[61:62], null, v62, s38, 0
	v_dual_mov_b32 v6, v12 :: v_dual_mov_b32 v7, v12
	v_dual_mov_b32 v0, 0 :: v_dual_mov_b32 v1, v150
	;; [unrolled: 1-line block ×3, first 2 shown]
	s_wait_alu 0xf1ff
	v_add_co_ci_u32_e64 v156, null, s81, 0, s3
.LBB0_35:                               ;   Parent Loop BB0_12 Depth=1
                                        ; =>  This Inner Loop Header: Depth=2
	s_wait_alu 0xfffe
	s_ashr_i32 s95, s94, 31
	v_lshlrev_b64_e32 v[157:158], 1, v[63:64]
	s_wait_alu 0xfffe
	s_lshl_b64 s[4:5], s[94:95], 1
	v_lshlrev_b64_e32 v[159:160], 1, v[61:62]
	s_wait_alu 0xfffe
	v_add_co_u32 v161, vcc_lo, v154, s4
	s_wait_alu 0xfffd
	v_add_co_ci_u32_e64 v162, null, s5, v156, vcc_lo
	s_mul_u64 s[4:5], s[94:95], s[26:27]
	v_add_co_u32 v157, vcc_lo, v161, v157
	s_wait_alu 0xfffd
	v_add_co_ci_u32_e64 v158, null, v162, v158, vcc_lo
	v_add_co_u32 v159, vcc_lo, v161, v159
	s_wait_alu 0xfffd
	v_add_co_ci_u32_e64 v160, null, v162, v160, vcc_lo
	s_clause 0x1
	global_load_b32 v157, v[157:158], off
	global_load_b32 v158, v[159:160], off
	v_add_nc_u32_e32 v159, v72, v76
	s_wait_alu 0xfffe
	s_lshl_b64 s[4:5], s[4:5], 2
	s_add_co_i32 s34, s34, 1
	s_wait_alu 0xfffe
	s_add_nc_u64 s[4:5], s[78:79], s[4:5]
	v_dual_mov_b32 v184, v153 :: v_dual_add_nc_u32 v159, 0x2400, v159
	s_wait_loadcnt 0x0
	ds_store_2addr_b32 v159, v157, v158 offset1:144
	s_wait_alu 0xfffe
	v_add_co_u32 v157, vcc_lo, s4, v46
	s_wait_alu 0xfffd
	v_add_co_ci_u32_e64 v158, null, s5, v47, vcc_lo
	s_delay_alu instid0(VALU_DEP_2) | instskip(SKIP_1) | instid1(VALU_DEP_2)
	v_add_co_u32 v157, vcc_lo, v157, v124
	s_wait_alu 0xfffd
	v_add_co_ci_u32_e64 v158, null, 0, v158, vcc_lo
	v_add_co_u32 v159, vcc_lo, s4, v48
	s_wait_alu 0xfffd
	v_add_co_ci_u32_e64 v160, null, s5, v49, vcc_lo
	s_delay_alu instid0(VALU_DEP_2) | instskip(SKIP_1) | instid1(VALU_DEP_2)
	v_add_co_u32 v161, vcc_lo, v159, v124
	s_wait_alu 0xfffd
	v_add_co_ci_u32_e64 v162, null, 0, v160, vcc_lo
	s_clause 0x1
	global_load_b128 v[157:160], v[157:158], off
	global_load_b128 v[161:164], v[161:162], off
	s_wait_loadcnt 0x1
	ds_store_b128 v77, v[157:160]
	s_wait_loadcnt 0x0
	ds_store_b128 v78, v[161:164]
	v_add_co_u32 v157, vcc_lo, s4, v50
	s_wait_alu 0xfffd
	v_add_co_ci_u32_e64 v158, null, s5, v51, vcc_lo
	s_delay_alu instid0(VALU_DEP_2) | instskip(SKIP_1) | instid1(VALU_DEP_2)
	v_add_co_u32 v157, vcc_lo, v157, v124
	s_wait_alu 0xfffd
	v_add_co_ci_u32_e64 v158, null, 0, v158, vcc_lo
	v_add_co_u32 v159, vcc_lo, s4, v52
	s_wait_alu 0xfffd
	v_add_co_ci_u32_e64 v160, null, s5, v53, vcc_lo
	s_mul_u64 s[4:5], s[94:95], s[36:37]
	v_add_co_u32 v161, vcc_lo, v159, v124
	s_wait_alu 0xfffd
	v_add_co_ci_u32_e64 v162, null, 0, v160, vcc_lo
	s_clause 0x1
	global_load_b128 v[157:160], v[157:158], off
	global_load_b128 v[161:164], v[161:162], off
	s_wait_loadcnt 0x1
	ds_store_b128 v79, v[157:160]
	s_wait_loadcnt 0x0
	ds_store_b128 v80, v[161:164]
	s_wait_dscnt 0x0
	s_barrier_signal -1
	s_barrier_wait -1
	global_inv scope:SCOPE_SE
	ds_load_b128 v[165:168], v81
	ds_load_b128 v[169:172], v81 offset:32
	s_wait_alu 0xfffe
	s_lshl_b64 s[4:5], s[4:5], 2
	s_add_co_i32 s94, s94, 64
	s_wait_alu 0xfffe
	s_add_nc_u64 s[4:5], s[76:77], s[4:5]
	s_cmp_lt_i32 s34, s67
	s_wait_dscnt 0x1
	v_wmma_f32_16x16x16_f16 v[157:164], v[165:168], v[24:27], 0
	s_wait_dscnt 0x0
	s_delay_alu instid0(VALU_DEP_1)
	v_wmma_f32_16x16x16_f16 v[157:164], v[169:172], v[28:31], v[157:164]
	ds_load_b128 v[165:168], v81 offset:64
	ds_load_b128 v[169:172], v81 offset:96
	s_wait_loadcnt_dscnt 0x0
	s_barrier_signal -1
	s_barrier_wait -1
	global_inv scope:SCOPE_SE
	v_wmma_f32_16x16x16_f16 v[157:164], v[165:168], v[20:23], v[157:164]
	s_delay_alu instid0(VALU_DEP_1)
	v_wmma_f32_16x16x16_f16 v[157:164], v[169:172], v[16:19], v[157:164]
	v_add_nc_u32_e32 v165, 0x2400, v82
	v_add_nc_u32_e32 v167, 0x2408, v82
	ds_load_2addr_b32 v[165:166], v165 offset1:1
	ds_load_2addr_b32 v[167:168], v167 offset1:1
	s_wait_dscnt 0x1
	v_cvt_f32_f16_e64 v170, v166
	v_lshrrev_b32_e32 v166, 16, v166
	v_cvt_f32_f16_e64 v169, v165
	v_lshrrev_b32_e32 v165, 16, v165
	s_wait_dscnt 0x0
	v_cvt_f32_f16_e64 v171, v167
	v_lshrrev_b32_e32 v167, 16, v167
	v_cvt_f32_f16_e64 v166, v166
	v_add_f32_e32 v179, v159, v170
	v_cvt_f32_f16_e64 v165, v165
	v_lshrrev_b32_e32 v172, 16, v168
	v_cvt_f32_f16_e64 v167, v167
	v_dual_add_f32 v180, v160, v166 :: v_dual_add_f32 v177, v157, v169
	s_wait_alu 0xfffe
	v_add_co_u32 v157, vcc_lo, s4, v38
	v_add_f32_e32 v178, v158, v165
	s_wait_alu 0xfffd
	v_add_co_ci_u32_e64 v158, null, s5, v39, vcc_lo
	s_delay_alu instid0(VALU_DEP_3) | instskip(SKIP_2) | instid1(VALU_DEP_3)
	v_add_co_u32 v157, vcc_lo, v157, v124
	v_add_f32_e32 v176, v161, v171
	s_wait_alu 0xfffd
	v_add_co_ci_u32_e64 v158, null, 0, v158, vcc_lo
	v_add_co_u32 v159, vcc_lo, s4, v40
	s_wait_alu 0xfffd
	v_add_co_ci_u32_e64 v160, null, s5, v41, vcc_lo
	v_cvt_f32_f16_e64 v168, v168
	s_delay_alu instid0(VALU_DEP_3)
	v_add_co_u32 v161, vcc_lo, v159, v124
	v_cvt_f32_f16_e64 v172, v172
	v_add_f32_e32 v181, v162, v167
	s_wait_alu 0xfffd
	v_add_co_ci_u32_e64 v162, null, 0, v160, vcc_lo
	v_add_f32_e32 v182, v163, v168
	v_add_f32_e32 v183, v164, v172
	s_clause 0x1
	global_load_b128 v[157:160], v[157:158], off
	global_load_b128 v[161:164], v[161:162], off
	s_wait_loadcnt 0x1
	ds_store_b128 v77, v[157:160]
	s_wait_loadcnt 0x0
	ds_store_b128 v78, v[161:164]
	v_add_co_u32 v157, vcc_lo, s4, v42
	s_wait_alu 0xfffd
	v_add_co_ci_u32_e64 v158, null, s5, v43, vcc_lo
	s_delay_alu instid0(VALU_DEP_2) | instskip(SKIP_1) | instid1(VALU_DEP_2)
	v_add_co_u32 v157, vcc_lo, v157, v124
	s_wait_alu 0xfffd
	v_add_co_ci_u32_e64 v158, null, 0, v158, vcc_lo
	v_add_co_u32 v159, vcc_lo, s4, v44
	s_wait_alu 0xfffd
	v_add_co_ci_u32_e64 v160, null, s5, v45, vcc_lo
	s_delay_alu instid0(VALU_DEP_2) | instskip(SKIP_1) | instid1(VALU_DEP_2)
	v_add_co_u32 v161, vcc_lo, v159, v124
	s_wait_alu 0xfffd
	v_add_co_ci_u32_e64 v162, null, 0, v160, vcc_lo
	s_clause 0x1
	global_load_b128 v[157:160], v[157:158], off
	global_load_b128 v[161:164], v[161:162], off
	s_wait_loadcnt 0x1
	ds_store_b128 v79, v[157:160]
	s_wait_loadcnt 0x0
	ds_store_b128 v80, v[161:164]
	s_wait_dscnt 0x0
	s_barrier_signal -1
	s_barrier_wait -1
	global_inv scope:SCOPE_SE
	ds_load_2addr_b32 v[160:161], v83 offset0:72 offset1:88
	ds_load_2addr_b32 v[164:165], v83 offset0:108 offset1:124
	;; [unrolled: 1-line block ×4, first 2 shown]
	s_wait_dscnt 0x2
	v_perm_b32 v166, v165, v161, 0x7060302
	v_perm_b32 v158, v164, v160, 0x7060302
	s_wait_dscnt 0x0
	v_perm_b32 v159, v169, v167, 0x7060302
	v_perm_b32 v163, v169, v167, 0x5040100
	;; [unrolled: 1-line block ×4, first 2 shown]
	ds_load_2addr_b32 v[168:169], v83 offset1:16
	ds_load_2addr_b32 v[172:173], v83 offset0:36 offset1:52
	v_perm_b32 v170, v165, v161, 0x5040100
	v_perm_b32 v162, v164, v160, 0x5040100
	s_wait_dscnt 0x0
	v_perm_b32 v157, v172, v168, 0x7060302
	v_perm_b32 v161, v172, v168, 0x5040100
	;; [unrolled: 1-line block ×4, first 2 shown]
	ds_load_2addr_b32 v[172:173], v84 offset1:16
	ds_load_2addr_b32 v[174:175], v85 offset1:16
	s_wait_loadcnt_dscnt 0x0
	s_barrier_signal -1
	s_barrier_wait -1
	global_inv scope:SCOPE_SE
	v_perm_b32 v160, v174, v172, 0x7060302
	v_perm_b32 v164, v174, v172, 0x5040100
	;; [unrolled: 1-line block ×4, first 2 shown]
	v_dual_add_f32 v173, 0x40051340, v178 :: v_dual_add_f32 v174, 0x40051340, v180
	v_add_f32_e32 v153, 0x40051340, v177
	s_delay_alu instid0(VALU_DEP_1) | instskip(SKIP_1) | instid1(VALU_DEP_1)
	v_max3_num_f32 v153, v184, v153, v173
	v_add_f32_e32 v173, 0x40051340, v179
	v_max3_num_f32 v153, v153, v173, v174
	v_dual_add_f32 v173, 0x40051340, v176 :: v_dual_add_f32 v174, 0x40051340, v181
	s_delay_alu instid0(VALU_DEP_1) | instskip(SKIP_1) | instid1(VALU_DEP_1)
	v_max3_num_f32 v153, v153, v173, v174
	v_dual_add_f32 v173, 0x40051340, v182 :: v_dual_add_f32 v174, 0x40051340, v183
	v_max3_num_f32 v153, v153, v173, v174
	ds_bpermute_b32 v173, v155, v153
	s_wait_dscnt 0x0
	v_max_num_f32_e32 v173, v173, v173
	s_delay_alu instid0(VALU_DEP_1) | instskip(NEXT) | instid1(VALU_DEP_1)
	v_max_num_f32_e32 v153, v153, v173
	v_sub_f32_e32 v173, v176, v153
	v_sub_f32_e32 v182, v182, v153
	;; [unrolled: 1-line block ×4, first 2 shown]
	s_delay_alu instid0(VALU_DEP_4) | instskip(NEXT) | instid1(VALU_DEP_4)
	v_mul_f32_e32 v174, 0x3fb8aa3b, v173
	v_cmp_ngt_f32_e64 s3, 0xc2ce8ed0, v182
	s_delay_alu instid0(VALU_DEP_4) | instskip(SKIP_1) | instid1(VALU_DEP_4)
	v_cmp_ngt_f32_e64 s4, 0xc2ce8ed0, v183
	v_cmp_ngt_f32_e64 s5, 0xc2ce8ed0, v173
	v_fma_f32 v175, 0x3fb8aa3b, v173, -v174
	v_rndne_f32_e32 v176, v174
	s_delay_alu instid0(VALU_DEP_1) | instskip(SKIP_1) | instid1(VALU_DEP_2)
	v_dual_fmac_f32 v175, 0x32a5705f, v173 :: v_dual_sub_f32 v174, v174, v176
	v_cvt_i32_f32_e32 v176, v176
	v_dual_add_f32 v174, v174, v175 :: v_dual_sub_f32 v175, v181, v153
	s_delay_alu instid0(VALU_DEP_1) | instskip(NEXT) | instid1(VALU_DEP_1)
	v_exp_f32_e32 v174, v174
	v_mul_f32_e32 v181, 0x3fb8aa3b, v175
	v_cmp_ngt_f32_e32 vcc_lo, 0xc2ce8ed0, v175
	s_delay_alu instid0(VALU_DEP_2) | instskip(SKIP_1) | instid1(TRANS32_DEP_1)
	v_fma_f32 v185, 0x3fb8aa3b, v175, -v181
	v_rndne_f32_e32 v186, v181
	v_ldexp_f32 v174, v174, v176
	s_delay_alu instid0(VALU_DEP_3) | instskip(NEXT) | instid1(VALU_DEP_3)
	v_fmac_f32_e32 v185, 0x32a5705f, v175
	v_sub_f32_e32 v181, v181, v186
	s_wait_alu 0xf1ff
	s_delay_alu instid0(VALU_DEP_3) | instskip(SKIP_1) | instid1(VALU_DEP_3)
	v_cndmask_b32_e64 v174, 0, v174, s5
	v_cmp_nlt_f32_e64 s5, 0x42b17218, v173
	v_add_f32_e32 v181, v181, v185
	v_mul_f32_e32 v185, 0x3fb8aa3b, v182
	s_delay_alu instid0(VALU_DEP_2) | instskip(NEXT) | instid1(VALU_DEP_1)
	v_exp_f32_e32 v181, v181
	v_fma_f32 v187, 0x3fb8aa3b, v182, -v185
	v_rndne_f32_e32 v188, v185
	s_delay_alu instid0(VALU_DEP_2) | instskip(NEXT) | instid1(VALU_DEP_2)
	v_fmac_f32_e32 v187, 0x32a5705f, v182
	v_sub_f32_e32 v185, v185, v188
	v_cvt_i32_f32_e32 v176, v188
	s_delay_alu instid0(VALU_DEP_2) | instskip(SKIP_1) | instid1(VALU_DEP_2)
	v_add_f32_e32 v185, v185, v187
	v_mul_f32_e32 v187, 0x3fb8aa3b, v183
	v_exp_f32_e32 v185, v185
	s_delay_alu instid0(VALU_DEP_1) | instskip(SKIP_1) | instid1(VALU_DEP_2)
	v_fma_f32 v189, 0x3fb8aa3b, v183, -v187
	v_rndne_f32_e32 v190, v187
	v_fmac_f32_e32 v189, 0x32a5705f, v183
	s_delay_alu instid0(VALU_DEP_2) | instskip(NEXT) | instid1(TRANS32_DEP_1)
	v_sub_f32_e32 v187, v187, v190
	v_ldexp_f32 v176, v185, v176
	v_cvt_i32_f32_e32 v185, v186
	s_delay_alu instid0(VALU_DEP_3) | instskip(NEXT) | instid1(VALU_DEP_2)
	v_add_f32_e32 v187, v187, v189
	v_ldexp_f32 v181, v181, v185
	s_delay_alu instid0(VALU_DEP_2) | instskip(SKIP_2) | instid1(VALU_DEP_2)
	v_exp_f32_e32 v186, v187
	v_cvt_i32_f32_e32 v185, v190
	s_wait_alu 0xfffd
	v_cndmask_b32_e32 v181, 0, v181, vcc_lo
	v_cmp_nlt_f32_e32 vcc_lo, 0x42b17218, v175
	v_cndmask_b32_e64 v175, 0, v176, s3
	v_cmp_nlt_f32_e64 s3, 0x42b17218, v182
	s_wait_alu 0xf1ff
	v_cndmask_b32_e64 v182, 0x7f800000, v174, s5
	s_delay_alu instid0(TRANS32_DEP_1) | instskip(SKIP_2) | instid1(VALU_DEP_3)
	v_ldexp_f32 v185, v186, v185
	s_wait_alu 0xfffd
	v_cndmask_b32_e32 v181, 0x7f800000, v181, vcc_lo
	v_cvt_f16_f32_e64 v173, v182
	s_delay_alu instid0(VALU_DEP_3)
	v_cndmask_b32_e64 v176, 0, v185, s4
	v_cmp_nlt_f32_e64 s4, 0x42b17218, v183
	v_cndmask_b32_e64 v183, 0x7f800000, v175, s3
	v_cvt_f16_f32_e64 v186, v181
	v_cmp_ngt_f32_e64 s3, 0xc2ce8ed0, v179
	s_wait_alu 0xf1ff
	v_cndmask_b32_e64 v185, 0x7f800000, v176, s4
	v_cvt_f16_f32_e64 v174, v183
	s_delay_alu instid0(VALU_DEP_2) | instskip(NEXT) | instid1(VALU_DEP_1)
	v_cvt_f16_f32_e64 v175, v185
	v_perm_b32 v176, v175, v174, 0x5040100
	v_perm_b32 v175, v186, v173, 0x5040100
	v_sub_f32_e32 v173, v180, v153
	s_delay_alu instid0(VALU_DEP_1) | instskip(SKIP_1) | instid1(VALU_DEP_2)
	v_mul_f32_e32 v174, 0x3fb8aa3b, v173
	v_cmp_ngt_f32_e32 vcc_lo, 0xc2ce8ed0, v173
	v_fma_f32 v180, 0x3fb8aa3b, v173, -v174
	v_rndne_f32_e32 v186, v174
	s_delay_alu instid0(VALU_DEP_2) | instskip(NEXT) | instid1(VALU_DEP_2)
	v_fmac_f32_e32 v180, 0x32a5705f, v173
	v_sub_f32_e32 v174, v174, v186
	v_cvt_i32_f32_e32 v186, v186
	s_delay_alu instid0(VALU_DEP_2) | instskip(SKIP_2) | instid1(VALU_DEP_3)
	v_add_f32_e32 v174, v174, v180
	v_dual_mul_f32 v180, 0x3fb8aa3b, v179 :: v_dual_sub_f32 v177, v177, v153
	v_sub_f32_e32 v184, v184, v153
	v_exp_f32_e32 v174, v174
	s_delay_alu instid0(VALU_DEP_2) | instskip(SKIP_1) | instid1(VALU_DEP_1)
	v_fma_f32 v187, 0x3fb8aa3b, v179, -v180
	v_rndne_f32_e32 v188, v180
	v_dual_fmac_f32 v187, 0x32a5705f, v179 :: v_dual_sub_f32 v180, v180, v188
	s_delay_alu instid0(TRANS32_DEP_1) | instskip(SKIP_1) | instid1(VALU_DEP_3)
	v_ldexp_f32 v174, v174, v186
	v_cvt_i32_f32_e32 v186, v188
	v_add_f32_e32 v180, v180, v187
	s_wait_alu 0xfffd
	s_delay_alu instid0(VALU_DEP_3) | instskip(SKIP_1) | instid1(VALU_DEP_3)
	v_cndmask_b32_e32 v174, 0, v174, vcc_lo
	v_cmp_nlt_f32_e32 vcc_lo, 0x42b17218, v173
	v_exp_f32_e32 v180, v180
	s_delay_alu instid0(TRANS32_DEP_1) | instskip(NEXT) | instid1(VALU_DEP_1)
	v_ldexp_f32 v180, v180, v186
	v_cndmask_b32_e64 v173, 0, v180, s3
	v_cmp_nlt_f32_e64 s3, 0x42b17218, v179
	s_wait_alu 0xfffd
	v_cndmask_b32_e32 v180, 0x7f800000, v174, vcc_lo
	s_wait_alu 0xf1ff
	s_delay_alu instid0(VALU_DEP_2) | instskip(NEXT) | instid1(VALU_DEP_2)
	v_cndmask_b32_e64 v179, 0x7f800000, v173, s3
	v_cvt_f16_f32_e64 v174, v180
	v_cmp_ngt_f32_e64 s3, 0xc2ce8ed0, v177
	s_delay_alu instid0(VALU_DEP_3) | instskip(NEXT) | instid1(VALU_DEP_1)
	v_cvt_f16_f32_e64 v173, v179
	v_perm_b32 v174, v174, v173, 0x5040100
	v_sub_f32_e32 v173, v178, v153
	s_delay_alu instid0(VALU_DEP_1) | instskip(SKIP_1) | instid1(VALU_DEP_2)
	v_mul_f32_e32 v178, 0x3fb8aa3b, v173
	v_cmp_ngt_f32_e32 vcc_lo, 0xc2ce8ed0, v173
	v_fma_f32 v186, 0x3fb8aa3b, v173, -v178
	v_rndne_f32_e32 v187, v178
	s_delay_alu instid0(VALU_DEP_2) | instskip(NEXT) | instid1(VALU_DEP_2)
	v_fmac_f32_e32 v186, 0x32a5705f, v173
	v_sub_f32_e32 v178, v178, v187
	v_cvt_i32_f32_e32 v187, v187
	s_delay_alu instid0(VALU_DEP_2) | instskip(SKIP_1) | instid1(VALU_DEP_2)
	v_add_f32_e32 v178, v178, v186
	v_mul_f32_e32 v186, 0x3fb8aa3b, v177
	v_exp_f32_e32 v178, v178
	s_delay_alu instid0(VALU_DEP_1) | instskip(SKIP_1) | instid1(VALU_DEP_2)
	v_fma_f32 v188, 0x3fb8aa3b, v177, -v186
	v_rndne_f32_e32 v189, v186
	v_fmac_f32_e32 v188, 0x32a5705f, v177
	s_delay_alu instid0(VALU_DEP_2) | instskip(NEXT) | instid1(TRANS32_DEP_1)
	v_sub_f32_e32 v186, v186, v189
	v_ldexp_f32 v178, v178, v187
	v_cvt_i32_f32_e32 v187, v189
	s_delay_alu instid0(VALU_DEP_3) | instskip(SKIP_1) | instid1(VALU_DEP_3)
	v_add_f32_e32 v186, v186, v188
	s_wait_alu 0xfffd
	v_cndmask_b32_e32 v178, 0, v178, vcc_lo
	v_cmp_nlt_f32_e32 vcc_lo, 0x42b17218, v173
	s_delay_alu instid0(VALU_DEP_3) | instskip(SKIP_1) | instid1(VALU_DEP_2)
	v_exp_f32_e32 v186, v186
	s_wait_alu 0xfffd
	v_cndmask_b32_e32 v178, 0x7f800000, v178, vcc_lo
	v_cmp_ngt_f32_e32 vcc_lo, 0xc2ce8ed0, v184
	s_delay_alu instid0(TRANS32_DEP_1) | instskip(SKIP_1) | instid1(VALU_DEP_1)
	v_ldexp_f32 v186, v186, v187
	s_wait_alu 0xf1ff
	v_cndmask_b32_e64 v173, 0, v186, s3
	v_cmp_nlt_f32_e64 s3, 0x42b17218, v177
	v_cvt_f16_f32_e64 v186, v178
	s_wait_alu 0xf1ff
	s_delay_alu instid0(VALU_DEP_2) | instskip(NEXT) | instid1(VALU_DEP_1)
	v_cndmask_b32_e64 v177, 0x7f800000, v173, s3
	v_cvt_f16_f32_e64 v173, v177
	s_delay_alu instid0(VALU_DEP_1) | instskip(SKIP_1) | instid1(VALU_DEP_1)
	v_perm_b32 v173, v186, v173, 0x5040100
	v_mul_f32_e32 v186, 0x3fb8aa3b, v184
	v_fma_f32 v187, 0x3fb8aa3b, v184, -v186
	v_rndne_f32_e32 v188, v186
	s_delay_alu instid0(VALU_DEP_2) | instskip(NEXT) | instid1(VALU_DEP_2)
	v_fmac_f32_e32 v187, 0x32a5705f, v184
	v_sub_f32_e32 v186, v186, v188
	s_delay_alu instid0(VALU_DEP_1) | instskip(SKIP_1) | instid1(VALU_DEP_2)
	v_add_f32_e32 v186, v186, v187
	v_cvt_i32_f32_e32 v187, v188
	v_exp_f32_e32 v186, v186
	s_delay_alu instid0(TRANS32_DEP_1) | instskip(SKIP_1) | instid1(VALU_DEP_1)
	v_ldexp_f32 v186, v186, v187
	s_wait_alu 0xfffd
	v_cndmask_b32_e32 v186, 0, v186, vcc_lo
	v_cmp_nlt_f32_e32 vcc_lo, 0x42b17218, v184
	s_wait_alu 0xfffd
	s_delay_alu instid0(VALU_DEP_2) | instskip(SKIP_2) | instid1(VALU_DEP_2)
	v_cndmask_b32_e32 v186, 0x7f800000, v186, vcc_lo
	v_cmp_le_f32_e32 vcc_lo, 0xc1a00000, v184
	s_wait_alu 0xfffd
	v_cndmask_b32_e32 v184, 0, v186, vcc_lo
	s_delay_alu instid0(VALU_DEP_1) | instskip(NEXT) | instid1(VALU_DEP_1)
	v_cvt_f16_f32_e64 v186, v184
	v_and_b32_e32 v186, 0xffff, v186
	s_delay_alu instid0(VALU_DEP_1) | instskip(NEXT) | instid1(VALU_DEP_1)
	v_mul_u32_u24_e32 v186, 0x10001, v186
	v_pk_mul_f16 v8, v8, v186
	v_pk_mul_f16 v9, v9, v186
	;; [unrolled: 1-line block ×8, first 2 shown]
	v_wmma_f16_16x16x16_f16 v[8:11], v[157:160], v[173:176], v[8:11]
	v_dual_mov_b32 v158, v150 :: v_dual_add_f32 v157, v177, v178
	v_pk_mul_f16 v4, v4, v186
	v_pk_mul_f16 v5, v5, v186
	;; [unrolled: 1-line block ×4, first 2 shown]
	v_add_f32_e32 v157, v179, v157
	v_pk_mul_f16 v0, v0, v186
	v_pk_mul_f16 v1, v1, v186
	v_pk_mul_f16 v2, v2, v186
	v_pk_mul_f16 v3, v3, v186
	v_add_f32_e32 v157, v180, v157
	v_wmma_f16_16x16x16_f16 v[12:15], v[161:164], v[173:176], v[12:15]
	v_wmma_f16_16x16x16_f16 v[4:7], v[169:172], v[173:176], v[4:7]
	s_delay_alu instid0(VALU_DEP_4) | instskip(NEXT) | instid1(VALU_DEP_4)
	v_wmma_f16_16x16x16_f16 v[0:3], v[165:168], v[173:176], v[0:3]
	v_add_f32_e32 v157, v182, v157
	s_delay_alu instid0(VALU_DEP_1) | instskip(NEXT) | instid1(VALU_DEP_1)
	v_add_f32_e32 v157, v181, v157
	v_add_f32_e32 v157, v183, v157
	s_delay_alu instid0(VALU_DEP_1) | instskip(NEXT) | instid1(VALU_DEP_1)
	v_add_f32_e32 v150, v185, v157
	v_fmac_f32_e32 v150, v158, v184
	s_cbranch_scc1 .LBB0_35
	s_branch .LBB0_38
.LBB0_36:                               ;   in Loop: Header=BB0_12 Depth=1
	s_cbranch_execz .LBB0_11
	s_branch .LBB0_127
.LBB0_37:                               ;   in Loop: Header=BB0_12 Depth=1
	v_mov_b32_e32 v7, 0
	v_mov_b32_e32 v3, 0
	v_dual_mov_b32 v153, 0xfeffffff :: v_dual_mov_b32 v150, 0
	s_delay_alu instid0(VALU_DEP_3) | instskip(NEXT) | instid1(VALU_DEP_3)
	v_mov_b32_e32 v6, v7
	v_dual_mov_b32 v2, v3 :: v_dual_mov_b32 v1, v3
	v_dual_mov_b32 v0, v3 :: v_dual_mov_b32 v5, v7
	;; [unrolled: 1-line block ×6, first 2 shown]
	v_mov_b32_e32 v12, v7
.LBB0_38:                               ;   in Loop: Header=BB0_12 Depth=1
	s_lshl_b32 s4, s34, 6
	v_lshlrev_b32_e32 v154, 1, v74
	s_wait_alu 0xfffe
	s_ashr_i32 s5, s4, 31
	v_lshlrev_b64_e32 v[63:64], 1, v[63:64]
	s_wait_alu 0xfffe
	s_lshl_b64 s[94:95], s[4:5], 1
	v_lshlrev_b64_e32 v[61:62], 1, v[61:62]
	s_wait_alu 0xfffe
	s_add_nc_u64 s[94:95], s[80:81], s[94:95]
	s_wait_alu 0xfffe
	v_add_co_u32 v154, s3, s94, v154
	s_wait_alu 0xf1ff
	v_add_co_ci_u32_e64 v155, null, s95, 0, s3
	s_mul_u64 s[94:95], s[26:27], s[4:5]
	v_add_co_u32 v63, vcc_lo, v154, v63
	s_wait_alu 0xfffd
	v_add_co_ci_u32_e64 v64, null, v155, v64, vcc_lo
	v_add_co_u32 v61, vcc_lo, v154, v61
	s_wait_alu 0xfffd
	v_add_co_ci_u32_e64 v62, null, v155, v62, vcc_lo
	s_clause 0x1
	global_load_b32 v63, v[63:64], off
	global_load_b32 v61, v[61:62], off
	v_add_nc_u32_e32 v62, v72, v76
	s_wait_alu 0xfffe
	s_lshl_b64 s[94:95], s[94:95], 2
	s_mul_u64 s[4:5], s[36:37], s[4:5]
	s_wait_alu 0xfffe
	s_add_nc_u64 s[94:95], s[78:79], s[94:95]
	s_lshl_b64 s[4:5], s[4:5], 2
	v_add_nc_u32_e32 v62, 0x2400, v62
	s_wait_alu 0xfffe
	s_add_nc_u64 s[4:5], s[76:77], s[4:5]
	s_cmp_eq_u64 s[74:75], 0
	s_wait_loadcnt 0x0
	ds_store_2addr_b32 v62, v63, v61 offset1:144
	v_add_co_u32 v61, vcc_lo, s94, v46
	s_wait_alu 0xfffd
	v_add_co_ci_u32_e64 v62, null, s95, v47, vcc_lo
	s_delay_alu instid0(VALU_DEP_2) | instskip(SKIP_1) | instid1(VALU_DEP_2)
	v_add_co_u32 v61, vcc_lo, v61, v124
	s_wait_alu 0xfffd
	v_add_co_ci_u32_e64 v62, null, 0, v62, vcc_lo
	v_add_co_u32 v63, vcc_lo, s94, v48
	s_wait_alu 0xfffd
	v_add_co_ci_u32_e64 v64, null, s95, v49, vcc_lo
	s_delay_alu instid0(VALU_DEP_2) | instskip(SKIP_1) | instid1(VALU_DEP_2)
	v_add_co_u32 v154, vcc_lo, v63, v124
	s_wait_alu 0xfffd
	v_add_co_ci_u32_e64 v155, null, 0, v64, vcc_lo
	s_clause 0x1
	global_load_b128 v[61:64], v[61:62], off
	global_load_b128 v[154:157], v[154:155], off
	s_wait_loadcnt 0x1
	ds_store_b128 v77, v[61:64]
	s_wait_loadcnt 0x0
	ds_store_b128 v78, v[154:157]
	v_add_co_u32 v61, vcc_lo, s94, v50
	s_wait_alu 0xfffd
	v_add_co_ci_u32_e64 v62, null, s95, v51, vcc_lo
	s_delay_alu instid0(VALU_DEP_2) | instskip(SKIP_1) | instid1(VALU_DEP_2)
	v_add_co_u32 v61, vcc_lo, v61, v124
	s_wait_alu 0xfffd
	v_add_co_ci_u32_e64 v62, null, 0, v62, vcc_lo
	v_add_co_u32 v63, vcc_lo, s94, v52
	s_wait_alu 0xfffd
	v_add_co_ci_u32_e64 v64, null, s95, v53, vcc_lo
	s_delay_alu instid0(VALU_DEP_2) | instskip(SKIP_1) | instid1(VALU_DEP_2)
	v_add_co_u32 v154, vcc_lo, v63, v124
	s_wait_alu 0xfffd
	v_add_co_ci_u32_e64 v155, null, 0, v64, vcc_lo
	s_clause 0x1
	global_load_b128 v[61:64], v[61:62], off
	global_load_b128 v[154:157], v[154:155], off
	v_cmp_lt_i32_e32 vcc_lo, v151, v152
	s_wait_loadcnt 0x1
	ds_store_b128 v79, v[61:64]
	s_wait_loadcnt 0x0
	ds_store_b128 v80, v[154:157]
	s_wait_dscnt 0x0
	s_barrier_signal -1
	s_barrier_wait -1
	global_inv scope:SCOPE_SE
	ds_load_b128 v[61:64], v81
	ds_load_b128 v[162:165], v81 offset:32
	s_wait_dscnt 0x1
	v_wmma_f32_16x16x16_f16 v[154:161], v[61:64], v[24:27], 0
	s_wait_dscnt 0x0
	s_delay_alu instid0(VALU_DEP_1)
	v_wmma_f32_16x16x16_f16 v[154:161], v[162:165], v[28:31], v[154:161]
	ds_load_b128 v[24:27], v81 offset:64
	ds_load_b128 v[28:31], v81 offset:96
	s_wait_loadcnt_dscnt 0x0
	s_barrier_signal -1
	s_barrier_wait -1
	global_inv scope:SCOPE_SE
	v_wmma_f32_16x16x16_f16 v[154:161], v[24:27], v[20:23], v[154:161]
	s_delay_alu instid0(VALU_DEP_1)
	v_wmma_f32_16x16x16_f16 v[154:161], v[28:31], v[16:19], v[154:161]
	v_add_nc_u32_e32 v16, 0x2400, v82
	v_add_nc_u32_e32 v18, 0x2408, v82
	ds_load_2addr_b32 v[16:17], v16 offset1:1
	ds_load_2addr_b32 v[18:19], v18 offset1:1
	s_wait_dscnt 0x1
	v_cvt_f32_f16_e32 v20, v16
	v_lshrrev_b32_e32 v16, 16, v16
	v_cvt_f32_f16_e32 v21, v17
	v_lshrrev_b32_e32 v17, 16, v17
	s_wait_dscnt 0x0
	v_cvt_f32_f16_e32 v22, v18
	v_lshrrev_b32_e32 v18, 16, v18
	v_lshrrev_b32_e32 v23, 16, v19
	v_cvt_f32_f16_e32 v16, v16
	v_cvt_f32_f16_e32 v17, v17
	;; [unrolled: 1-line block ×5, first 2 shown]
	v_add_f32_e32 v162, v154, v20
	v_add_f32_e32 v155, v155, v16
	v_dual_add_f32 v17, v157, v17 :: v_dual_add_f32 v154, v158, v22
	v_dual_add_f32 v157, v159, v18 :: v_dual_add_f32 v158, v160, v19
	;; [unrolled: 1-line block ×3, first 2 shown]
	s_delay_alu instid0(VALU_DEP_3) | instskip(SKIP_1) | instid1(VALU_DEP_1)
	v_dual_add_f32 v16, 0x40051340, v162 :: v_dual_add_f32 v19, 0x40051340, v17
	v_add_f32_e32 v18, 0x40051340, v155
	v_max3_num_f32 v16, v153, v16, v18
	s_delay_alu instid0(VALU_DEP_4) | instskip(NEXT) | instid1(VALU_DEP_1)
	v_add_f32_e32 v18, 0x40051340, v156
	v_max3_num_f32 v16, v16, v18, v19
	v_dual_add_f32 v18, 0x40051340, v154 :: v_dual_add_f32 v19, 0x40051340, v157
	s_delay_alu instid0(VALU_DEP_1) | instskip(SKIP_1) | instid1(VALU_DEP_1)
	v_max3_num_f32 v16, v16, v18, v19
	v_dual_add_f32 v18, 0x40051340, v158 :: v_dual_add_f32 v19, 0x40051340, v159
	v_max3_num_f32 v16, v16, v18, v19
	s_wait_alu 0xfffd
	v_cndmask_b32_e32 v18, v148, v151, vcc_lo
	s_delay_alu instid0(VALU_DEP_1) | instskip(SKIP_3) | instid1(VALU_DEP_1)
	v_lshlrev_b32_e32 v18, 2, v18
	ds_bpermute_b32 v19, v18, v16
	s_wait_dscnt 0x0
	v_max_num_f32_e32 v19, v19, v19
	v_max_num_f32_e32 v16, v16, v19
	s_delay_alu instid0(VALU_DEP_1) | instskip(NEXT) | instid1(VALU_DEP_1)
	v_sub_f32_e32 v19, v153, v16
	v_mul_f32_e32 v20, 0x3fb8aa3b, v19
	v_cmp_ngt_f32_e32 vcc_lo, 0xc2ce8ed0, v19
	s_delay_alu instid0(VALU_DEP_2) | instskip(SKIP_1) | instid1(VALU_DEP_1)
	v_fma_f32 v21, 0x3fb8aa3b, v19, -v20
	v_rndne_f32_e32 v22, v20
	v_dual_fmac_f32 v21, 0x32a5705f, v19 :: v_dual_sub_f32 v20, v20, v22
	s_delay_alu instid0(VALU_DEP_1) | instskip(SKIP_1) | instid1(VALU_DEP_2)
	v_add_f32_e32 v20, v20, v21
	v_cvt_i32_f32_e32 v21, v22
	v_exp_f32_e32 v20, v20
	s_delay_alu instid0(TRANS32_DEP_1) | instskip(SKIP_1) | instid1(VALU_DEP_1)
	v_ldexp_f32 v20, v20, v21
	s_wait_alu 0xfffd
	v_cndmask_b32_e32 v20, 0, v20, vcc_lo
	v_cmp_nlt_f32_e32 vcc_lo, 0x42b17218, v19
	s_wait_alu 0xfffd
	s_delay_alu instid0(VALU_DEP_2) | instskip(SKIP_2) | instid1(VALU_DEP_2)
	v_cndmask_b32_e32 v20, 0x7f800000, v20, vcc_lo
	v_cmp_le_f32_e32 vcc_lo, 0xc1a00000, v19
	s_wait_alu 0xfffd
	v_cndmask_b32_e32 v160, 0, v20, vcc_lo
	s_delay_alu instid0(VALU_DEP_1) | instskip(NEXT) | instid1(VALU_DEP_1)
	v_cvt_f16_f32_e64 v19, v160
	v_and_b32_e32 v19, 0xffff, v19
	s_delay_alu instid0(VALU_DEP_1) | instskip(NEXT) | instid1(VALU_DEP_1)
	v_mul_u32_u24_e32 v19, 0x10001, v19
	v_pk_mul_f16 v12, v12, v19
	v_pk_mul_f16 v13, v13, v19
	;; [unrolled: 1-line block ×16, first 2 shown]
	s_wait_alu 0xfffe
	v_add_co_u32 v19, vcc_lo, s4, v38
	s_wait_alu 0xfffd
	v_add_co_ci_u32_e64 v20, null, s5, v39, vcc_lo
	s_delay_alu instid0(VALU_DEP_2) | instskip(SKIP_1) | instid1(VALU_DEP_2)
	v_add_co_u32 v19, vcc_lo, v19, v124
	s_wait_alu 0xfffd
	v_add_co_ci_u32_e64 v20, null, 0, v20, vcc_lo
	v_add_co_u32 v21, vcc_lo, s4, v40
	s_wait_alu 0xfffd
	v_add_co_ci_u32_e64 v22, null, s5, v41, vcc_lo
	s_delay_alu instid0(VALU_DEP_2) | instskip(SKIP_1) | instid1(VALU_DEP_2)
	v_add_co_u32 v23, vcc_lo, v21, v124
	s_wait_alu 0xfffd
	v_add_co_ci_u32_e64 v24, null, 0, v22, vcc_lo
	s_clause 0x1
	global_load_b128 v[19:22], v[19:20], off
	global_load_b128 v[23:26], v[23:24], off
	s_wait_loadcnt 0x1
	ds_store_b128 v77, v[19:22]
	s_wait_loadcnt 0x0
	ds_store_b128 v78, v[23:26]
	v_add_co_u32 v19, vcc_lo, s4, v42
	s_wait_alu 0xfffd
	v_add_co_ci_u32_e64 v20, null, s5, v43, vcc_lo
	s_delay_alu instid0(VALU_DEP_2) | instskip(SKIP_1) | instid1(VALU_DEP_2)
	v_add_co_u32 v19, vcc_lo, v19, v124
	s_wait_alu 0xfffd
	v_add_co_ci_u32_e64 v20, null, 0, v20, vcc_lo
	v_add_co_u32 v21, vcc_lo, s4, v44
	s_wait_alu 0xfffd
	v_add_co_ci_u32_e64 v22, null, s5, v45, vcc_lo
	s_delay_alu instid0(VALU_DEP_2) | instskip(SKIP_1) | instid1(VALU_DEP_2)
	v_add_co_u32 v23, vcc_lo, v21, v124
	s_wait_alu 0xfffd
	v_add_co_ci_u32_e64 v24, null, 0, v22, vcc_lo
	s_clause 0x1
	global_load_b128 v[19:22], v[19:20], off
	global_load_b128 v[23:26], v[23:24], off
	s_wait_loadcnt 0x1
	ds_store_b128 v79, v[19:22]
	s_wait_loadcnt 0x0
	ds_store_b128 v80, v[23:26]
	s_wait_dscnt 0x0
	s_barrier_signal -1
	s_barrier_wait -1
	global_inv scope:SCOPE_SE
	ds_load_2addr_b32 v[22:23], v83 offset0:72 offset1:88
	ds_load_2addr_b32 v[26:27], v83 offset0:108 offset1:124
	;; [unrolled: 1-line block ×4, first 2 shown]
	s_wait_dscnt 0x2
	v_perm_b32 v28, v27, v23, 0x7060302
	v_perm_b32 v20, v26, v22, 0x7060302
	s_wait_dscnt 0x0
	v_perm_b32 v21, v61, v29, 0x7060302
	v_perm_b32 v25, v61, v29, 0x5040100
	;; [unrolled: 1-line block ×4, first 2 shown]
	ds_load_2addr_b32 v[30:31], v83 offset1:16
	ds_load_2addr_b32 v[151:152], v83 offset0:36 offset1:52
	v_perm_b32 v62, v27, v23, 0x5040100
	v_perm_b32 v24, v26, v22, 0x5040100
	s_wait_dscnt 0x0
	v_perm_b32 v19, v151, v30, 0x7060302
	v_perm_b32 v23, v151, v30, 0x5040100
	;; [unrolled: 1-line block ×4, first 2 shown]
	ds_load_2addr_b32 v[30:31], v84 offset1:16
	ds_load_2addr_b32 v[151:152], v85 offset1:16
	s_wait_loadcnt_dscnt 0x0
	s_barrier_signal -1
	s_barrier_wait -1
	global_inv scope:SCOPE_SE
	v_perm_b32 v22, v151, v30, 0x7060302
	v_perm_b32 v26, v151, v30, 0x5040100
	v_perm_b32 v64, v152, v31, 0x5040100
	v_perm_b32 v30, v152, v31, 0x7060302
	v_sub_f32_e32 v31, v154, v16
	s_delay_alu instid0(VALU_DEP_1) | instskip(SKIP_1) | instid1(VALU_DEP_2)
	v_mul_f32_e32 v151, 0x3fb8aa3b, v31
	v_cmp_ngt_f32_e64 s5, 0xc2ce8ed0, v31
	v_fma_f32 v152, 0x3fb8aa3b, v31, -v151
	v_rndne_f32_e32 v153, v151
	s_delay_alu instid0(VALU_DEP_1) | instskip(SKIP_1) | instid1(VALU_DEP_2)
	v_dual_fmac_f32 v152, 0x32a5705f, v31 :: v_dual_sub_f32 v151, v151, v153
	v_cvt_i32_f32_e32 v153, v153
	v_add_f32_e32 v151, v151, v152
	v_sub_f32_e32 v152, v157, v16
	s_delay_alu instid0(VALU_DEP_2) | instskip(NEXT) | instid1(VALU_DEP_1)
	v_exp_f32_e32 v151, v151
	v_mul_f32_e32 v154, 0x3fb8aa3b, v152
	v_cmp_ngt_f32_e32 vcc_lo, 0xc2ce8ed0, v152
	s_delay_alu instid0(VALU_DEP_2) | instskip(SKIP_1) | instid1(TRANS32_DEP_1)
	v_fma_f32 v157, 0x3fb8aa3b, v152, -v154
	v_rndne_f32_e32 v161, v154
	v_ldexp_f32 v151, v151, v153
	s_delay_alu instid0(VALU_DEP_2) | instskip(SKIP_1) | instid1(VALU_DEP_2)
	v_dual_fmac_f32 v157, 0x32a5705f, v152 :: v_dual_sub_f32 v154, v154, v161
	s_wait_alu 0xf1ff
	v_cndmask_b32_e64 v151, 0, v151, s5
	v_cmp_nlt_f32_e64 s5, 0x42b17218, v31
	s_delay_alu instid0(VALU_DEP_3) | instskip(SKIP_2) | instid1(VALU_DEP_3)
	v_add_f32_e32 v154, v154, v157
	v_sub_f32_e32 v157, v158, v16
	s_wait_alu 0xf1ff
	v_cndmask_b32_e64 v31, 0x7f800000, v151, s5
	s_delay_alu instid0(VALU_DEP_3) | instskip(NEXT) | instid1(VALU_DEP_2)
	v_exp_f32_e32 v153, v154
	v_mul_f32_e32 v158, 0x3fb8aa3b, v157
	v_cvt_i32_f32_e32 v154, v161
	v_cmp_ngt_f32_e64 s3, 0xc2ce8ed0, v157
	v_cvt_f16_f32_e64 v151, v31
	s_delay_alu instid0(VALU_DEP_4) | instskip(SKIP_1) | instid1(TRANS32_DEP_1)
	v_fma_f32 v163, 0x3fb8aa3b, v157, -v158
	v_rndne_f32_e32 v164, v158
	v_ldexp_f32 v153, v153, v154
	s_delay_alu instid0(VALU_DEP_2)
	v_dual_fmac_f32 v163, 0x32a5705f, v157 :: v_dual_sub_f32 v158, v158, v164
	v_sub_f32_e32 v159, v159, v16
	v_sub_f32_e32 v17, v17, v16
	s_wait_alu 0xfffd
	v_cndmask_b32_e32 v153, 0, v153, vcc_lo
	v_cmp_nlt_f32_e32 vcc_lo, 0x42b17218, v152
	v_add_f32_e32 v158, v158, v163
	v_mul_f32_e32 v163, 0x3fb8aa3b, v159
	v_cmp_ngt_f32_e64 s4, 0xc2ce8ed0, v159
	s_delay_alu instid0(VALU_DEP_3) | instskip(NEXT) | instid1(VALU_DEP_2)
	v_exp_f32_e32 v154, v158
	v_fma_f32 v165, 0x3fb8aa3b, v159, -v163
	v_rndne_f32_e32 v166, v163
	v_cvt_i32_f32_e32 v158, v164
	s_delay_alu instid0(VALU_DEP_3) | instskip(NEXT) | instid1(VALU_DEP_3)
	v_fmac_f32_e32 v165, 0x32a5705f, v159
	v_sub_f32_e32 v163, v163, v166
	v_cvt_i32_f32_e32 v161, v166
	s_delay_alu instid0(TRANS32_DEP_1) | instid1(VALU_DEP_4)
	v_ldexp_f32 v154, v154, v158
	s_delay_alu instid0(VALU_DEP_3) | instskip(SKIP_1) | instid1(VALU_DEP_2)
	v_add_f32_e32 v163, v163, v165
	s_wait_alu 0xf1ff
	v_cndmask_b32_e64 v152, 0, v154, s3
	v_cmp_nlt_f32_e64 s3, 0x42b17218, v157
	s_delay_alu instid0(VALU_DEP_3) | instskip(SKIP_1) | instid1(VALU_DEP_1)
	v_exp_f32_e32 v158, v163
	s_wait_alu 0xf1ff
	v_cndmask_b32_e64 v157, 0x7f800000, v152, s3
	s_delay_alu instid0(VALU_DEP_1) | instskip(NEXT) | instid1(TRANS32_DEP_1)
	v_cvt_f16_f32_e64 v152, v157
	v_ldexp_f32 v158, v158, v161
	s_delay_alu instid0(VALU_DEP_1)
	v_cndmask_b32_e64 v154, 0, v158, s4
	v_cmp_nlt_f32_e64 s4, 0x42b17218, v159
	s_wait_alu 0xfffd
	v_cndmask_b32_e32 v159, 0x7f800000, v153, vcc_lo
	v_cmp_ngt_f32_e32 vcc_lo, 0xc2ce8ed0, v17
	s_wait_alu 0xf1ff
	v_cndmask_b32_e64 v158, 0x7f800000, v154, s4
	s_delay_alu instid0(VALU_DEP_3) | instskip(NEXT) | instid1(VALU_DEP_2)
	v_cvt_f16_f32_e64 v161, v159
	v_cvt_f16_f32_e64 v153, v158
	s_delay_alu instid0(VALU_DEP_1) | instskip(NEXT) | instid1(VALU_DEP_3)
	v_perm_b32 v154, v153, v152, 0x5040100
	v_perm_b32 v153, v161, v151, 0x5040100
	v_mul_f32_e32 v151, 0x3fb8aa3b, v17
	s_delay_alu instid0(VALU_DEP_1) | instskip(SKIP_1) | instid1(VALU_DEP_2)
	v_fma_f32 v152, 0x3fb8aa3b, v17, -v151
	v_rndne_f32_e32 v161, v151
	v_fmac_f32_e32 v152, 0x32a5705f, v17
	s_delay_alu instid0(VALU_DEP_2) | instskip(SKIP_1) | instid1(VALU_DEP_2)
	v_sub_f32_e32 v151, v151, v161
	v_cvt_i32_f32_e32 v161, v161
	v_add_f32_e32 v151, v151, v152
	v_sub_f32_e32 v152, v156, v16
	s_delay_alu instid0(VALU_DEP_2) | instskip(NEXT) | instid1(VALU_DEP_1)
	v_exp_f32_e32 v151, v151
	v_mul_f32_e32 v156, 0x3fb8aa3b, v152
	v_cmp_ngt_f32_e64 s3, 0xc2ce8ed0, v152
	s_delay_alu instid0(VALU_DEP_2) | instskip(SKIP_1) | instid1(TRANS32_DEP_1)
	v_fma_f32 v163, 0x3fb8aa3b, v152, -v156
	v_rndne_f32_e32 v164, v156
	v_ldexp_f32 v151, v151, v161
	s_delay_alu instid0(VALU_DEP_3) | instskip(NEXT) | instid1(VALU_DEP_3)
	v_fmac_f32_e32 v163, 0x32a5705f, v152
	v_sub_f32_e32 v156, v156, v164
	v_cvt_i32_f32_e32 v161, v164
	s_wait_alu 0xfffd
	v_cndmask_b32_e32 v151, 0, v151, vcc_lo
	v_cmp_nlt_f32_e32 vcc_lo, 0x42b17218, v17
	v_add_f32_e32 v156, v156, v163
	s_delay_alu instid0(VALU_DEP_1) | instskip(NEXT) | instid1(TRANS32_DEP_1)
	v_exp_f32_e32 v156, v156
	v_ldexp_f32 v156, v156, v161
	s_wait_alu 0xf1ff
	s_delay_alu instid0(VALU_DEP_1) | instskip(SKIP_4) | instid1(VALU_DEP_2)
	v_cndmask_b32_e64 v17, 0, v156, s3
	v_cmp_nlt_f32_e64 s3, 0x42b17218, v152
	s_wait_alu 0xfffd
	v_cndmask_b32_e32 v156, 0x7f800000, v151, vcc_lo
	s_wait_alu 0xf1ff
	v_cndmask_b32_e64 v17, 0x7f800000, v17, s3
	s_delay_alu instid0(VALU_DEP_2) | instskip(NEXT) | instid1(VALU_DEP_2)
	v_cvt_f16_f32_e64 v152, v156
	v_cvt_f16_f32_e64 v151, v17
	s_delay_alu instid0(VALU_DEP_1) | instskip(SKIP_1) | instid1(VALU_DEP_1)
	v_perm_b32 v152, v152, v151, 0x5040100
	v_sub_f32_e32 v151, v155, v16
	v_mul_f32_e32 v155, 0x3fb8aa3b, v151
	v_cmp_ngt_f32_e32 vcc_lo, 0xc2ce8ed0, v151
	s_delay_alu instid0(VALU_DEP_2) | instskip(SKIP_1) | instid1(VALU_DEP_2)
	v_fma_f32 v161, 0x3fb8aa3b, v151, -v155
	v_rndne_f32_e32 v163, v155
	v_fmac_f32_e32 v161, 0x32a5705f, v151
	s_delay_alu instid0(VALU_DEP_2) | instskip(SKIP_1) | instid1(VALU_DEP_2)
	v_sub_f32_e32 v155, v155, v163
	v_cvt_i32_f32_e32 v163, v163
	v_add_f32_e32 v155, v155, v161
	v_sub_f32_e32 v161, v162, v16
	s_delay_alu instid0(VALU_DEP_2) | instskip(NEXT) | instid1(VALU_DEP_1)
	v_exp_f32_e32 v155, v155
	v_cmp_ngt_f32_e64 s3, 0xc2ce8ed0, v161
	s_delay_alu instid0(TRANS32_DEP_1) | instskip(SKIP_1) | instid1(VALU_DEP_1)
	v_ldexp_f32 v155, v155, v163
	s_wait_alu 0xfffd
	v_dual_mul_f32 v162, 0x3fb8aa3b, v161 :: v_dual_cndmask_b32 v155, 0, v155
	s_delay_alu instid0(VALU_DEP_1) | instskip(SKIP_3) | instid1(VALU_DEP_2)
	v_fma_f32 v164, 0x3fb8aa3b, v161, -v162
	v_rndne_f32_e32 v165, v162
	v_cmp_nlt_f32_e32 vcc_lo, 0x42b17218, v151
	s_wait_alu 0xfffd
	v_dual_sub_f32 v162, v162, v165 :: v_dual_cndmask_b32 v155, 0x7f800000, v155
	v_fmac_f32_e32 v164, 0x32a5705f, v161
	v_cvt_i32_f32_e32 v163, v165
	s_delay_alu instid0(VALU_DEP_2) | instskip(NEXT) | instid1(VALU_DEP_1)
	v_add_f32_e32 v162, v162, v164
	v_exp_f32_e32 v162, v162
	s_delay_alu instid0(TRANS32_DEP_1) | instskip(SKIP_1) | instid1(VALU_DEP_1)
	v_ldexp_f32 v162, v162, v163
	s_wait_alu 0xf1ff
	v_cndmask_b32_e64 v151, 0, v162, s3
	v_cmp_nlt_f32_e64 s3, 0x42b17218, v161
	v_cvt_f16_f32_e64 v162, v155
	s_wait_alu 0xf1ff
	s_delay_alu instid0(VALU_DEP_2)
	v_cndmask_b32_e64 v161, 0x7f800000, v151, s3
	s_cselect_b32 s3, -1, 0
	s_xor_b32 s4, s0, -1
	s_wait_alu 0xfffe
	s_or_b32 s3, s4, s3
	v_cvt_f16_f32_e64 v151, v161
	s_delay_alu instid0(VALU_DEP_1) | instskip(NEXT) | instid1(VALU_DEP_1)
	v_perm_b32 v151, v162, v151, 0x5040100
	v_wmma_f16_16x16x16_f16 v[8:11], v[19:22], v[151:154], v[8:11]
	v_add_f32_e32 v19, v161, v155
	v_wmma_f16_16x16x16_f16 v[12:15], v[23:26], v[151:154], v[12:15]
	v_wmma_f16_16x16x16_f16 v[4:7], v[61:64], v[151:154], v[4:7]
	;; [unrolled: 1-line block ×3, first 2 shown]
	s_delay_alu instid0(VALU_DEP_4) | instskip(NEXT) | instid1(VALU_DEP_1)
	v_add_f32_e32 v17, v17, v19
	v_add_f32_e32 v17, v156, v17
	s_delay_alu instid0(VALU_DEP_1) | instskip(NEXT) | instid1(VALU_DEP_1)
	v_add_f32_e32 v17, v31, v17
	v_add_f32_e32 v17, v159, v17
	s_delay_alu instid0(VALU_DEP_1) | instskip(NEXT) | instid1(VALU_DEP_1)
	v_add_f32_e32 v17, v157, v17
	v_add_f32_e32 v17, v158, v17
	s_delay_alu instid0(VALU_DEP_1)
	v_fmac_f32_e32 v17, v150, v160
	ds_bpermute_b32 v19, v18, v17
	s_wait_alu 0xfffe
	s_and_saveexec_b32 s4, s3
	s_wait_alu 0xfffe
	s_xor_b32 s3, exec_lo, s4
	s_wait_alu 0xfffe
	s_or_saveexec_b32 s4, s3
	s_wait_dscnt 0x0
	v_add_f32_e32 v17, v17, v19
	s_wait_alu 0xfffe
	s_xor_b32 exec_lo, exec_lo, s4
	s_cbranch_execz .LBB0_40
; %bb.39:                               ;   in Loop: Header=BB0_12 Depth=1
	v_dual_max_num_f32 v20, v16, v16 :: v_dual_lshlrev_b32 v19, 2, v86
	global_load_b32 v19, v19, s[74:75]
	s_wait_loadcnt 0x0
	v_max_num_f32_e32 v21, v19, v19
	s_delay_alu instid0(VALU_DEP_1) | instskip(NEXT) | instid1(VALU_DEP_1)
	v_max_num_f32_e32 v20, v20, v21
	v_sub_f32_e32 v16, v16, v20
	s_delay_alu instid0(VALU_DEP_1) | instskip(SKIP_2) | instid1(VALU_DEP_3)
	v_mul_f32_e32 v21, 0x3fb8aa3b, v16
	v_sub_f32_e32 v19, v19, v20
	v_cmp_ngt_f32_e32 vcc_lo, 0xc2ce8ed0, v16
	v_fma_f32 v22, 0x3fb8aa3b, v16, -v21
	v_rndne_f32_e32 v23, v21
	s_delay_alu instid0(VALU_DEP_1) | instskip(SKIP_1) | instid1(VALU_DEP_2)
	v_dual_fmac_f32 v22, 0x32a5705f, v16 :: v_dual_sub_f32 v21, v21, v23
	v_cvt_i32_f32_e32 v23, v23
	v_dual_add_f32 v21, v21, v22 :: v_dual_mul_f32 v22, 0x3fb8aa3b, v19
	s_delay_alu instid0(VALU_DEP_1) | instskip(NEXT) | instid1(VALU_DEP_1)
	v_exp_f32_e32 v21, v21
	v_fma_f32 v24, 0x3fb8aa3b, v19, -v22
	v_rndne_f32_e32 v25, v22
	s_delay_alu instid0(VALU_DEP_1) | instskip(SKIP_1) | instid1(TRANS32_DEP_1)
	v_sub_f32_e32 v22, v22, v25
	v_cmp_ngt_f32_e64 s3, 0xc2ce8ed0, v19
	v_ldexp_f32 v21, v21, v23
	v_fmac_f32_e32 v24, 0x32a5705f, v19
	v_cvt_i32_f32_e32 v23, v25
	s_wait_alu 0xfffd
	s_delay_alu instid0(VALU_DEP_3) | instskip(SKIP_2) | instid1(VALU_DEP_2)
	v_cndmask_b32_e32 v21, 0, v21, vcc_lo
	v_cmp_nlt_f32_e32 vcc_lo, 0x42b17218, v16
	s_wait_alu 0xfffd
	v_dual_add_f32 v22, v22, v24 :: v_dual_cndmask_b32 v21, 0x7f800000, v21
	s_delay_alu instid0(VALU_DEP_1) | instskip(SKIP_1) | instid1(TRANS32_DEP_1)
	v_exp_f32_e32 v22, v22
	v_cmp_le_f32_e32 vcc_lo, 0xc1a00000, v16
	v_ldexp_f32 v22, v22, v23
	s_wait_alu 0xf1ff
	s_delay_alu instid0(VALU_DEP_1) | instskip(SKIP_2) | instid1(VALU_DEP_1)
	v_cndmask_b32_e64 v16, 0, v22, s3
	v_cmp_nlt_f32_e64 s3, 0x42b17218, v19
	s_wait_alu 0xf1ff
	v_cndmask_b32_e64 v19, 0x7f800000, v16, s3
	s_wait_alu 0xfffd
	v_cndmask_b32_e32 v16, 0, v21, vcc_lo
	s_delay_alu instid0(VALU_DEP_1) | instskip(SKIP_1) | instid1(VALU_DEP_1)
	v_fmac_f32_e32 v19, v17, v16
	v_cvt_f16_f32_e32 v16, v16
	v_and_b32_e32 v16, 0xffff, v16
	s_delay_alu instid0(VALU_DEP_1) | instskip(SKIP_1) | instid1(VALU_DEP_2)
	v_mul_u32_u24_e32 v17, 0x10001, v16
	v_mov_b32_e32 v16, v20
	v_pk_mul_f16 v12, v12, v17
	v_pk_mul_f16 v13, v13, v17
	;; [unrolled: 1-line block ×16, first 2 shown]
	v_mov_b32_e32 v17, v19
.LBB0_40:                               ;   in Loop: Header=BB0_12 Depth=1
	s_or_b32 exec_lo, exec_lo, s4
	s_and_saveexec_b32 s3, s2
; %bb.41:                               ;   in Loop: Header=BB0_12 Depth=1
	v_add_nc_u32_e32 v19, 0, v92
	ds_store_2addr_b32 v19, v16, v17 offset0:32 offset1:33
; %bb.42:                               ;   in Loop: Header=BB0_12 Depth=1
	s_wait_alu 0xfffe
	s_or_b32 exec_lo, exec_lo, s3
	s_wait_loadcnt_dscnt 0x0
	s_barrier_signal -1
	s_barrier_wait -1
	global_inv scope:SCOPE_SE
	s_and_saveexec_b32 s3, s1
	s_wait_alu 0xfffe
	s_xor_b32 s3, exec_lo, s3
	s_cbranch_execz .LBB0_44
; %bb.43:                               ;   in Loop: Header=BB0_12 Depth=1
	s_wait_loadcnt 0x0
	s_barrier_signal -1
	s_barrier_wait -1
	global_inv scope:SCOPE_SE
                                        ; implicit-def: $vgpr18
.LBB0_44:                               ;   in Loop: Header=BB0_12 Depth=1
	s_wait_alu 0xfffe
	s_and_not1_saveexec_b32 s3, s3
	s_cbranch_execz .LBB0_48
; %bb.45:                               ;   in Loop: Header=BB0_12 Depth=1
	v_add_nc_u32_e32 v16, 0, v93
	s_delay_alu instid0(VALU_DEP_1)
	v_add_nc_u32_e32 v23, 0x80, v16
	ds_load_2addr_stride64_b64 v[19:22], v23 offset1:9
	s_wait_loadcnt_dscnt 0x0
	s_barrier_signal -1
	s_barrier_wait -1
	global_inv scope:SCOPE_SE
	v_dual_max_num_f32 v16, v21, v21 :: v_dual_max_num_f32 v17, v19, v19
	s_delay_alu instid0(VALU_DEP_1) | instskip(SKIP_3) | instid1(VALU_DEP_1)
	v_max_num_f32_e32 v16, v17, v16
	ds_bpermute_b32 v17, v18, v16
	s_wait_dscnt 0x0
	v_max_num_f32_e32 v17, v17, v17
	v_max_num_f32_e32 v16, v16, v17
	s_delay_alu instid0(VALU_DEP_1) | instskip(SKIP_1) | instid1(VALU_DEP_1)
	v_sub_f32_e32 v17, v21, v16
	v_sub_f32_e32 v21, v19, v16
	v_mul_f32_e32 v24, 0x3fb8aa3b, v21
	s_delay_alu instid0(VALU_DEP_3) | instskip(SKIP_1) | instid1(VALU_DEP_3)
	v_mul_f32_e32 v19, 0x3fb8aa3b, v17
	v_cmp_ngt_f32_e32 vcc_lo, 0xc2ce8ed0, v17
	v_fma_f32 v27, 0x3fb8aa3b, v21, -v24
	s_delay_alu instid0(VALU_DEP_3) | instskip(SKIP_2) | instid1(VALU_DEP_4)
	v_fma_f32 v25, 0x3fb8aa3b, v17, -v19
	v_rndne_f32_e32 v26, v19
	v_rndne_f32_e32 v28, v24
	v_fmac_f32_e32 v27, 0x32a5705f, v21
	s_delay_alu instid0(VALU_DEP_4) | instskip(NEXT) | instid1(VALU_DEP_3)
	v_fmac_f32_e32 v25, 0x32a5705f, v17
	v_dual_sub_f32 v19, v19, v26 :: v_dual_sub_f32 v24, v24, v28
	s_delay_alu instid0(VALU_DEP_1) | instskip(SKIP_2) | instid1(VALU_DEP_3)
	v_dual_add_f32 v19, v19, v25 :: v_dual_add_f32 v24, v24, v27
	v_cvt_i32_f32_e32 v25, v26
	v_cvt_i32_f32_e32 v26, v28
	v_exp_f32_e32 v19, v19
	s_delay_alu instid0(VALU_DEP_3) | instskip(NEXT) | instid1(TRANS32_DEP_2)
	v_exp_f32_e32 v24, v24
	v_ldexp_f32 v19, v19, v25
	s_delay_alu instid0(TRANS32_DEP_1) | instskip(SKIP_1) | instid1(VALU_DEP_2)
	v_ldexp_f32 v24, v24, v26
	s_wait_alu 0xfffd
	v_cndmask_b32_e32 v19, 0, v19, vcc_lo
	v_cmp_ngt_f32_e32 vcc_lo, 0xc2ce8ed0, v21
	s_wait_alu 0xfffd
	v_cndmask_b32_e32 v24, 0, v24, vcc_lo
	v_cmp_nlt_f32_e32 vcc_lo, 0x42b17218, v17
	s_wait_alu 0xfffd
	v_cndmask_b32_e32 v19, 0x7f800000, v19, vcc_lo
	v_cmp_nlt_f32_e32 vcc_lo, 0x42b17218, v21
	s_delay_alu instid0(VALU_DEP_2) | instskip(SKIP_2) | instid1(VALU_DEP_1)
	v_mul_f32_e32 v21, v22, v19
	s_wait_alu 0xfffd
	v_cndmask_b32_e32 v17, 0x7f800000, v24, vcc_lo
	v_fmac_f32_e32 v21, v20, v17
	ds_bpermute_b32 v18, v18, v21
	s_wait_dscnt 0x0
	v_add_f32_e32 v18, v21, v18
	s_delay_alu instid0(VALU_DEP_1)
	v_mov_b32_e32 v20, v18
	ds_store_2addr_stride64_b64 v23, v[17:18], v[19:20] offset1:9
	s_and_saveexec_b32 s4, s2
	s_cbranch_execz .LBB0_47
; %bb.46:                               ;   in Loop: Header=BB0_12 Depth=1
	v_mov_b32_e32 v17, v18
	global_store_b64 v[32:33], v[16:17], off
.LBB0_47:                               ;   in Loop: Header=BB0_12 Depth=1
	s_wait_alu 0xfffe
	s_or_b32 exec_lo, exec_lo, s4
.LBB0_48:                               ;   in Loop: Header=BB0_12 Depth=1
	s_wait_alu 0xfffe
	s_or_b32 exec_lo, exec_lo, s3
	v_perm_b32 v16, v8, v12, 0x5040100
	v_perm_b32 v8, v8, v12, 0x7060302
	;; [unrolled: 1-line block ×8, first 2 shown]
	v_add_nc_u32_e32 v15, v94, v95
	v_perm_b32 v17, v0, v4, 0x5040100
	v_perm_b32 v0, v0, v4, 0x7060302
	;; [unrolled: 1-line block ×8, first 2 shown]
	ds_store_2addr_b32 v15, v16, v8 offset1:1
	ds_store_2addr_b32 v15, v12, v9 offset0:2 offset1:3
	ds_store_2addr_b32 v15, v13, v10 offset0:4 offset1:5
	;; [unrolled: 1-line block ×7, first 2 shown]
	s_wait_storecnt 0x0
	s_wait_loadcnt_dscnt 0x0
	s_barrier_signal -1
	s_barrier_wait -1
	global_inv scope:SCOPE_SE
	s_and_saveexec_b32 s5, s0
	s_cbranch_execz .LBB0_126
; %bb.49:                               ;   in Loop: Header=BB0_12 Depth=1
	v_add_nc_u32_e32 v0, s56, v96
	v_or_b32_e32 v1, s39, v60
	s_delay_alu instid0(VALU_DEP_1) | instskip(SKIP_1) | instid1(VALU_DEP_4)
	v_cmp_gt_i32_e32 vcc_lo, s33, v1
	v_mov_b32_e32 v1, 0x47
	v_cmp_gt_i32_e64 s3, s24, v0
	s_and_b32 s3, s3, vcc_lo
	s_wait_alu 0xfffe
	s_and_saveexec_b32 s4, s3
	s_cbranch_execz .LBB0_51
; %bb.50:                               ;   in Loop: Header=BB0_12 Depth=1
	v_add_nc_u32_e32 v1, 0, v97
	v_add_nc_u32_e32 v5, v72, v97
	v_mad_co_u64_u32 v[9:10], null, v0, s25, v[60:61]
	s_delay_alu instid0(VALU_DEP_3)
	v_add_nc_u32_e32 v7, 0x80, v1
	ds_load_2addr_stride64_b32 v[1:2], v5 offset1:9
	ds_load_2addr_stride64_b32 v[3:4], v7 offset1:9
	ds_load_2addr_stride64_b32 v[5:6], v5 offset0:18 offset1:27
	ds_load_2addr_stride64_b32 v[7:8], v7 offset0:18 offset1:27
	v_lshl_add_u32 v0, v9, 5, v36
	s_wait_dscnt 0x2
	v_fma_mix_f32 v10, v3, v1, 0 op_sel_hi:[0,1,0]
	v_fma_mix_f32 v1, v3, v1, 0 op_sel:[0,1,0] op_sel_hi:[0,1,0]
	s_delay_alu instid0(VALU_DEP_2) | instskip(NEXT) | instid1(VALU_DEP_2)
	v_fma_mix_f32 v3, v4, v2, v10 op_sel_hi:[0,1,0]
	v_fma_mix_f32 v2, v4, v2, v1 op_sel:[0,1,0] op_sel_hi:[0,1,0]
	v_ashrrev_i32_e32 v1, 31, v0
	s_wait_dscnt 0x0
	s_delay_alu instid0(VALU_DEP_3) | instskip(NEXT) | instid1(VALU_DEP_3)
	v_fma_mix_f32 v3, v7, v5, v3 op_sel_hi:[0,1,0]
	v_fma_mix_f32 v4, v7, v5, v2 op_sel:[0,1,0] op_sel_hi:[0,1,0]
	s_delay_alu instid0(VALU_DEP_3) | instskip(NEXT) | instid1(VALU_DEP_3)
	v_lshlrev_b64_e32 v[0:1], 3, v[0:1]
	v_fma_mix_f32 v2, v8, v6, v3 op_sel_hi:[0,1,0]
	s_delay_alu instid0(VALU_DEP_3) | instskip(NEXT) | instid1(VALU_DEP_3)
	v_fma_mix_f32 v3, v8, v6, v4 op_sel:[0,1,0] op_sel_hi:[0,1,0]
	v_add_co_u32 v4, s3, s72, v0
	s_wait_alu 0xf1ff
	s_delay_alu instid0(VALU_DEP_4)
	v_add_co_ci_u32_e64 v5, null, s73, v1, s3
	v_mov_b32_e32 v1, 0
	global_store_b64 v[4:5], v[2:3], off
.LBB0_51:                               ;   in Loop: Header=BB0_12 Depth=1
	s_wait_alu 0xfffe
	s_or_b32 exec_lo, exec_lo, s4
	s_mov_b32 s4, -1
	s_mov_b32 s34, exec_lo
	v_cmpx_gt_i32_e32 0x47, v1
; %bb.52:                               ;   in Loop: Header=BB0_12 Depth=1
	v_cmp_eq_u32_e64 s3, 0, v1
	s_or_not1_b32 s4, s3, exec_lo
; %bb.53:                               ;   in Loop: Header=BB0_12 Depth=1
	s_wait_alu 0xfffe
	s_or_b32 exec_lo, exec_lo, s34
	s_delay_alu instid0(SALU_CYCLE_1)
	s_and_b32 exec_lo, exec_lo, s4
	s_cbranch_execz .LBB0_126
; %bb.54:                               ;   in Loop: Header=BB0_12 Depth=1
	v_add_nc_u32_e32 v0, s56, v98
	v_or_b32_e32 v1, s39, v34
	s_delay_alu instid0(VALU_DEP_1) | instskip(SKIP_1) | instid1(VALU_DEP_4)
	v_cmp_gt_i32_e64 s4, s33, v1
	v_mov_b32_e32 v1, 0x47
	v_cmp_gt_i32_e64 s3, s24, v0
	s_and_b32 s3, s3, s4
	s_wait_alu 0xfffe
	s_and_saveexec_b32 s4, s3
	s_cbranch_execz .LBB0_56
; %bb.55:                               ;   in Loop: Header=BB0_12 Depth=1
	v_add_nc_u32_e32 v1, 0, v99
	v_add_nc_u32_e32 v5, v72, v99
	v_mad_co_u64_u32 v[9:10], null, v0, s25, v[34:35]
	s_delay_alu instid0(VALU_DEP_3)
	v_add_nc_u32_e32 v7, 0x80, v1
	ds_load_2addr_stride64_b32 v[1:2], v5 offset1:9
	ds_load_2addr_stride64_b32 v[3:4], v7 offset1:9
	ds_load_2addr_stride64_b32 v[5:6], v5 offset0:18 offset1:27
	ds_load_2addr_stride64_b32 v[7:8], v7 offset0:18 offset1:27
	v_lshl_add_u32 v0, v9, 5, v36
	s_wait_dscnt 0x2
	v_fma_mix_f32 v10, v3, v1, 0 op_sel_hi:[0,1,0]
	v_fma_mix_f32 v1, v3, v1, 0 op_sel:[0,1,0] op_sel_hi:[0,1,0]
	s_delay_alu instid0(VALU_DEP_2) | instskip(NEXT) | instid1(VALU_DEP_2)
	v_fma_mix_f32 v3, v4, v2, v10 op_sel_hi:[0,1,0]
	v_fma_mix_f32 v2, v4, v2, v1 op_sel:[0,1,0] op_sel_hi:[0,1,0]
	v_ashrrev_i32_e32 v1, 31, v0
	s_wait_dscnt 0x0
	s_delay_alu instid0(VALU_DEP_3) | instskip(NEXT) | instid1(VALU_DEP_3)
	v_fma_mix_f32 v3, v7, v5, v3 op_sel_hi:[0,1,0]
	v_fma_mix_f32 v4, v7, v5, v2 op_sel:[0,1,0] op_sel_hi:[0,1,0]
	s_delay_alu instid0(VALU_DEP_3) | instskip(NEXT) | instid1(VALU_DEP_3)
	v_lshlrev_b64_e32 v[0:1], 3, v[0:1]
	v_fma_mix_f32 v2, v8, v6, v3 op_sel_hi:[0,1,0]
	s_delay_alu instid0(VALU_DEP_3) | instskip(NEXT) | instid1(VALU_DEP_3)
	v_fma_mix_f32 v3, v8, v6, v4 op_sel:[0,1,0] op_sel_hi:[0,1,0]
	v_add_co_u32 v4, s3, s72, v0
	s_wait_alu 0xf1ff
	s_delay_alu instid0(VALU_DEP_4)
	v_add_co_ci_u32_e64 v5, null, s73, v1, s3
	v_mov_b32_e32 v1, 0
	global_store_b64 v[4:5], v[2:3], off
.LBB0_56:                               ;   in Loop: Header=BB0_12 Depth=1
	s_wait_alu 0xfffe
	s_or_b32 exec_lo, exec_lo, s4
	s_mov_b32 s4, -1
	s_mov_b32 s34, exec_lo
	v_cmpx_gt_i32_e32 0x47, v1
; %bb.57:                               ;   in Loop: Header=BB0_12 Depth=1
	v_cmp_eq_u32_e64 s3, 0, v1
	s_or_not1_b32 s4, s3, exec_lo
; %bb.58:                               ;   in Loop: Header=BB0_12 Depth=1
	s_wait_alu 0xfffe
	s_or_b32 exec_lo, exec_lo, s34
	s_delay_alu instid0(SALU_CYCLE_1)
	s_and_b32 exec_lo, exec_lo, s4
	s_cbranch_execz .LBB0_126
; %bb.59:                               ;   in Loop: Header=BB0_12 Depth=1
	v_dual_mov_b32 v1, 0x47 :: v_dual_add_nc_u32 v0, s56, v100
	s_delay_alu instid0(VALU_DEP_1)
	v_cmp_gt_i32_e64 s3, s24, v0
	s_and_b32 s3, s3, vcc_lo
	s_wait_alu 0xfffe
	s_and_saveexec_b32 s4, s3
	s_cbranch_execz .LBB0_61
; %bb.60:                               ;   in Loop: Header=BB0_12 Depth=1
	v_add_nc_u32_e32 v1, 0, v101
	v_add_nc_u32_e32 v5, v72, v101
	v_mad_co_u64_u32 v[9:10], null, v0, s25, v[60:61]
	s_delay_alu instid0(VALU_DEP_3)
	v_add_nc_u32_e32 v7, 0x80, v1
	ds_load_2addr_stride64_b32 v[1:2], v5 offset1:9
	ds_load_2addr_stride64_b32 v[3:4], v7 offset1:9
	ds_load_2addr_stride64_b32 v[5:6], v5 offset0:18 offset1:27
	ds_load_2addr_stride64_b32 v[7:8], v7 offset0:18 offset1:27
	v_lshl_add_u32 v0, v9, 5, v36
	s_wait_dscnt 0x2
	v_fma_mix_f32 v10, v3, v1, 0 op_sel_hi:[0,1,0]
	v_fma_mix_f32 v1, v3, v1, 0 op_sel:[0,1,0] op_sel_hi:[0,1,0]
	s_delay_alu instid0(VALU_DEP_2) | instskip(NEXT) | instid1(VALU_DEP_2)
	v_fma_mix_f32 v3, v4, v2, v10 op_sel_hi:[0,1,0]
	v_fma_mix_f32 v2, v4, v2, v1 op_sel:[0,1,0] op_sel_hi:[0,1,0]
	v_ashrrev_i32_e32 v1, 31, v0
	s_wait_dscnt 0x0
	s_delay_alu instid0(VALU_DEP_3) | instskip(NEXT) | instid1(VALU_DEP_3)
	v_fma_mix_f32 v3, v7, v5, v3 op_sel_hi:[0,1,0]
	v_fma_mix_f32 v4, v7, v5, v2 op_sel:[0,1,0] op_sel_hi:[0,1,0]
	s_delay_alu instid0(VALU_DEP_3) | instskip(NEXT) | instid1(VALU_DEP_3)
	v_lshlrev_b64_e32 v[0:1], 3, v[0:1]
	v_fma_mix_f32 v2, v8, v6, v3 op_sel_hi:[0,1,0]
	s_delay_alu instid0(VALU_DEP_3) | instskip(NEXT) | instid1(VALU_DEP_3)
	v_fma_mix_f32 v3, v8, v6, v4 op_sel:[0,1,0] op_sel_hi:[0,1,0]
	v_add_co_u32 v4, s3, s72, v0
	s_wait_alu 0xf1ff
	s_delay_alu instid0(VALU_DEP_4)
	v_add_co_ci_u32_e64 v5, null, s73, v1, s3
	v_mov_b32_e32 v1, 0
	global_store_b64 v[4:5], v[2:3], off
.LBB0_61:                               ;   in Loop: Header=BB0_12 Depth=1
	s_wait_alu 0xfffe
	s_or_b32 exec_lo, exec_lo, s4
	s_mov_b32 s4, -1
	s_mov_b32 s34, exec_lo
	v_cmpx_gt_i32_e32 0x47, v1
; %bb.62:                               ;   in Loop: Header=BB0_12 Depth=1
	v_cmp_eq_u32_e64 s3, 0, v1
	s_or_not1_b32 s4, s3, exec_lo
; %bb.63:                               ;   in Loop: Header=BB0_12 Depth=1
	s_wait_alu 0xfffe
	s_or_b32 exec_lo, exec_lo, s34
	s_delay_alu instid0(SALU_CYCLE_1)
	s_and_b32 exec_lo, exec_lo, s4
	s_cbranch_execz .LBB0_126
; %bb.64:                               ;   in Loop: Header=BB0_12 Depth=1
	v_add_nc_u32_e32 v0, s56, v102
	v_or_b32_e32 v1, s39, v35
	s_delay_alu instid0(VALU_DEP_1) | instskip(SKIP_1) | instid1(VALU_DEP_4)
	v_cmp_gt_i32_e64 s4, s33, v1
	v_mov_b32_e32 v1, 0x47
	v_cmp_gt_i32_e64 s3, s24, v0
	s_and_b32 s3, s3, s4
	s_wait_alu 0xfffe
	s_and_saveexec_b32 s4, s3
	s_cbranch_execz .LBB0_66
; %bb.65:                               ;   in Loop: Header=BB0_12 Depth=1
	v_add_nc_u32_e32 v1, 0, v103
	v_add_nc_u32_e32 v5, v72, v103
	v_mad_co_u64_u32 v[9:10], null, v0, s25, v[35:36]
	s_delay_alu instid0(VALU_DEP_3)
	v_add_nc_u32_e32 v7, 0x80, v1
	ds_load_2addr_stride64_b32 v[1:2], v5 offset1:9
	ds_load_2addr_stride64_b32 v[3:4], v7 offset1:9
	ds_load_2addr_stride64_b32 v[5:6], v5 offset0:18 offset1:27
	ds_load_2addr_stride64_b32 v[7:8], v7 offset0:18 offset1:27
	v_lshl_add_u32 v0, v9, 5, v36
	s_wait_dscnt 0x2
	v_fma_mix_f32 v10, v3, v1, 0 op_sel_hi:[0,1,0]
	v_fma_mix_f32 v1, v3, v1, 0 op_sel:[0,1,0] op_sel_hi:[0,1,0]
	s_delay_alu instid0(VALU_DEP_2) | instskip(NEXT) | instid1(VALU_DEP_2)
	v_fma_mix_f32 v3, v4, v2, v10 op_sel_hi:[0,1,0]
	v_fma_mix_f32 v2, v4, v2, v1 op_sel:[0,1,0] op_sel_hi:[0,1,0]
	v_ashrrev_i32_e32 v1, 31, v0
	s_wait_dscnt 0x0
	s_delay_alu instid0(VALU_DEP_3) | instskip(NEXT) | instid1(VALU_DEP_3)
	v_fma_mix_f32 v3, v7, v5, v3 op_sel_hi:[0,1,0]
	v_fma_mix_f32 v4, v7, v5, v2 op_sel:[0,1,0] op_sel_hi:[0,1,0]
	s_delay_alu instid0(VALU_DEP_3) | instskip(NEXT) | instid1(VALU_DEP_3)
	v_lshlrev_b64_e32 v[0:1], 3, v[0:1]
	v_fma_mix_f32 v2, v8, v6, v3 op_sel_hi:[0,1,0]
	s_delay_alu instid0(VALU_DEP_3) | instskip(NEXT) | instid1(VALU_DEP_3)
	v_fma_mix_f32 v3, v8, v6, v4 op_sel:[0,1,0] op_sel_hi:[0,1,0]
	v_add_co_u32 v4, s3, s72, v0
	s_wait_alu 0xf1ff
	s_delay_alu instid0(VALU_DEP_4)
	v_add_co_ci_u32_e64 v5, null, s73, v1, s3
	v_mov_b32_e32 v1, 0
	global_store_b64 v[4:5], v[2:3], off
.LBB0_66:                               ;   in Loop: Header=BB0_12 Depth=1
	s_wait_alu 0xfffe
	s_or_b32 exec_lo, exec_lo, s4
	s_mov_b32 s4, -1
	s_mov_b32 s34, exec_lo
	v_cmpx_gt_i32_e32 0x47, v1
; %bb.67:                               ;   in Loop: Header=BB0_12 Depth=1
	v_cmp_eq_u32_e64 s3, 0, v1
	s_or_not1_b32 s4, s3, exec_lo
; %bb.68:                               ;   in Loop: Header=BB0_12 Depth=1
	s_wait_alu 0xfffe
	s_or_b32 exec_lo, exec_lo, s34
	s_delay_alu instid0(SALU_CYCLE_1)
	s_and_b32 exec_lo, exec_lo, s4
	s_cbranch_execz .LBB0_126
; %bb.69:                               ;   in Loop: Header=BB0_12 Depth=1
	v_dual_mov_b32 v1, 0x47 :: v_dual_add_nc_u32 v0, s56, v104
	s_delay_alu instid0(VALU_DEP_1)
	v_cmp_gt_i32_e64 s3, s24, v0
	s_and_b32 s3, s3, vcc_lo
	s_wait_alu 0xfffe
	s_and_saveexec_b32 s4, s3
	s_cbranch_execz .LBB0_71
; %bb.70:                               ;   in Loop: Header=BB0_12 Depth=1
	v_add_nc_u32_e32 v1, 0, v105
	v_add_nc_u32_e32 v5, v72, v105
	v_mad_co_u64_u32 v[9:10], null, v0, s25, v[60:61]
	s_delay_alu instid0(VALU_DEP_3)
	v_add_nc_u32_e32 v7, 0x80, v1
	ds_load_2addr_stride64_b32 v[1:2], v5 offset1:9
	ds_load_2addr_stride64_b32 v[3:4], v7 offset1:9
	ds_load_2addr_stride64_b32 v[5:6], v5 offset0:18 offset1:27
	ds_load_2addr_stride64_b32 v[7:8], v7 offset0:18 offset1:27
	v_lshl_add_u32 v0, v9, 5, v36
	s_wait_dscnt 0x2
	v_fma_mix_f32 v10, v3, v1, 0 op_sel_hi:[0,1,0]
	v_fma_mix_f32 v1, v3, v1, 0 op_sel:[0,1,0] op_sel_hi:[0,1,0]
	s_delay_alu instid0(VALU_DEP_2) | instskip(NEXT) | instid1(VALU_DEP_2)
	v_fma_mix_f32 v3, v4, v2, v10 op_sel_hi:[0,1,0]
	v_fma_mix_f32 v2, v4, v2, v1 op_sel:[0,1,0] op_sel_hi:[0,1,0]
	v_ashrrev_i32_e32 v1, 31, v0
	s_wait_dscnt 0x0
	s_delay_alu instid0(VALU_DEP_3) | instskip(NEXT) | instid1(VALU_DEP_3)
	v_fma_mix_f32 v3, v7, v5, v3 op_sel_hi:[0,1,0]
	v_fma_mix_f32 v4, v7, v5, v2 op_sel:[0,1,0] op_sel_hi:[0,1,0]
	s_delay_alu instid0(VALU_DEP_3) | instskip(NEXT) | instid1(VALU_DEP_3)
	v_lshlrev_b64_e32 v[0:1], 3, v[0:1]
	v_fma_mix_f32 v2, v8, v6, v3 op_sel_hi:[0,1,0]
	s_delay_alu instid0(VALU_DEP_3) | instskip(NEXT) | instid1(VALU_DEP_3)
	v_fma_mix_f32 v3, v8, v6, v4 op_sel:[0,1,0] op_sel_hi:[0,1,0]
	v_add_co_u32 v4, s3, s72, v0
	s_wait_alu 0xf1ff
	s_delay_alu instid0(VALU_DEP_4)
	v_add_co_ci_u32_e64 v5, null, s73, v1, s3
	v_mov_b32_e32 v1, 0
	global_store_b64 v[4:5], v[2:3], off
.LBB0_71:                               ;   in Loop: Header=BB0_12 Depth=1
	s_wait_alu 0xfffe
	s_or_b32 exec_lo, exec_lo, s4
	s_mov_b32 s4, -1
	s_mov_b32 s34, exec_lo
	v_cmpx_gt_i32_e32 0x47, v1
; %bb.72:                               ;   in Loop: Header=BB0_12 Depth=1
	v_cmp_eq_u32_e64 s3, 0, v1
	s_or_not1_b32 s4, s3, exec_lo
; %bb.73:                               ;   in Loop: Header=BB0_12 Depth=1
	s_wait_alu 0xfffe
	s_or_b32 exec_lo, exec_lo, s34
	s_delay_alu instid0(SALU_CYCLE_1)
	s_and_b32 exec_lo, exec_lo, s4
	s_cbranch_execz .LBB0_126
; %bb.74:                               ;   in Loop: Header=BB0_12 Depth=1
	v_add_nc_u32_e32 v0, s56, v106
	v_or_b32_e32 v1, s39, v37
	s_delay_alu instid0(VALU_DEP_1) | instskip(SKIP_1) | instid1(VALU_DEP_4)
	v_cmp_gt_i32_e64 s4, s33, v1
	v_mov_b32_e32 v1, 0x47
	v_cmp_gt_i32_e64 s3, s24, v0
	s_and_b32 s3, s3, s4
	s_wait_alu 0xfffe
	s_and_saveexec_b32 s4, s3
	s_cbranch_execz .LBB0_76
; %bb.75:                               ;   in Loop: Header=BB0_12 Depth=1
	v_add_nc_u32_e32 v1, 0, v107
	v_add_nc_u32_e32 v5, v72, v107
	v_mad_co_u64_u32 v[9:10], null, v0, s25, v[37:38]
	s_delay_alu instid0(VALU_DEP_3)
	v_add_nc_u32_e32 v7, 0x80, v1
	ds_load_2addr_stride64_b32 v[1:2], v5 offset1:9
	ds_load_2addr_stride64_b32 v[3:4], v7 offset1:9
	ds_load_2addr_stride64_b32 v[5:6], v5 offset0:18 offset1:27
	ds_load_2addr_stride64_b32 v[7:8], v7 offset0:18 offset1:27
	v_lshl_add_u32 v0, v9, 5, v36
	s_wait_dscnt 0x2
	v_fma_mix_f32 v10, v3, v1, 0 op_sel_hi:[0,1,0]
	v_fma_mix_f32 v1, v3, v1, 0 op_sel:[0,1,0] op_sel_hi:[0,1,0]
	s_delay_alu instid0(VALU_DEP_2) | instskip(NEXT) | instid1(VALU_DEP_2)
	v_fma_mix_f32 v3, v4, v2, v10 op_sel_hi:[0,1,0]
	v_fma_mix_f32 v2, v4, v2, v1 op_sel:[0,1,0] op_sel_hi:[0,1,0]
	v_ashrrev_i32_e32 v1, 31, v0
	s_wait_dscnt 0x0
	s_delay_alu instid0(VALU_DEP_3) | instskip(NEXT) | instid1(VALU_DEP_3)
	v_fma_mix_f32 v3, v7, v5, v3 op_sel_hi:[0,1,0]
	v_fma_mix_f32 v4, v7, v5, v2 op_sel:[0,1,0] op_sel_hi:[0,1,0]
	s_delay_alu instid0(VALU_DEP_3) | instskip(NEXT) | instid1(VALU_DEP_3)
	v_lshlrev_b64_e32 v[0:1], 3, v[0:1]
	v_fma_mix_f32 v2, v8, v6, v3 op_sel_hi:[0,1,0]
	s_delay_alu instid0(VALU_DEP_3) | instskip(NEXT) | instid1(VALU_DEP_3)
	v_fma_mix_f32 v3, v8, v6, v4 op_sel:[0,1,0] op_sel_hi:[0,1,0]
	v_add_co_u32 v4, s3, s72, v0
	s_wait_alu 0xf1ff
	s_delay_alu instid0(VALU_DEP_4)
	v_add_co_ci_u32_e64 v5, null, s73, v1, s3
	v_mov_b32_e32 v1, 0
	global_store_b64 v[4:5], v[2:3], off
.LBB0_76:                               ;   in Loop: Header=BB0_12 Depth=1
	s_wait_alu 0xfffe
	s_or_b32 exec_lo, exec_lo, s4
	s_mov_b32 s4, -1
	s_mov_b32 s34, exec_lo
	v_cmpx_gt_i32_e32 0x47, v1
; %bb.77:                               ;   in Loop: Header=BB0_12 Depth=1
	v_cmp_eq_u32_e64 s3, 0, v1
	s_or_not1_b32 s4, s3, exec_lo
; %bb.78:                               ;   in Loop: Header=BB0_12 Depth=1
	s_wait_alu 0xfffe
	s_or_b32 exec_lo, exec_lo, s34
	s_delay_alu instid0(SALU_CYCLE_1)
	s_and_b32 exec_lo, exec_lo, s4
	s_cbranch_execz .LBB0_126
; %bb.79:                               ;   in Loop: Header=BB0_12 Depth=1
	v_dual_mov_b32 v1, 0x47 :: v_dual_add_nc_u32 v0, s56, v108
	s_delay_alu instid0(VALU_DEP_1)
	v_cmp_gt_i32_e64 s3, s24, v0
	s_and_b32 s3, s3, vcc_lo
	s_wait_alu 0xfffe
	s_and_saveexec_b32 s4, s3
	s_cbranch_execz .LBB0_81
; %bb.80:                               ;   in Loop: Header=BB0_12 Depth=1
	v_add_nc_u32_e32 v1, 0, v109
	v_add_nc_u32_e32 v5, v72, v109
	v_mad_co_u64_u32 v[9:10], null, v0, s25, v[60:61]
	s_delay_alu instid0(VALU_DEP_3)
	v_add_nc_u32_e32 v7, 0x80, v1
	ds_load_2addr_stride64_b32 v[1:2], v5 offset1:9
	ds_load_2addr_stride64_b32 v[3:4], v7 offset1:9
	ds_load_2addr_stride64_b32 v[5:6], v5 offset0:18 offset1:27
	ds_load_2addr_stride64_b32 v[7:8], v7 offset0:18 offset1:27
	v_lshl_add_u32 v0, v9, 5, v36
	s_wait_dscnt 0x2
	v_fma_mix_f32 v10, v3, v1, 0 op_sel_hi:[0,1,0]
	v_fma_mix_f32 v1, v3, v1, 0 op_sel:[0,1,0] op_sel_hi:[0,1,0]
	s_delay_alu instid0(VALU_DEP_2) | instskip(NEXT) | instid1(VALU_DEP_2)
	v_fma_mix_f32 v3, v4, v2, v10 op_sel_hi:[0,1,0]
	v_fma_mix_f32 v2, v4, v2, v1 op_sel:[0,1,0] op_sel_hi:[0,1,0]
	v_ashrrev_i32_e32 v1, 31, v0
	s_wait_dscnt 0x0
	s_delay_alu instid0(VALU_DEP_3) | instskip(NEXT) | instid1(VALU_DEP_3)
	v_fma_mix_f32 v3, v7, v5, v3 op_sel_hi:[0,1,0]
	v_fma_mix_f32 v4, v7, v5, v2 op_sel:[0,1,0] op_sel_hi:[0,1,0]
	s_delay_alu instid0(VALU_DEP_3) | instskip(NEXT) | instid1(VALU_DEP_3)
	v_lshlrev_b64_e32 v[0:1], 3, v[0:1]
	v_fma_mix_f32 v2, v8, v6, v3 op_sel_hi:[0,1,0]
	s_delay_alu instid0(VALU_DEP_3) | instskip(NEXT) | instid1(VALU_DEP_3)
	v_fma_mix_f32 v3, v8, v6, v4 op_sel:[0,1,0] op_sel_hi:[0,1,0]
	v_add_co_u32 v4, s3, s72, v0
	s_wait_alu 0xf1ff
	s_delay_alu instid0(VALU_DEP_4)
	v_add_co_ci_u32_e64 v5, null, s73, v1, s3
	v_mov_b32_e32 v1, 0
	global_store_b64 v[4:5], v[2:3], off
.LBB0_81:                               ;   in Loop: Header=BB0_12 Depth=1
	s_wait_alu 0xfffe
	s_or_b32 exec_lo, exec_lo, s4
	s_mov_b32 s4, -1
	s_mov_b32 s34, exec_lo
	v_cmpx_gt_i32_e32 0x47, v1
; %bb.82:                               ;   in Loop: Header=BB0_12 Depth=1
	v_cmp_eq_u32_e64 s3, 0, v1
	s_or_not1_b32 s4, s3, exec_lo
; %bb.83:                               ;   in Loop: Header=BB0_12 Depth=1
	s_wait_alu 0xfffe
	s_or_b32 exec_lo, exec_lo, s34
	s_delay_alu instid0(SALU_CYCLE_1)
	s_and_b32 exec_lo, exec_lo, s4
	s_cbranch_execz .LBB0_126
; %bb.84:                               ;   in Loop: Header=BB0_12 Depth=1
	v_add_nc_u32_e32 v0, s56, v125
	v_or_b32_e32 v1, s39, v54
	s_delay_alu instid0(VALU_DEP_1) | instskip(SKIP_1) | instid1(VALU_DEP_4)
	v_cmp_gt_i32_e64 s4, s33, v1
	v_mov_b32_e32 v1, 0x47
	v_cmp_gt_i32_e64 s3, s24, v0
	s_and_b32 s3, s3, s4
	s_wait_alu 0xfffe
	s_and_saveexec_b32 s4, s3
	s_cbranch_execz .LBB0_86
; %bb.85:                               ;   in Loop: Header=BB0_12 Depth=1
	v_add_nc_u32_e32 v1, 0, v110
	v_add_nc_u32_e32 v5, v72, v110
	v_mad_co_u64_u32 v[9:10], null, v0, s25, v[54:55]
	s_delay_alu instid0(VALU_DEP_3)
	v_add_nc_u32_e32 v7, 0x80, v1
	ds_load_2addr_stride64_b32 v[1:2], v5 offset1:9
	ds_load_2addr_stride64_b32 v[3:4], v7 offset1:9
	ds_load_2addr_stride64_b32 v[5:6], v5 offset0:18 offset1:27
	ds_load_2addr_stride64_b32 v[7:8], v7 offset0:18 offset1:27
	v_lshl_add_u32 v0, v9, 5, v36
	s_wait_dscnt 0x2
	v_fma_mix_f32 v10, v3, v1, 0 op_sel_hi:[0,1,0]
	v_fma_mix_f32 v1, v3, v1, 0 op_sel:[0,1,0] op_sel_hi:[0,1,0]
	s_delay_alu instid0(VALU_DEP_2) | instskip(NEXT) | instid1(VALU_DEP_2)
	v_fma_mix_f32 v3, v4, v2, v10 op_sel_hi:[0,1,0]
	v_fma_mix_f32 v2, v4, v2, v1 op_sel:[0,1,0] op_sel_hi:[0,1,0]
	v_ashrrev_i32_e32 v1, 31, v0
	s_wait_dscnt 0x0
	s_delay_alu instid0(VALU_DEP_3) | instskip(NEXT) | instid1(VALU_DEP_3)
	v_fma_mix_f32 v3, v7, v5, v3 op_sel_hi:[0,1,0]
	v_fma_mix_f32 v4, v7, v5, v2 op_sel:[0,1,0] op_sel_hi:[0,1,0]
	s_delay_alu instid0(VALU_DEP_3) | instskip(NEXT) | instid1(VALU_DEP_3)
	v_lshlrev_b64_e32 v[0:1], 3, v[0:1]
	v_fma_mix_f32 v2, v8, v6, v3 op_sel_hi:[0,1,0]
	s_delay_alu instid0(VALU_DEP_3) | instskip(NEXT) | instid1(VALU_DEP_3)
	v_fma_mix_f32 v3, v8, v6, v4 op_sel:[0,1,0] op_sel_hi:[0,1,0]
	v_add_co_u32 v4, s3, s72, v0
	s_wait_alu 0xf1ff
	s_delay_alu instid0(VALU_DEP_4)
	v_add_co_ci_u32_e64 v5, null, s73, v1, s3
	v_mov_b32_e32 v1, 0
	global_store_b64 v[4:5], v[2:3], off
.LBB0_86:                               ;   in Loop: Header=BB0_12 Depth=1
	s_wait_alu 0xfffe
	s_or_b32 exec_lo, exec_lo, s4
	s_mov_b32 s4, -1
	s_mov_b32 s34, exec_lo
	v_cmpx_gt_i32_e32 0x47, v1
; %bb.87:                               ;   in Loop: Header=BB0_12 Depth=1
	v_cmp_eq_u32_e64 s3, 0, v1
	s_or_not1_b32 s4, s3, exec_lo
; %bb.88:                               ;   in Loop: Header=BB0_12 Depth=1
	s_wait_alu 0xfffe
	s_or_b32 exec_lo, exec_lo, s34
	s_delay_alu instid0(SALU_CYCLE_1)
	s_and_b32 exec_lo, exec_lo, s4
	s_cbranch_execz .LBB0_126
; %bb.89:                               ;   in Loop: Header=BB0_12 Depth=1
	v_dual_mov_b32 v1, 0x47 :: v_dual_add_nc_u32 v0, s56, v111
	s_delay_alu instid0(VALU_DEP_1)
	v_cmp_gt_i32_e64 s3, s24, v0
	s_and_b32 s3, s3, vcc_lo
	s_wait_alu 0xfffe
	s_and_saveexec_b32 s4, s3
	s_cbranch_execz .LBB0_91
; %bb.90:                               ;   in Loop: Header=BB0_12 Depth=1
	v_add_nc_u32_e32 v1, 0, v112
	v_add_nc_u32_e32 v5, v72, v112
	v_mad_co_u64_u32 v[9:10], null, v0, s25, v[60:61]
	s_delay_alu instid0(VALU_DEP_3)
	v_add_nc_u32_e32 v7, 0x80, v1
	ds_load_2addr_stride64_b32 v[1:2], v5 offset1:9
	ds_load_2addr_stride64_b32 v[3:4], v7 offset1:9
	ds_load_2addr_stride64_b32 v[5:6], v5 offset0:18 offset1:27
	ds_load_2addr_stride64_b32 v[7:8], v7 offset0:18 offset1:27
	v_lshl_add_u32 v0, v9, 5, v36
	s_wait_dscnt 0x2
	v_fma_mix_f32 v10, v3, v1, 0 op_sel_hi:[0,1,0]
	v_fma_mix_f32 v1, v3, v1, 0 op_sel:[0,1,0] op_sel_hi:[0,1,0]
	s_delay_alu instid0(VALU_DEP_2) | instskip(NEXT) | instid1(VALU_DEP_2)
	v_fma_mix_f32 v3, v4, v2, v10 op_sel_hi:[0,1,0]
	v_fma_mix_f32 v2, v4, v2, v1 op_sel:[0,1,0] op_sel_hi:[0,1,0]
	v_ashrrev_i32_e32 v1, 31, v0
	s_wait_dscnt 0x0
	s_delay_alu instid0(VALU_DEP_3) | instskip(NEXT) | instid1(VALU_DEP_3)
	v_fma_mix_f32 v3, v7, v5, v3 op_sel_hi:[0,1,0]
	v_fma_mix_f32 v4, v7, v5, v2 op_sel:[0,1,0] op_sel_hi:[0,1,0]
	s_delay_alu instid0(VALU_DEP_3) | instskip(NEXT) | instid1(VALU_DEP_3)
	v_lshlrev_b64_e32 v[0:1], 3, v[0:1]
	v_fma_mix_f32 v2, v8, v6, v3 op_sel_hi:[0,1,0]
	s_delay_alu instid0(VALU_DEP_3) | instskip(NEXT) | instid1(VALU_DEP_3)
	v_fma_mix_f32 v3, v8, v6, v4 op_sel:[0,1,0] op_sel_hi:[0,1,0]
	v_add_co_u32 v4, s3, s72, v0
	s_wait_alu 0xf1ff
	s_delay_alu instid0(VALU_DEP_4)
	v_add_co_ci_u32_e64 v5, null, s73, v1, s3
	v_mov_b32_e32 v1, 0
	global_store_b64 v[4:5], v[2:3], off
.LBB0_91:                               ;   in Loop: Header=BB0_12 Depth=1
	s_wait_alu 0xfffe
	s_or_b32 exec_lo, exec_lo, s4
	s_mov_b32 s4, -1
	s_mov_b32 s34, exec_lo
	v_cmpx_gt_i32_e32 0x47, v1
; %bb.92:                               ;   in Loop: Header=BB0_12 Depth=1
	v_cmp_eq_u32_e64 s3, 0, v1
	s_or_not1_b32 s4, s3, exec_lo
; %bb.93:                               ;   in Loop: Header=BB0_12 Depth=1
	s_wait_alu 0xfffe
	s_or_b32 exec_lo, exec_lo, s34
	s_delay_alu instid0(SALU_CYCLE_1)
	s_and_b32 exec_lo, exec_lo, s4
	s_cbranch_execz .LBB0_126
; %bb.94:                               ;   in Loop: Header=BB0_12 Depth=1
	v_add_nc_u32_e32 v0, s56, v126
	v_or_b32_e32 v1, s39, v55
	s_delay_alu instid0(VALU_DEP_1) | instskip(SKIP_1) | instid1(VALU_DEP_4)
	v_cmp_gt_i32_e64 s4, s33, v1
	v_mov_b32_e32 v1, 0x47
	v_cmp_gt_i32_e64 s3, s24, v0
	s_and_b32 s3, s3, s4
	s_wait_alu 0xfffe
	s_and_saveexec_b32 s4, s3
	s_cbranch_execz .LBB0_96
; %bb.95:                               ;   in Loop: Header=BB0_12 Depth=1
	v_add_nc_u32_e32 v1, 0, v113
	v_add_nc_u32_e32 v5, v72, v113
	v_mad_co_u64_u32 v[9:10], null, v0, s25, v[55:56]
	s_delay_alu instid0(VALU_DEP_3)
	v_add_nc_u32_e32 v7, 0x80, v1
	ds_load_2addr_stride64_b32 v[1:2], v5 offset1:9
	ds_load_2addr_stride64_b32 v[3:4], v7 offset1:9
	ds_load_2addr_stride64_b32 v[5:6], v5 offset0:18 offset1:27
	ds_load_2addr_stride64_b32 v[7:8], v7 offset0:18 offset1:27
	v_lshl_add_u32 v0, v9, 5, v36
	s_wait_dscnt 0x2
	v_fma_mix_f32 v10, v3, v1, 0 op_sel_hi:[0,1,0]
	v_fma_mix_f32 v1, v3, v1, 0 op_sel:[0,1,0] op_sel_hi:[0,1,0]
	s_delay_alu instid0(VALU_DEP_2) | instskip(NEXT) | instid1(VALU_DEP_2)
	v_fma_mix_f32 v3, v4, v2, v10 op_sel_hi:[0,1,0]
	v_fma_mix_f32 v2, v4, v2, v1 op_sel:[0,1,0] op_sel_hi:[0,1,0]
	v_ashrrev_i32_e32 v1, 31, v0
	s_wait_dscnt 0x0
	s_delay_alu instid0(VALU_DEP_3) | instskip(NEXT) | instid1(VALU_DEP_3)
	v_fma_mix_f32 v3, v7, v5, v3 op_sel_hi:[0,1,0]
	v_fma_mix_f32 v4, v7, v5, v2 op_sel:[0,1,0] op_sel_hi:[0,1,0]
	s_delay_alu instid0(VALU_DEP_3) | instskip(NEXT) | instid1(VALU_DEP_3)
	v_lshlrev_b64_e32 v[0:1], 3, v[0:1]
	v_fma_mix_f32 v2, v8, v6, v3 op_sel_hi:[0,1,0]
	s_delay_alu instid0(VALU_DEP_3) | instskip(NEXT) | instid1(VALU_DEP_3)
	v_fma_mix_f32 v3, v8, v6, v4 op_sel:[0,1,0] op_sel_hi:[0,1,0]
	v_add_co_u32 v4, s3, s72, v0
	s_wait_alu 0xf1ff
	s_delay_alu instid0(VALU_DEP_4)
	v_add_co_ci_u32_e64 v5, null, s73, v1, s3
	v_mov_b32_e32 v1, 0
	global_store_b64 v[4:5], v[2:3], off
.LBB0_96:                               ;   in Loop: Header=BB0_12 Depth=1
	s_wait_alu 0xfffe
	s_or_b32 exec_lo, exec_lo, s4
	s_mov_b32 s4, -1
	s_mov_b32 s34, exec_lo
	v_cmpx_gt_i32_e32 0x47, v1
; %bb.97:                               ;   in Loop: Header=BB0_12 Depth=1
	v_cmp_eq_u32_e64 s3, 0, v1
	s_or_not1_b32 s4, s3, exec_lo
; %bb.98:                               ;   in Loop: Header=BB0_12 Depth=1
	s_wait_alu 0xfffe
	s_or_b32 exec_lo, exec_lo, s34
	s_delay_alu instid0(SALU_CYCLE_1)
	s_and_b32 exec_lo, exec_lo, s4
	s_cbranch_execz .LBB0_126
; %bb.99:                               ;   in Loop: Header=BB0_12 Depth=1
	v_dual_mov_b32 v1, 0x47 :: v_dual_add_nc_u32 v0, s56, v114
	s_delay_alu instid0(VALU_DEP_1)
	v_cmp_gt_i32_e64 s3, s24, v0
	s_and_b32 s3, s3, vcc_lo
	s_wait_alu 0xfffe
	s_and_saveexec_b32 s4, s3
	s_cbranch_execz .LBB0_101
; %bb.100:                              ;   in Loop: Header=BB0_12 Depth=1
	v_add_nc_u32_e32 v1, 0, v115
	v_add_nc_u32_e32 v5, v72, v115
	v_mad_co_u64_u32 v[9:10], null, v0, s25, v[60:61]
	s_delay_alu instid0(VALU_DEP_3)
	v_add_nc_u32_e32 v7, 0x80, v1
	ds_load_2addr_stride64_b32 v[1:2], v5 offset1:9
	ds_load_2addr_stride64_b32 v[3:4], v7 offset1:9
	ds_load_2addr_stride64_b32 v[5:6], v5 offset0:18 offset1:27
	ds_load_2addr_stride64_b32 v[7:8], v7 offset0:18 offset1:27
	v_lshl_add_u32 v0, v9, 5, v36
	s_wait_dscnt 0x2
	v_fma_mix_f32 v10, v3, v1, 0 op_sel_hi:[0,1,0]
	v_fma_mix_f32 v1, v3, v1, 0 op_sel:[0,1,0] op_sel_hi:[0,1,0]
	s_delay_alu instid0(VALU_DEP_2) | instskip(NEXT) | instid1(VALU_DEP_2)
	v_fma_mix_f32 v3, v4, v2, v10 op_sel_hi:[0,1,0]
	v_fma_mix_f32 v2, v4, v2, v1 op_sel:[0,1,0] op_sel_hi:[0,1,0]
	v_ashrrev_i32_e32 v1, 31, v0
	s_wait_dscnt 0x0
	s_delay_alu instid0(VALU_DEP_3) | instskip(NEXT) | instid1(VALU_DEP_3)
	v_fma_mix_f32 v3, v7, v5, v3 op_sel_hi:[0,1,0]
	v_fma_mix_f32 v4, v7, v5, v2 op_sel:[0,1,0] op_sel_hi:[0,1,0]
	s_delay_alu instid0(VALU_DEP_3) | instskip(NEXT) | instid1(VALU_DEP_3)
	v_lshlrev_b64_e32 v[0:1], 3, v[0:1]
	v_fma_mix_f32 v2, v8, v6, v3 op_sel_hi:[0,1,0]
	s_delay_alu instid0(VALU_DEP_3) | instskip(NEXT) | instid1(VALU_DEP_3)
	v_fma_mix_f32 v3, v8, v6, v4 op_sel:[0,1,0] op_sel_hi:[0,1,0]
	v_add_co_u32 v4, s3, s72, v0
	s_wait_alu 0xf1ff
	s_delay_alu instid0(VALU_DEP_4)
	v_add_co_ci_u32_e64 v5, null, s73, v1, s3
	v_mov_b32_e32 v1, 0
	global_store_b64 v[4:5], v[2:3], off
.LBB0_101:                              ;   in Loop: Header=BB0_12 Depth=1
	s_wait_alu 0xfffe
	s_or_b32 exec_lo, exec_lo, s4
	s_mov_b32 s4, -1
	s_mov_b32 s34, exec_lo
	v_cmpx_gt_i32_e32 0x47, v1
; %bb.102:                              ;   in Loop: Header=BB0_12 Depth=1
	v_cmp_eq_u32_e64 s3, 0, v1
	s_or_not1_b32 s4, s3, exec_lo
; %bb.103:                              ;   in Loop: Header=BB0_12 Depth=1
	s_wait_alu 0xfffe
	s_or_b32 exec_lo, exec_lo, s34
	s_delay_alu instid0(SALU_CYCLE_1)
	s_and_b32 exec_lo, exec_lo, s4
	s_cbranch_execz .LBB0_126
; %bb.104:                              ;   in Loop: Header=BB0_12 Depth=1
	v_add_nc_u32_e32 v0, s56, v127
	v_or_b32_e32 v1, s39, v56
	s_delay_alu instid0(VALU_DEP_1) | instskip(SKIP_1) | instid1(VALU_DEP_4)
	v_cmp_gt_i32_e64 s4, s33, v1
	v_mov_b32_e32 v1, 0x47
	v_cmp_gt_i32_e64 s3, s24, v0
	s_and_b32 s3, s3, s4
	s_wait_alu 0xfffe
	s_and_saveexec_b32 s4, s3
	s_cbranch_execz .LBB0_106
; %bb.105:                              ;   in Loop: Header=BB0_12 Depth=1
	v_add_nc_u32_e32 v1, 0, v116
	v_add_nc_u32_e32 v5, v72, v116
	v_mad_co_u64_u32 v[9:10], null, v0, s25, v[56:57]
	s_delay_alu instid0(VALU_DEP_3)
	v_add_nc_u32_e32 v7, 0x80, v1
	ds_load_2addr_stride64_b32 v[1:2], v5 offset1:9
	ds_load_2addr_stride64_b32 v[3:4], v7 offset1:9
	ds_load_2addr_stride64_b32 v[5:6], v5 offset0:18 offset1:27
	ds_load_2addr_stride64_b32 v[7:8], v7 offset0:18 offset1:27
	v_lshl_add_u32 v0, v9, 5, v36
	s_wait_dscnt 0x2
	v_fma_mix_f32 v10, v3, v1, 0 op_sel_hi:[0,1,0]
	v_fma_mix_f32 v1, v3, v1, 0 op_sel:[0,1,0] op_sel_hi:[0,1,0]
	s_delay_alu instid0(VALU_DEP_2) | instskip(NEXT) | instid1(VALU_DEP_2)
	v_fma_mix_f32 v3, v4, v2, v10 op_sel_hi:[0,1,0]
	v_fma_mix_f32 v2, v4, v2, v1 op_sel:[0,1,0] op_sel_hi:[0,1,0]
	v_ashrrev_i32_e32 v1, 31, v0
	s_wait_dscnt 0x0
	s_delay_alu instid0(VALU_DEP_3) | instskip(NEXT) | instid1(VALU_DEP_3)
	v_fma_mix_f32 v3, v7, v5, v3 op_sel_hi:[0,1,0]
	v_fma_mix_f32 v4, v7, v5, v2 op_sel:[0,1,0] op_sel_hi:[0,1,0]
	s_delay_alu instid0(VALU_DEP_3) | instskip(NEXT) | instid1(VALU_DEP_3)
	v_lshlrev_b64_e32 v[0:1], 3, v[0:1]
	v_fma_mix_f32 v2, v8, v6, v3 op_sel_hi:[0,1,0]
	s_delay_alu instid0(VALU_DEP_3) | instskip(NEXT) | instid1(VALU_DEP_3)
	v_fma_mix_f32 v3, v8, v6, v4 op_sel:[0,1,0] op_sel_hi:[0,1,0]
	v_add_co_u32 v4, s3, s72, v0
	s_wait_alu 0xf1ff
	s_delay_alu instid0(VALU_DEP_4)
	v_add_co_ci_u32_e64 v5, null, s73, v1, s3
	v_mov_b32_e32 v1, 0
	global_store_b64 v[4:5], v[2:3], off
.LBB0_106:                              ;   in Loop: Header=BB0_12 Depth=1
	s_wait_alu 0xfffe
	s_or_b32 exec_lo, exec_lo, s4
	s_mov_b32 s4, -1
	s_mov_b32 s34, exec_lo
	v_cmpx_gt_i32_e32 0x47, v1
; %bb.107:                              ;   in Loop: Header=BB0_12 Depth=1
	v_cmp_eq_u32_e64 s3, 0, v1
	s_or_not1_b32 s4, s3, exec_lo
; %bb.108:                              ;   in Loop: Header=BB0_12 Depth=1
	s_wait_alu 0xfffe
	s_or_b32 exec_lo, exec_lo, s34
	s_delay_alu instid0(SALU_CYCLE_1)
	s_and_b32 exec_lo, exec_lo, s4
	s_cbranch_execz .LBB0_126
; %bb.109:                              ;   in Loop: Header=BB0_12 Depth=1
	v_dual_mov_b32 v1, 0x47 :: v_dual_add_nc_u32 v0, s56, v117
	s_delay_alu instid0(VALU_DEP_1)
	v_cmp_gt_i32_e64 s3, s24, v0
	s_and_b32 s3, s3, vcc_lo
	s_wait_alu 0xfffe
	s_and_saveexec_b32 s4, s3
	s_cbranch_execz .LBB0_111
; %bb.110:                              ;   in Loop: Header=BB0_12 Depth=1
	v_add_nc_u32_e32 v1, 0, v118
	v_add_nc_u32_e32 v5, v72, v118
	v_mad_co_u64_u32 v[9:10], null, v0, s25, v[60:61]
	s_delay_alu instid0(VALU_DEP_3)
	v_add_nc_u32_e32 v7, 0x80, v1
	ds_load_2addr_stride64_b32 v[1:2], v5 offset1:9
	ds_load_2addr_stride64_b32 v[3:4], v7 offset1:9
	ds_load_2addr_stride64_b32 v[5:6], v5 offset0:18 offset1:27
	ds_load_2addr_stride64_b32 v[7:8], v7 offset0:18 offset1:27
	v_lshl_add_u32 v0, v9, 5, v36
	s_wait_dscnt 0x2
	v_fma_mix_f32 v10, v3, v1, 0 op_sel_hi:[0,1,0]
	v_fma_mix_f32 v1, v3, v1, 0 op_sel:[0,1,0] op_sel_hi:[0,1,0]
	s_delay_alu instid0(VALU_DEP_2) | instskip(NEXT) | instid1(VALU_DEP_2)
	v_fma_mix_f32 v3, v4, v2, v10 op_sel_hi:[0,1,0]
	v_fma_mix_f32 v2, v4, v2, v1 op_sel:[0,1,0] op_sel_hi:[0,1,0]
	v_ashrrev_i32_e32 v1, 31, v0
	s_wait_dscnt 0x0
	s_delay_alu instid0(VALU_DEP_3) | instskip(NEXT) | instid1(VALU_DEP_3)
	v_fma_mix_f32 v3, v7, v5, v3 op_sel_hi:[0,1,0]
	v_fma_mix_f32 v4, v7, v5, v2 op_sel:[0,1,0] op_sel_hi:[0,1,0]
	s_delay_alu instid0(VALU_DEP_3) | instskip(NEXT) | instid1(VALU_DEP_3)
	v_lshlrev_b64_e32 v[0:1], 3, v[0:1]
	v_fma_mix_f32 v2, v8, v6, v3 op_sel_hi:[0,1,0]
	s_delay_alu instid0(VALU_DEP_3) | instskip(NEXT) | instid1(VALU_DEP_3)
	v_fma_mix_f32 v3, v8, v6, v4 op_sel:[0,1,0] op_sel_hi:[0,1,0]
	v_add_co_u32 v4, s3, s72, v0
	s_wait_alu 0xf1ff
	s_delay_alu instid0(VALU_DEP_4)
	v_add_co_ci_u32_e64 v5, null, s73, v1, s3
	v_mov_b32_e32 v1, 0
	global_store_b64 v[4:5], v[2:3], off
.LBB0_111:                              ;   in Loop: Header=BB0_12 Depth=1
	s_wait_alu 0xfffe
	s_or_b32 exec_lo, exec_lo, s4
	s_mov_b32 s4, -1
	s_mov_b32 s34, exec_lo
	v_cmpx_gt_i32_e32 0x47, v1
; %bb.112:                              ;   in Loop: Header=BB0_12 Depth=1
	v_cmp_eq_u32_e64 s3, 0, v1
	s_or_not1_b32 s4, s3, exec_lo
; %bb.113:                              ;   in Loop: Header=BB0_12 Depth=1
	s_wait_alu 0xfffe
	s_or_b32 exec_lo, exec_lo, s34
	s_delay_alu instid0(SALU_CYCLE_1)
	s_and_b32 exec_lo, exec_lo, s4
	s_cbranch_execz .LBB0_126
; %bb.114:                              ;   in Loop: Header=BB0_12 Depth=1
	v_add_nc_u32_e32 v0, s56, v128
	v_or_b32_e32 v1, s39, v57
	s_delay_alu instid0(VALU_DEP_1) | instskip(SKIP_1) | instid1(VALU_DEP_4)
	v_cmp_gt_i32_e64 s4, s33, v1
	v_mov_b32_e32 v1, 0x47
	v_cmp_gt_i32_e64 s3, s24, v0
	s_and_b32 s3, s3, s4
	s_wait_alu 0xfffe
	s_and_saveexec_b32 s4, s3
	s_cbranch_execz .LBB0_116
; %bb.115:                              ;   in Loop: Header=BB0_12 Depth=1
	v_add_nc_u32_e32 v1, 0, v119
	v_add_nc_u32_e32 v5, v72, v119
	v_mad_co_u64_u32 v[9:10], null, v0, s25, v[57:58]
	s_delay_alu instid0(VALU_DEP_3)
	v_add_nc_u32_e32 v7, 0x80, v1
	ds_load_2addr_stride64_b32 v[1:2], v5 offset1:9
	ds_load_2addr_stride64_b32 v[3:4], v7 offset1:9
	ds_load_2addr_stride64_b32 v[5:6], v5 offset0:18 offset1:27
	ds_load_2addr_stride64_b32 v[7:8], v7 offset0:18 offset1:27
	v_lshl_add_u32 v0, v9, 5, v36
	s_wait_dscnt 0x2
	v_fma_mix_f32 v10, v3, v1, 0 op_sel_hi:[0,1,0]
	v_fma_mix_f32 v1, v3, v1, 0 op_sel:[0,1,0] op_sel_hi:[0,1,0]
	s_delay_alu instid0(VALU_DEP_2) | instskip(NEXT) | instid1(VALU_DEP_2)
	v_fma_mix_f32 v3, v4, v2, v10 op_sel_hi:[0,1,0]
	v_fma_mix_f32 v2, v4, v2, v1 op_sel:[0,1,0] op_sel_hi:[0,1,0]
	v_ashrrev_i32_e32 v1, 31, v0
	s_wait_dscnt 0x0
	s_delay_alu instid0(VALU_DEP_3) | instskip(NEXT) | instid1(VALU_DEP_3)
	v_fma_mix_f32 v3, v7, v5, v3 op_sel_hi:[0,1,0]
	v_fma_mix_f32 v4, v7, v5, v2 op_sel:[0,1,0] op_sel_hi:[0,1,0]
	s_delay_alu instid0(VALU_DEP_3) | instskip(NEXT) | instid1(VALU_DEP_3)
	v_lshlrev_b64_e32 v[0:1], 3, v[0:1]
	v_fma_mix_f32 v2, v8, v6, v3 op_sel_hi:[0,1,0]
	s_delay_alu instid0(VALU_DEP_3) | instskip(NEXT) | instid1(VALU_DEP_3)
	v_fma_mix_f32 v3, v8, v6, v4 op_sel:[0,1,0] op_sel_hi:[0,1,0]
	v_add_co_u32 v4, s3, s72, v0
	s_wait_alu 0xf1ff
	s_delay_alu instid0(VALU_DEP_4)
	v_add_co_ci_u32_e64 v5, null, s73, v1, s3
	v_mov_b32_e32 v1, 0
	global_store_b64 v[4:5], v[2:3], off
.LBB0_116:                              ;   in Loop: Header=BB0_12 Depth=1
	s_wait_alu 0xfffe
	s_or_b32 exec_lo, exec_lo, s4
	s_mov_b32 s4, -1
	s_mov_b32 s34, exec_lo
	v_cmpx_gt_i32_e32 0x47, v1
; %bb.117:                              ;   in Loop: Header=BB0_12 Depth=1
	v_cmp_eq_u32_e64 s3, 0, v1
	s_or_not1_b32 s4, s3, exec_lo
; %bb.118:                              ;   in Loop: Header=BB0_12 Depth=1
	s_wait_alu 0xfffe
	s_or_b32 exec_lo, exec_lo, s34
	s_delay_alu instid0(SALU_CYCLE_1)
	s_and_b32 exec_lo, exec_lo, s4
	s_cbranch_execz .LBB0_126
; %bb.119:                              ;   in Loop: Header=BB0_12 Depth=1
	v_dual_mov_b32 v1, 0x47 :: v_dual_add_nc_u32 v0, s56, v120
	s_delay_alu instid0(VALU_DEP_1)
	v_cmp_gt_i32_e64 s3, s24, v0
	s_and_b32 s4, s3, vcc_lo
	s_wait_alu 0xfffe
	s_and_saveexec_b32 s3, s4
	s_cbranch_execz .LBB0_121
; %bb.120:                              ;   in Loop: Header=BB0_12 Depth=1
	v_add_nc_u32_e32 v1, 0, v121
	v_add_nc_u32_e32 v5, v72, v121
	v_mad_co_u64_u32 v[9:10], null, v0, s25, v[60:61]
	s_delay_alu instid0(VALU_DEP_3)
	v_add_nc_u32_e32 v7, 0x80, v1
	ds_load_2addr_stride64_b32 v[1:2], v5 offset1:9
	ds_load_2addr_stride64_b32 v[3:4], v7 offset1:9
	ds_load_2addr_stride64_b32 v[5:6], v5 offset0:18 offset1:27
	ds_load_2addr_stride64_b32 v[7:8], v7 offset0:18 offset1:27
	v_lshl_add_u32 v0, v9, 5, v36
	s_wait_dscnt 0x2
	v_fma_mix_f32 v10, v3, v1, 0 op_sel_hi:[0,1,0]
	v_fma_mix_f32 v1, v3, v1, 0 op_sel:[0,1,0] op_sel_hi:[0,1,0]
	s_delay_alu instid0(VALU_DEP_2) | instskip(NEXT) | instid1(VALU_DEP_2)
	v_fma_mix_f32 v3, v4, v2, v10 op_sel_hi:[0,1,0]
	v_fma_mix_f32 v2, v4, v2, v1 op_sel:[0,1,0] op_sel_hi:[0,1,0]
	v_ashrrev_i32_e32 v1, 31, v0
	s_wait_dscnt 0x0
	s_delay_alu instid0(VALU_DEP_3) | instskip(NEXT) | instid1(VALU_DEP_3)
	v_fma_mix_f32 v3, v7, v5, v3 op_sel_hi:[0,1,0]
	v_fma_mix_f32 v4, v7, v5, v2 op_sel:[0,1,0] op_sel_hi:[0,1,0]
	s_delay_alu instid0(VALU_DEP_3) | instskip(NEXT) | instid1(VALU_DEP_3)
	v_lshlrev_b64_e32 v[0:1], 3, v[0:1]
	v_fma_mix_f32 v2, v8, v6, v3 op_sel_hi:[0,1,0]
	s_delay_alu instid0(VALU_DEP_3) | instskip(NEXT) | instid1(VALU_DEP_3)
	v_fma_mix_f32 v3, v8, v6, v4 op_sel:[0,1,0] op_sel_hi:[0,1,0]
	v_add_co_u32 v4, vcc_lo, s72, v0
	s_wait_alu 0xfffd
	s_delay_alu instid0(VALU_DEP_4)
	v_add_co_ci_u32_e64 v5, null, s73, v1, vcc_lo
	v_mov_b32_e32 v1, 0
	global_store_b64 v[4:5], v[2:3], off
.LBB0_121:                              ;   in Loop: Header=BB0_12 Depth=1
	s_wait_alu 0xfffe
	s_or_b32 exec_lo, exec_lo, s3
	s_mov_b32 s3, -1
	s_mov_b32 s4, exec_lo
	v_cmpx_gt_i32_e32 0x47, v1
; %bb.122:                              ;   in Loop: Header=BB0_12 Depth=1
	v_cmp_eq_u32_e32 vcc_lo, 0, v1
	s_or_not1_b32 s3, vcc_lo, exec_lo
; %bb.123:                              ;   in Loop: Header=BB0_12 Depth=1
	s_wait_alu 0xfffe
	s_or_b32 exec_lo, exec_lo, s4
	s_delay_alu instid0(SALU_CYCLE_1)
	s_and_b32 exec_lo, exec_lo, s3
	s_cbranch_execz .LBB0_126
; %bb.124:                              ;   in Loop: Header=BB0_12 Depth=1
	v_add_nc_u32_e32 v0, s56, v129
	v_or_b32_e32 v1, s39, v58
	s_delay_alu instid0(VALU_DEP_2) | instskip(NEXT) | instid1(VALU_DEP_2)
	v_cmp_gt_i32_e32 vcc_lo, s24, v0
	v_cmp_gt_i32_e64 s3, s33, v1
	s_and_b32 s3, vcc_lo, s3
	s_wait_alu 0xfffe
	s_and_b32 exec_lo, exec_lo, s3
	s_cbranch_execz .LBB0_126
; %bb.125:                              ;   in Loop: Header=BB0_12 Depth=1
	v_add_nc_u32_e32 v1, 0, v122
	v_add_nc_u32_e32 v5, v72, v122
	v_mad_co_u64_u32 v[9:10], null, v0, s25, v[58:59]
	s_delay_alu instid0(VALU_DEP_3)
	v_add_nc_u32_e32 v7, 0x80, v1
	ds_load_2addr_stride64_b32 v[1:2], v5 offset1:9
	ds_load_2addr_stride64_b32 v[3:4], v7 offset1:9
	ds_load_2addr_stride64_b32 v[5:6], v5 offset0:18 offset1:27
	ds_load_2addr_stride64_b32 v[7:8], v7 offset0:18 offset1:27
	v_lshl_add_u32 v0, v9, 5, v36
	s_wait_dscnt 0x2
	v_fma_mix_f32 v10, v3, v1, 0 op_sel_hi:[0,1,0]
	v_fma_mix_f32 v1, v3, v1, 0 op_sel:[0,1,0] op_sel_hi:[0,1,0]
	s_delay_alu instid0(VALU_DEP_2) | instskip(NEXT) | instid1(VALU_DEP_2)
	v_fma_mix_f32 v3, v4, v2, v10 op_sel_hi:[0,1,0]
	v_fma_mix_f32 v2, v4, v2, v1 op_sel:[0,1,0] op_sel_hi:[0,1,0]
	v_ashrrev_i32_e32 v1, 31, v0
	s_wait_dscnt 0x0
	s_delay_alu instid0(VALU_DEP_3) | instskip(NEXT) | instid1(VALU_DEP_3)
	v_fma_mix_f32 v3, v7, v5, v3 op_sel_hi:[0,1,0]
	v_fma_mix_f32 v4, v7, v5, v2 op_sel:[0,1,0] op_sel_hi:[0,1,0]
	s_delay_alu instid0(VALU_DEP_3) | instskip(NEXT) | instid1(VALU_DEP_3)
	v_lshlrev_b64_e32 v[0:1], 3, v[0:1]
	v_fma_mix_f32 v2, v8, v6, v3 op_sel_hi:[0,1,0]
	s_delay_alu instid0(VALU_DEP_3) | instskip(NEXT) | instid1(VALU_DEP_3)
	v_fma_mix_f32 v3, v8, v6, v4 op_sel:[0,1,0] op_sel_hi:[0,1,0]
	v_add_co_u32 v0, vcc_lo, s72, v0
	s_wait_alu 0xfffd
	s_delay_alu instid0(VALU_DEP_4)
	v_add_co_ci_u32_e64 v1, null, s73, v1, vcc_lo
	global_store_b64 v[0:1], v[2:3], off
.LBB0_126:                              ;   in Loop: Header=BB0_12 Depth=1
	s_wait_alu 0xfffe
	s_or_b32 exec_lo, exec_lo, s5
	s_wait_loadcnt 0x0
	s_wait_storecnt 0x0
	s_barrier_signal -1
	s_barrier_wait -1
	s_branch .LBB0_11
.LBB0_127:                              ;   in Loop: Header=BB0_12 Depth=1
	s_lshl_b32 s94, s96, 3
	v_cmp_le_i32_e64 s4, s33, v149
	s_wait_alu 0xfffe
	v_add_nc_u32_e32 v0, s94, v87
	v_add_nc_u32_e32 v150, v72, v76
	v_cmp_gt_i32_e32 vcc_lo, s33, v149
	s_delay_alu instid0(VALU_DEP_3)
	v_cmp_le_i32_e64 s3, s24, v0
	s_or_b32 s3, s3, s4
	s_wait_alu 0xfffe
	s_and_saveexec_b32 s4, s3
	s_wait_alu 0xfffe
	s_xor_b32 s3, exec_lo, s4
; %bb.128:                              ;   in Loop: Header=BB0_12 Depth=1
	ds_store_b32 v150, v75
                                        ; implicit-def: $vgpr0
; %bb.129:                              ;   in Loop: Header=BB0_12 Depth=1
	s_wait_alu 0xfffe
	s_and_not1_saveexec_b32 s4, s3
	s_cbranch_execz .LBB0_131
; %bb.130:                              ;   in Loop: Header=BB0_12 Depth=1
	v_mad_co_u64_u32 v[0:1], null, v0, s35, v[59:60]
	s_delay_alu instid0(VALU_DEP_1) | instskip(NEXT) | instid1(VALU_DEP_1)
	v_ashrrev_i32_e32 v1, 31, v0
	v_lshlrev_b64_e32 v[0:1], 3, v[0:1]
	s_delay_alu instid0(VALU_DEP_1) | instskip(SKIP_1) | instid1(VALU_DEP_2)
	v_add_co_u32 v0, s3, s92, v0
	s_wait_alu 0xf1ff
	v_add_co_ci_u32_e64 v1, null, s93, v1, s3
	global_load_b64 v[0:1], v[0:1], off
	s_wait_loadcnt 0x0
	v_cvt_f16_f32_e32 v0, v0
	v_cvt_f16_f32_e32 v1, v1
	s_delay_alu instid0(VALU_DEP_1) | instskip(NEXT) | instid1(VALU_DEP_1)
	v_pack_b32_f16 v0, v0, v1
	v_pk_mul_f16 v0, v0, s102
	ds_store_b32 v150, v0
.LBB0_131:                              ;   in Loop: Header=BB0_12 Depth=1
	s_wait_alu 0xfffe
	s_or_b32 exec_lo, exec_lo, s4
	v_add_nc_u32_e32 v0, s94, v88
	s_xor_b32 s4, vcc_lo, -1
	s_delay_alu instid0(VALU_DEP_1)
	v_cmp_le_i32_e64 s3, s24, v0
	s_wait_alu 0xfffe
	s_or_b32 s3, s3, s4
	s_wait_alu 0xfffe
	s_and_saveexec_b32 s5, s3
	s_wait_alu 0xfffe
	s_xor_b32 s3, exec_lo, s5
; %bb.132:                              ;   in Loop: Header=BB0_12 Depth=1
	ds_store_b32 v150, v75 offset:576
                                        ; implicit-def: $vgpr0
; %bb.133:                              ;   in Loop: Header=BB0_12 Depth=1
	s_wait_alu 0xfffe
	s_and_not1_saveexec_b32 s3, s3
	s_cbranch_execz .LBB0_135
; %bb.134:                              ;   in Loop: Header=BB0_12 Depth=1
	v_mad_co_u64_u32 v[0:1], null, v0, s35, v[59:60]
	s_delay_alu instid0(VALU_DEP_1) | instskip(NEXT) | instid1(VALU_DEP_1)
	v_ashrrev_i32_e32 v1, 31, v0
	v_lshlrev_b64_e32 v[0:1], 3, v[0:1]
	s_delay_alu instid0(VALU_DEP_1) | instskip(SKIP_1) | instid1(VALU_DEP_2)
	v_add_co_u32 v0, vcc_lo, s92, v0
	s_wait_alu 0xfffd
	v_add_co_ci_u32_e64 v1, null, s93, v1, vcc_lo
	global_load_b64 v[0:1], v[0:1], off
	s_wait_loadcnt 0x0
	v_cvt_f16_f32_e32 v0, v0
	v_cvt_f16_f32_e32 v1, v1
	s_delay_alu instid0(VALU_DEP_1) | instskip(NEXT) | instid1(VALU_DEP_1)
	v_pack_b32_f16 v0, v0, v1
	v_pk_mul_f16 v0, v0, s102
	ds_store_b32 v150, v0 offset:576
.LBB0_135:                              ;   in Loop: Header=BB0_12 Depth=1
	s_wait_alu 0xfffe
	s_or_b32 exec_lo, exec_lo, s3
	v_add_nc_u32_e32 v0, s94, v89
	s_delay_alu instid0(VALU_DEP_1)
	v_cmp_le_i32_e32 vcc_lo, s24, v0
	s_or_b32 s3, vcc_lo, s4
	s_wait_alu 0xfffe
	s_and_saveexec_b32 s5, s3
	s_wait_alu 0xfffe
	s_xor_b32 s3, exec_lo, s5
; %bb.136:                              ;   in Loop: Header=BB0_12 Depth=1
	v_add_nc_u32_e32 v0, v72, v90
	ds_store_b32 v0, v75
                                        ; implicit-def: $vgpr0
; %bb.137:                              ;   in Loop: Header=BB0_12 Depth=1
	s_wait_alu 0xfffe
	s_and_not1_saveexec_b32 s3, s3
	s_cbranch_execz .LBB0_139
; %bb.138:                              ;   in Loop: Header=BB0_12 Depth=1
	v_mad_co_u64_u32 v[0:1], null, v0, s35, v[59:60]
	s_delay_alu instid0(VALU_DEP_1) | instskip(NEXT) | instid1(VALU_DEP_1)
	v_ashrrev_i32_e32 v1, 31, v0
	v_lshlrev_b64_e32 v[0:1], 3, v[0:1]
	s_delay_alu instid0(VALU_DEP_1) | instskip(SKIP_1) | instid1(VALU_DEP_2)
	v_add_co_u32 v0, vcc_lo, s92, v0
	s_wait_alu 0xfffd
	v_add_co_ci_u32_e64 v1, null, s93, v1, vcc_lo
	global_load_b64 v[0:1], v[0:1], off
	s_wait_loadcnt 0x0
	v_cvt_f16_f32_e32 v0, v0
	v_cvt_f16_f32_e32 v1, v1
	s_delay_alu instid0(VALU_DEP_1) | instskip(SKIP_1) | instid1(VALU_DEP_2)
	v_pack_b32_f16 v0, v0, v1
	v_add_nc_u32_e32 v1, v72, v90
	v_pk_mul_f16 v0, v0, s102
	ds_store_b32 v1, v0
.LBB0_139:                              ;   in Loop: Header=BB0_12 Depth=1
	s_wait_alu 0xfffe
	s_or_b32 exec_lo, exec_lo, s3
	v_add_nc_u32_e32 v0, s94, v91
	s_delay_alu instid0(VALU_DEP_1)
	v_cmp_le_i32_e32 vcc_lo, s24, v0
	s_or_b32 s3, vcc_lo, s4
	s_wait_alu 0xfffe
	s_and_saveexec_b32 s4, s3
	s_wait_alu 0xfffe
	s_xor_b32 s3, exec_lo, s4
; %bb.140:                              ;   in Loop: Header=BB0_12 Depth=1
	v_add_nc_u32_e32 v0, v72, v90
	ds_store_b32 v0, v75 offset:576
                                        ; implicit-def: $vgpr0
; %bb.141:                              ;   in Loop: Header=BB0_12 Depth=1
	s_wait_alu 0xfffe
	s_and_not1_saveexec_b32 s3, s3
	s_cbranch_execz .LBB0_143
; %bb.142:                              ;   in Loop: Header=BB0_12 Depth=1
	v_mad_co_u64_u32 v[0:1], null, v0, s35, v[59:60]
	s_delay_alu instid0(VALU_DEP_1) | instskip(NEXT) | instid1(VALU_DEP_1)
	v_ashrrev_i32_e32 v1, 31, v0
	v_lshlrev_b64_e32 v[0:1], 3, v[0:1]
	s_delay_alu instid0(VALU_DEP_1) | instskip(SKIP_1) | instid1(VALU_DEP_2)
	v_add_co_u32 v0, vcc_lo, s92, v0
	s_wait_alu 0xfffd
	v_add_co_ci_u32_e64 v1, null, s93, v1, vcc_lo
	global_load_b64 v[0:1], v[0:1], off
	s_wait_loadcnt 0x0
	v_cvt_f16_f32_e32 v0, v0
	v_cvt_f16_f32_e32 v1, v1
	s_delay_alu instid0(VALU_DEP_1) | instskip(SKIP_1) | instid1(VALU_DEP_2)
	v_pack_b32_f16 v0, v0, v1
	v_add_nc_u32_e32 v1, v72, v90
	v_pk_mul_f16 v0, v0, s102
	ds_store_b32 v1, v0 offset:576
.LBB0_143:                              ;   in Loop: Header=BB0_12 Depth=1
	s_wait_alu 0xfffe
	s_or_b32 exec_lo, exec_lo, s3
	s_wait_dscnt 0x0
	s_barrier_signal -1
	s_barrier_wait -1
	global_inv scope:SCOPE_SE
	ds_load_b128 v[24:27], v73
	ds_load_b128 v[28:31], v73 offset:32
	ds_load_b128 v[20:23], v73 offset:64
	;; [unrolled: 1-line block ×3, first 2 shown]
	s_cmp_gt_i32 s46, 1
	s_mov_b32 s3, -1
	s_wait_loadcnt_dscnt 0x0
	s_barrier_signal -1
	s_barrier_wait -1
	global_inv scope:SCOPE_SE
                                        ; implicit-def: $vgpr63_vgpr64
                                        ; implicit-def: $vgpr61_vgpr62
                                        ; implicit-def: $vgpr151
                                        ; implicit-def: $vgpr152
	s_cbranch_scc1 .LBB0_145
; %bb.144:                              ;   in Loop: Header=BB0_12 Depth=1
	v_add_nc_u32_e32 v0, s94, v65
	v_dual_mov_b32 v152, 32 :: v_dual_add_nc_u32 v1, s94, v67
	v_xor_b32_e32 v151, 16, v148
	s_mov_b32 s3, 0
	s_delay_alu instid0(VALU_DEP_3) | instskip(NEXT) | instid1(VALU_DEP_3)
	v_mul_hi_u32 v2, s6, v0
	v_mul_hi_u32 v3, s6, v1
	s_delay_alu instid0(VALU_DEP_2) | instskip(NEXT) | instid1(VALU_DEP_2)
	v_add_nc_u32_e32 v2, v0, v2
	v_add_nc_u32_e32 v3, v1, v3
	s_delay_alu instid0(VALU_DEP_2) | instskip(NEXT) | instid1(VALU_DEP_2)
	v_lshrrev_b32_e32 v2, s7, v2
	v_lshrrev_b32_e32 v3, s7, v3
	s_delay_alu instid0(VALU_DEP_2) | instskip(NEXT) | instid1(VALU_DEP_2)
	v_mul_lo_u32 v2, v2, s24
	v_mul_lo_u32 v3, v3, s24
	s_delay_alu instid0(VALU_DEP_2) | instskip(NEXT) | instid1(VALU_DEP_2)
	v_sub_nc_u32_e32 v0, v0, v2
	v_sub_nc_u32_e32 v1, v1, v3
	s_delay_alu instid0(VALU_DEP_2) | instskip(NEXT) | instid1(VALU_DEP_2)
	v_mad_co_i64_i32 v[63:64], null, v0, s38, 0
	v_mad_co_i64_i32 v[61:62], null, v1, s38, 0
.LBB0_145:                              ;   in Loop: Header=BB0_12 Depth=1
	s_wait_alu 0xfffe
	s_and_not1_b32 vcc_lo, exec_lo, s3
	s_wait_alu 0xfffe
	s_cbranch_vccnz .LBB0_149
; %bb.146:                              ;   in Loop: Header=BB0_12 Depth=1
	v_dual_mov_b32 v149, 0 :: v_dual_add_nc_u32 v0, s94, v65
	v_dual_mov_b32 v152, 32 :: v_dual_add_nc_u32 v1, s94, v67
	s_add_nc_u64 s[4:5], s[88:89], s[90:91]
	s_delay_alu instid0(VALU_DEP_2) | instskip(SKIP_1) | instid1(VALU_DEP_3)
	v_mul_hi_u32 v2, s6, v0
	v_readlane_b32 s88, v207, 7
	v_mul_hi_u32 v3, s6, v1
	v_xor_b32_e32 v151, 16, v148
	s_wait_alu 0xfffe
	v_add_co_u32 v154, vcc_lo, v132, s4
	s_mov_b32 s34, s88
	s_wait_alu 0xfffd
	v_add_co_ci_u32_e64 v155, null, s5, v133, vcc_lo
	v_dual_mov_b32 v153, 0xfeffffff :: v_dual_add_nc_u32 v2, v0, v2
	v_dual_mov_b32 v12, 0 :: v_dual_add_nc_u32 v3, v1, v3
	v_add_co_u32 v157, vcc_lo, v134, s4
	s_delay_alu instid0(VALU_DEP_3) | instskip(NEXT) | instid1(VALU_DEP_3)
	v_lshrrev_b32_e32 v2, s7, v2
	v_lshrrev_b32_e32 v3, s7, v3
	s_wait_alu 0xfffd
	v_add_co_ci_u32_e64 v159, null, s5, v135, vcc_lo
	v_cmp_gt_i32_e32 vcc_lo, 32, v151
	v_mul_lo_u32 v2, v2, s24
	v_mul_lo_u32 v3, v3, s24
	v_dual_mov_b32 v13, v12 :: v_dual_mov_b32 v14, v12
	v_mov_b32_e32 v15, v12
	s_wait_alu 0xfffd
	v_dual_cndmask_b32 v4, v148, v151 :: v_dual_mov_b32 v9, v149
	v_add_co_u32 v160, vcc_lo, v136, s4
	v_sub_nc_u32_e32 v158, v0, v2
	v_sub_nc_u32_e32 v156, v1, v3
	s_wait_alu 0xfffd
	v_add_co_ci_u32_e64 v161, null, s5, v137, vcc_lo
	v_lshlrev_b32_e32 v162, 2, v4
	s_wait_alu 0xfffe
	v_mad_co_i64_i32 v[0:1], null, s34, v158, s[86:87]
	v_mad_co_i64_i32 v[2:3], null, s34, v156, s[86:87]
	v_dual_mov_b32 v8, 0 :: v_dual_mov_b32 v11, v149
	v_dual_mov_b32 v10, v149 :: v_dual_mov_b32 v5, v12
	s_delay_alu instid0(VALU_DEP_4)
	v_add_co_u32 v61, vcc_lo, v130, v0
	s_wait_alu 0xfffd
	v_add_co_ci_u32_e64 v62, null, v131, v1, vcc_lo
	v_add_co_u32 v63, vcc_lo, v130, v2
	s_wait_alu 0xfffd
	v_add_co_ci_u32_e64 v64, null, v131, v3, vcc_lo
	;; [unrolled: 3-line block ×3, first 2 shown]
	s_add_nc_u64 s[4:5], s[84:85], s[82:83]
	v_dual_mov_b32 v4, v12 :: v_dual_mov_b32 v7, v12
	s_wait_alu 0xfffe
	v_add_co_u32 v165, vcc_lo, v140, s4
	s_wait_alu 0xfffd
	v_add_co_ci_u32_e64 v166, null, s5, v141, vcc_lo
	v_add_co_u32 v167, vcc_lo, v142, s4
	s_wait_alu 0xfffd
	v_add_co_ci_u32_e64 v168, null, s5, v143, vcc_lo
	;; [unrolled: 3-line block ×4, first 2 shown]
	v_dual_mov_b32 v6, v12 :: v_dual_mov_b32 v1, v149
	v_dual_mov_b32 v0, 0 :: v_dual_mov_b32 v3, v149
	v_mov_b32_e32 v2, v149
	s_add_co_i32 s34, s46, -1
	v_readlane_b32 s89, v207, 8
	s_wait_alu 0xfffe
	s_mov_b32 s56, s34
.LBB0_147:                              ;   Parent Loop BB0_12 Depth=1
                                        ; =>  This Inner Loop Header: Depth=2
	global_load_b32 v173, v[61:62], off
	global_load_b32 v174, v[63:64], off
	v_add_nc_u32_e32 v175, 0x2400, v150
	s_wait_alu 0xfffe
	s_add_co_i32 s56, s56, -1
	s_wait_alu 0xfffe
	s_cmp_lg_u32 s56, 0
	s_wait_loadcnt 0x0
	ds_store_2addr_b32 v175, v173, v174 offset1:144
	v_add_co_u32 v173, vcc_lo, v165, v123
	s_wait_alu 0xfffd
	v_add_co_ci_u32_e64 v174, null, 0, v166, vcc_lo
	v_add_co_u32 v177, vcc_lo, v167, v123
	s_wait_alu 0xfffd
	v_add_co_ci_u32_e64 v178, null, 0, v168, vcc_lo
	global_load_b128 v[173:176], v[173:174], off
	global_load_b128 v[177:180], v[177:178], off
	s_wait_loadcnt 0x1
	ds_store_b128 v77, v[173:176]
	s_wait_loadcnt 0x0
	ds_store_b128 v78, v[177:180]
	v_add_co_u32 v173, vcc_lo, v169, v123
	s_wait_alu 0xfffd
	v_add_co_ci_u32_e64 v174, null, 0, v170, vcc_lo
	v_add_co_u32 v177, vcc_lo, v171, v123
	s_wait_alu 0xfffd
	v_add_co_ci_u32_e64 v178, null, 0, v172, vcc_lo
	global_load_b128 v[173:176], v[173:174], off
	global_load_b128 v[177:180], v[177:178], off
	s_wait_loadcnt 0x1
	ds_store_b128 v79, v[173:176]
	s_wait_loadcnt 0x0
	ds_store_b128 v80, v[177:180]
	s_wait_dscnt 0x0
	s_barrier_signal -1
	s_barrier_wait -1
	global_inv scope:SCOPE_SE
	ds_load_b128 v[184:187], v81
	ds_load_b128 v[188:191], v81 offset:32
	s_wait_dscnt 0x1
	v_wmma_f32_16x16x16_f16 v[176:183], v[184:187], v[24:27], 0
	s_wait_dscnt 0x0
	s_delay_alu instid0(VALU_DEP_1)
	v_wmma_f32_16x16x16_f16 v[176:183], v[188:191], v[28:31], v[176:183]
	ds_load_b128 v[184:187], v81 offset:64
	ds_load_b128 v[188:191], v81 offset:96
	s_wait_loadcnt_dscnt 0x0
	s_barrier_signal -1
	s_barrier_wait -1
	global_inv scope:SCOPE_SE
	v_wmma_f32_16x16x16_f16 v[176:183], v[184:187], v[20:23], v[176:183]
	s_delay_alu instid0(VALU_DEP_1)
	v_wmma_f32_16x16x16_f16 v[176:183], v[188:191], v[16:19], v[176:183]
	v_add_nc_u32_e32 v173, 0x2400, v82
	v_add_nc_u32_e32 v175, 0x2408, v82
	ds_load_2addr_b32 v[173:174], v173 offset1:1
	ds_load_2addr_b32 v[184:185], v175 offset1:1
	s_wait_dscnt 0x1
	v_cvt_f32_f16_e64 v175, v173
	v_lshrrev_b32_e32 v173, 16, v173
	v_cvt_f32_f16_e64 v186, v174
	v_lshrrev_b32_e32 v174, 16, v174
	s_wait_dscnt 0x0
	v_cvt_f32_f16_e64 v187, v184
	v_lshrrev_b32_e32 v184, 16, v184
	v_cvt_f32_f16_e64 v189, v173
	v_lshrrev_b32_e32 v188, 16, v185
	v_cvt_f32_f16_e64 v190, v174
	v_cvt_f32_f16_e64 v185, v185
	;; [unrolled: 1-line block ×3, first 2 shown]
	v_dual_add_f32 v173, v176, v175 :: v_dual_add_f32 v174, v177, v189
	s_delay_alu instid0(VALU_DEP_4) | instskip(NEXT) | instid1(VALU_DEP_3)
	v_add_f32_e32 v176, v179, v190
	v_dual_add_f32 v180, v180, v187 :: v_dual_add_f32 v179, v181, v184
	v_add_co_u32 v181, vcc_lo, v154, v123
	v_add_f32_e32 v175, v178, v186
	v_add_f32_e32 v178, v182, v185
	s_wait_alu 0xfffd
	v_add_co_ci_u32_e64 v182, null, 0, v155, vcc_lo
	v_add_co_u32 v185, vcc_lo, v157, v123
	v_cvt_f32_f16_e64 v188, v188
	s_wait_alu 0xfffd
	v_add_co_ci_u32_e64 v186, null, 0, v159, vcc_lo
	s_delay_alu instid0(VALU_DEP_2)
	v_add_f32_e32 v177, v183, v188
	global_load_b128 v[181:184], v[181:182], off
	global_load_b128 v[185:188], v[185:186], off
	s_wait_loadcnt 0x1
	ds_store_b128 v77, v[181:184]
	s_wait_loadcnt 0x0
	ds_store_b128 v78, v[185:188]
	v_add_co_u32 v181, vcc_lo, v160, v123
	s_wait_alu 0xfffd
	v_add_co_ci_u32_e64 v182, null, 0, v161, vcc_lo
	v_add_co_u32 v185, vcc_lo, v163, v123
	s_wait_alu 0xfffd
	v_add_co_ci_u32_e64 v186, null, 0, v164, vcc_lo
	global_load_b128 v[181:184], v[181:182], off
	global_load_b128 v[185:188], v[185:186], off
	s_wait_loadcnt 0x1
	ds_store_b128 v79, v[181:184]
	s_wait_loadcnt 0x0
	ds_store_b128 v80, v[185:188]
	s_wait_dscnt 0x0
	s_barrier_signal -1
	s_barrier_wait -1
	global_inv scope:SCOPE_SE
	ds_load_2addr_b32 v[181:182], v83 offset0:144 offset1:160
	ds_load_2addr_b32 v[185:186], v83 offset0:180 offset1:196
	ds_load_2addr_b32 v[188:189], v84 offset1:16
	ds_load_2addr_b32 v[192:193], v85 offset1:16
	s_wait_dscnt 0x2
	v_perm_b32 v191, v186, v182, 0x7060302
	v_perm_b32 v195, v186, v182, 0x5040100
	s_wait_dscnt 0x0
	v_perm_b32 v184, v192, v188, 0x7060302
	v_perm_b32 v188, v192, v188, 0x5040100
	v_perm_b32 v192, v193, v189, 0x7060302
	v_perm_b32 v196, v193, v189, 0x5040100
	ds_load_2addr_b32 v[193:194], v83 offset0:72 offset1:88
	ds_load_2addr_b32 v[197:198], v83 offset0:108 offset1:124
	v_perm_b32 v183, v185, v181, 0x7060302
	v_perm_b32 v187, v185, v181, 0x5040100
	s_wait_dscnt 0x0
	v_perm_b32 v182, v197, v193, 0x7060302
	v_perm_b32 v186, v197, v193, 0x5040100
	;; [unrolled: 1-line block ×4, first 2 shown]
	ds_load_2addr_b32 v[197:198], v83 offset1:16
	ds_load_2addr_b32 v[199:200], v83 offset0:36 offset1:52
	s_wait_loadcnt_dscnt 0x0
	s_barrier_signal -1
	s_barrier_wait -1
	global_inv scope:SCOPE_SE
	v_perm_b32 v181, v199, v197, 0x7060302
	v_perm_b32 v185, v199, v197, 0x5040100
	;; [unrolled: 1-line block ×4, first 2 shown]
	v_mov_b32_e32 v197, v153
	v_dual_add_f32 v153, 0x40051340, v173 :: v_dual_add_f32 v198, 0x40051340, v174
	v_add_f32_e32 v199, 0x40051340, v176
	s_delay_alu instid0(VALU_DEP_2) | instskip(SKIP_1) | instid1(VALU_DEP_1)
	v_max3_num_f32 v153, v197, v153, v198
	v_add_f32_e32 v198, 0x40051340, v175
	v_max3_num_f32 v153, v153, v198, v199
	v_dual_add_f32 v198, 0x40051340, v180 :: v_dual_add_f32 v199, 0x40051340, v179
	s_delay_alu instid0(VALU_DEP_1) | instskip(SKIP_1) | instid1(VALU_DEP_1)
	v_max3_num_f32 v153, v153, v198, v199
	v_dual_add_f32 v198, 0x40051340, v178 :: v_dual_add_f32 v199, 0x40051340, v177
	v_max3_num_f32 v153, v153, v198, v199
	ds_bpermute_b32 v198, v162, v153
	s_wait_dscnt 0x0
	v_max_num_f32_e32 v198, v198, v198
	s_delay_alu instid0(VALU_DEP_1) | instskip(NEXT) | instid1(VALU_DEP_1)
	v_max_num_f32_e32 v153, v153, v198
	v_sub_f32_e32 v180, v180, v153
	s_delay_alu instid0(VALU_DEP_1) | instskip(SKIP_3) | instid1(VALU_DEP_4)
	v_dual_mul_f32 v198, 0x3fb8aa3b, v180 :: v_dual_sub_f32 v179, v179, v153
	v_sub_f32_e32 v178, v178, v153
	v_sub_f32_e32 v176, v176, v153
	;; [unrolled: 1-line block ×3, first 2 shown]
	v_fma_f32 v199, 0x3fb8aa3b, v180, -v198
	v_rndne_f32_e32 v200, v198
	v_sub_f32_e32 v177, v177, v153
	v_sub_f32_e32 v173, v173, v153
	v_cmp_ngt_f32_e32 vcc_lo, 0xc2ce8ed0, v179
	v_fmac_f32_e32 v199, 0x32a5705f, v180
	v_sub_f32_e32 v198, v198, v200
	v_cvt_i32_f32_e32 v200, v200
	v_cmp_ngt_f32_e64 s3, 0xc2ce8ed0, v178
	v_cmp_ngt_f32_e64 s4, 0xc2ce8ed0, v177
	;; [unrolled: 1-line block ×3, first 2 shown]
	v_add_f32_e32 v198, v198, v199
	v_mul_f32_e32 v199, 0x3fb8aa3b, v179
	v_sub_f32_e32 v175, v175, v153
	v_sub_f32_e32 v197, v197, v153
	s_delay_alu instid0(VALU_DEP_4) | instskip(NEXT) | instid1(VALU_DEP_3)
	v_exp_f32_e32 v198, v198
	v_fma_f32 v201, 0x3fb8aa3b, v179, -v199
	v_rndne_f32_e32 v202, v199
	s_delay_alu instid0(VALU_DEP_2) | instskip(NEXT) | instid1(VALU_DEP_2)
	v_fmac_f32_e32 v201, 0x32a5705f, v179
	v_sub_f32_e32 v199, v199, v202
	s_delay_alu instid0(TRANS32_DEP_1) | instskip(SKIP_1) | instid1(VALU_DEP_3)
	v_ldexp_f32 v198, v198, v200
	v_cvt_i32_f32_e32 v200, v202
	v_add_f32_e32 v199, v199, v201
	v_mul_f32_e32 v201, 0x3fb8aa3b, v178
	s_delay_alu instid0(VALU_DEP_2) | instskip(NEXT) | instid1(VALU_DEP_1)
	v_exp_f32_e32 v199, v199
	v_fma_f32 v203, 0x3fb8aa3b, v178, -v201
	v_rndne_f32_e32 v204, v201
	s_delay_alu instid0(VALU_DEP_2) | instskip(NEXT) | instid1(VALU_DEP_2)
	v_fmac_f32_e32 v203, 0x32a5705f, v178
	v_sub_f32_e32 v201, v201, v204
	s_delay_alu instid0(TRANS32_DEP_1) | instskip(SKIP_1) | instid1(VALU_DEP_3)
	v_ldexp_f32 v199, v199, v200
	v_cvt_i32_f32_e32 v200, v204
	v_add_f32_e32 v201, v201, v203
	v_mul_f32_e32 v203, 0x3fb8aa3b, v177
	s_wait_alu 0xfffd
	v_cndmask_b32_e32 v199, 0, v199, vcc_lo
	v_cmp_nlt_f32_e32 vcc_lo, 0x42b17218, v179
	v_exp_f32_e32 v201, v201
	v_fma_f32 v205, 0x3fb8aa3b, v177, -v203
	v_rndne_f32_e32 v206, v203
	s_wait_alu 0xfffd
	v_cndmask_b32_e32 v199, 0x7f800000, v199, vcc_lo
	v_cmp_ngt_f32_e32 vcc_lo, 0xc2ce8ed0, v176
	v_fmac_f32_e32 v205, 0x32a5705f, v177
	v_sub_f32_e32 v203, v203, v206
	s_delay_alu instid0(TRANS32_DEP_1) | instskip(SKIP_1) | instid1(VALU_DEP_3)
	v_ldexp_f32 v200, v201, v200
	v_cvt_i32_f32_e32 v201, v206
	v_add_f32_e32 v203, v203, v205
	s_wait_alu 0xf1ff
	s_delay_alu instid0(VALU_DEP_3) | instskip(SKIP_1) | instid1(VALU_DEP_3)
	v_cndmask_b32_e64 v179, 0, v200, s3
	v_cmp_nlt_f32_e64 s3, 0x42b17218, v178
	v_exp_f32_e32 v202, v203
	s_wait_alu 0xf1ff
	s_delay_alu instid0(VALU_DEP_1) | instskip(SKIP_1) | instid1(TRANS32_DEP_1)
	v_cndmask_b32_e64 v179, 0x7f800000, v179, s3
	v_cmp_ngt_f32_e64 s3, 0xc2ce8ed0, v175
	v_ldexp_f32 v201, v202, v201
	s_delay_alu instid0(VALU_DEP_1)
	v_cndmask_b32_e64 v178, 0, v201, s4
	v_cmp_nlt_f32_e64 s4, 0x42b17218, v177
	v_cndmask_b32_e64 v177, 0, v198, s5
	v_cmp_nlt_f32_e64 s5, 0x42b17218, v180
	v_cvt_f16_f32_e64 v201, v199
	s_wait_alu 0xf1ff
	v_cndmask_b32_e64 v198, 0x7f800000, v178, s4
	v_cvt_f16_f32_e64 v178, v179
	v_cndmask_b32_e64 v180, 0x7f800000, v177, s5
	s_delay_alu instid0(VALU_DEP_3) | instskip(NEXT) | instid1(VALU_DEP_2)
	v_cvt_f16_f32_e64 v200, v198
	v_cvt_f16_f32_e64 v177, v180
	s_delay_alu instid0(VALU_DEP_2) | instskip(SKIP_1) | instid1(VALU_DEP_3)
	v_perm_b32 v178, v200, v178, 0x5040100
	v_mul_f32_e32 v200, 0x3fb8aa3b, v176
	v_perm_b32 v177, v201, v177, 0x5040100
	s_delay_alu instid0(VALU_DEP_2) | instskip(SKIP_1) | instid1(VALU_DEP_1)
	v_fma_f32 v201, 0x3fb8aa3b, v176, -v200
	v_rndne_f32_e32 v202, v200
	v_dual_fmac_f32 v201, 0x32a5705f, v176 :: v_dual_sub_f32 v200, v200, v202
	v_cvt_i32_f32_e32 v202, v202
	s_delay_alu instid0(VALU_DEP_2) | instskip(NEXT) | instid1(VALU_DEP_1)
	v_dual_add_f32 v200, v200, v201 :: v_dual_mul_f32 v201, 0x3fb8aa3b, v175
	v_exp_f32_e32 v200, v200
	s_delay_alu instid0(VALU_DEP_1) | instskip(SKIP_1) | instid1(VALU_DEP_2)
	v_fma_f32 v203, 0x3fb8aa3b, v175, -v201
	v_rndne_f32_e32 v204, v201
	v_fmac_f32_e32 v203, 0x32a5705f, v175
	s_delay_alu instid0(VALU_DEP_2) | instskip(NEXT) | instid1(TRANS32_DEP_1)
	v_sub_f32_e32 v201, v201, v204
	v_ldexp_f32 v200, v200, v202
	v_cvt_i32_f32_e32 v202, v204
	s_wait_alu 0xfffd
	s_delay_alu instid0(VALU_DEP_2) | instskip(SKIP_1) | instid1(VALU_DEP_2)
	v_dual_add_f32 v201, v201, v203 :: v_dual_cndmask_b32 v200, 0, v200
	v_cmp_nlt_f32_e32 vcc_lo, 0x42b17218, v176
	v_exp_f32_e32 v201, v201
	s_wait_alu 0xfffd
	s_delay_alu instid0(VALU_DEP_2) | instskip(SKIP_1) | instid1(TRANS32_DEP_1)
	v_cndmask_b32_e32 v200, 0x7f800000, v200, vcc_lo
	v_cmp_ngt_f32_e32 vcc_lo, 0xc2ce8ed0, v174
	v_ldexp_f32 v201, v201, v202
	s_delay_alu instid0(VALU_DEP_1) | instskip(SKIP_2) | instid1(VALU_DEP_1)
	v_cndmask_b32_e64 v176, 0, v201, s3
	v_cmp_nlt_f32_e64 s3, 0x42b17218, v175
	s_wait_alu 0xf1ff
	v_cndmask_b32_e64 v201, 0x7f800000, v176, s3
	v_cvt_f16_f32_e64 v176, v200
	v_cmp_ngt_f32_e64 s3, 0xc2ce8ed0, v173
	s_delay_alu instid0(VALU_DEP_3) | instskip(NEXT) | instid1(VALU_DEP_1)
	v_cvt_f16_f32_e64 v175, v201
	v_perm_b32 v176, v176, v175, 0x5040100
	v_mul_f32_e32 v175, 0x3fb8aa3b, v174
	s_delay_alu instid0(VALU_DEP_1) | instskip(SKIP_1) | instid1(VALU_DEP_1)
	v_fma_f32 v202, 0x3fb8aa3b, v174, -v175
	v_rndne_f32_e32 v203, v175
	v_dual_fmac_f32 v202, 0x32a5705f, v174 :: v_dual_sub_f32 v175, v175, v203
	v_cvt_i32_f32_e32 v203, v203
	s_delay_alu instid0(VALU_DEP_2) | instskip(NEXT) | instid1(VALU_DEP_1)
	v_dual_add_f32 v175, v175, v202 :: v_dual_mul_f32 v202, 0x3fb8aa3b, v173
	v_exp_f32_e32 v175, v175
	s_delay_alu instid0(VALU_DEP_1) | instskip(SKIP_1) | instid1(VALU_DEP_2)
	v_fma_f32 v204, 0x3fb8aa3b, v173, -v202
	v_rndne_f32_e32 v205, v202
	v_fmac_f32_e32 v204, 0x32a5705f, v173
	s_delay_alu instid0(VALU_DEP_2) | instskip(NEXT) | instid1(TRANS32_DEP_1)
	v_sub_f32_e32 v202, v202, v205
	v_ldexp_f32 v175, v175, v203
	v_cvt_i32_f32_e32 v203, v205
	s_wait_alu 0xfffd
	s_delay_alu instid0(VALU_DEP_2) | instskip(SKIP_1) | instid1(VALU_DEP_2)
	v_dual_add_f32 v202, v202, v204 :: v_dual_cndmask_b32 v175, 0, v175
	v_cmp_nlt_f32_e32 vcc_lo, 0x42b17218, v174
	v_exp_f32_e32 v202, v202
	s_delay_alu instid0(TRANS32_DEP_1) | instskip(SKIP_1) | instid1(VALU_DEP_1)
	v_ldexp_f32 v202, v202, v203
	s_wait_alu 0xf1ff
	v_cndmask_b32_e64 v174, 0, v202, s3
	v_cmp_nlt_f32_e64 s3, 0x42b17218, v173
	s_wait_alu 0xf1ff
	s_delay_alu instid0(VALU_DEP_1) | instskip(SKIP_3) | instid1(VALU_DEP_3)
	v_cndmask_b32_e64 v173, 0x7f800000, v174, s3
	s_wait_alu 0xfffd
	v_cndmask_b32_e32 v174, 0x7f800000, v175, vcc_lo
	v_cmp_ngt_f32_e32 vcc_lo, 0xc2ce8ed0, v197
	v_cvt_f16_f32_e64 v175, v173
	s_delay_alu instid0(VALU_DEP_3) | instskip(SKIP_2) | instid1(VALU_DEP_3)
	v_cvt_f16_f32_e64 v202, v174
	v_add_f32_e32 v173, v173, v174
	v_mov_b32_e32 v174, v149
	v_perm_b32 v175, v202, v175, 0x5040100
	v_mul_f32_e32 v202, 0x3fb8aa3b, v197
	s_delay_alu instid0(VALU_DEP_4) | instskip(NEXT) | instid1(VALU_DEP_2)
	v_add_f32_e32 v173, v201, v173
	v_fma_f32 v203, 0x3fb8aa3b, v197, -v202
	v_rndne_f32_e32 v204, v202
	s_delay_alu instid0(VALU_DEP_3) | instskip(NEXT) | instid1(VALU_DEP_2)
	v_add_f32_e32 v173, v200, v173
	v_dual_fmac_f32 v203, 0x32a5705f, v197 :: v_dual_sub_f32 v202, v202, v204
	s_delay_alu instid0(VALU_DEP_1) | instskip(SKIP_1) | instid1(VALU_DEP_2)
	v_dual_add_f32 v173, v180, v173 :: v_dual_add_f32 v202, v202, v203
	v_cvt_i32_f32_e32 v203, v204
	v_add_f32_e32 v173, v199, v173
	s_delay_alu instid0(VALU_DEP_3) | instskip(NEXT) | instid1(VALU_DEP_1)
	v_exp_f32_e32 v202, v202
	v_add_f32_e32 v173, v179, v173
	s_delay_alu instid0(VALU_DEP_1) | instskip(NEXT) | instid1(TRANS32_DEP_1)
	v_add_f32_e32 v149, v198, v173
	v_ldexp_f32 v202, v202, v203
	s_wait_alu 0xfffd
	s_delay_alu instid0(VALU_DEP_1) | instskip(SKIP_2) | instid1(VALU_DEP_2)
	v_cndmask_b32_e32 v202, 0, v202, vcc_lo
	v_cmp_nlt_f32_e32 vcc_lo, 0x42b17218, v197
	s_wait_alu 0xfffd
	v_cndmask_b32_e32 v202, 0x7f800000, v202, vcc_lo
	v_cmp_le_f32_e32 vcc_lo, 0xc1a00000, v197
	s_wait_alu 0xfffd
	s_delay_alu instid0(VALU_DEP_2) | instskip(SKIP_3) | instid1(VALU_DEP_3)
	v_cndmask_b32_e32 v197, 0, v202, vcc_lo
	v_add_co_u32 v61, vcc_lo, 0x80, v61
	s_wait_alu 0xfffd
	v_add_co_ci_u32_e64 v62, null, 0, v62, vcc_lo
	v_cvt_f16_f32_e64 v202, v197
	v_add_co_u32 v63, vcc_lo, 0x80, v63
	s_wait_alu 0xfffd
	v_add_co_ci_u32_e64 v64, null, 0, v64, vcc_lo
	v_add_co_u32 v154, vcc_lo, v154, s68
	v_and_b32_e32 v202, 0xffff, v202
	s_wait_alu 0xfffd
	v_add_co_ci_u32_e64 v155, null, s69, v155, vcc_lo
	v_add_co_u32 v157, vcc_lo, v157, s68
	s_wait_alu 0xfffd
	v_add_co_ci_u32_e64 v159, null, s69, v159, vcc_lo
	v_add_co_u32 v160, vcc_lo, v160, s68
	v_mul_u32_u24_e32 v202, 0x10001, v202
	s_wait_alu 0xfffd
	v_add_co_ci_u32_e64 v161, null, s69, v161, vcc_lo
	v_add_co_u32 v163, vcc_lo, v163, s68
	s_wait_alu 0xfffd
	v_add_co_ci_u32_e64 v164, null, s69, v164, vcc_lo
	v_add_co_u32 v165, vcc_lo, v165, s70
	s_wait_alu 0xfffd
	v_add_co_ci_u32_e64 v166, null, s71, v166, vcc_lo
	v_add_co_u32 v167, vcc_lo, v167, s70
	v_pk_mul_f16 v12, v12, v202
	v_pk_mul_f16 v13, v13, v202
	;; [unrolled: 1-line block ×16, first 2 shown]
	s_wait_alu 0xfffd
	v_add_co_ci_u32_e64 v168, null, s71, v168, vcc_lo
	v_add_co_u32 v169, vcc_lo, v169, s70
	s_wait_alu 0xfffd
	v_add_co_ci_u32_e64 v170, null, s71, v170, vcc_lo
	v_add_co_u32 v171, vcc_lo, v171, s70
	v_wmma_f16_16x16x16_f16 v[12:15], v[185:188], v[175:178], v[12:15]
	v_wmma_f16_16x16x16_f16 v[8:11], v[181:184], v[175:178], v[8:11]
	;; [unrolled: 1-line block ×4, first 2 shown]
	v_fmac_f32_e32 v149, v174, v197
	s_wait_alu 0xfffd
	v_add_co_ci_u32_e64 v172, null, s71, v172, vcc_lo
	s_cbranch_scc1 .LBB0_147
; %bb.148:                              ;   in Loop: Header=BB0_12 Depth=1
	v_mad_co_i64_i32 v[63:64], null, v158, s38, 0
	v_mad_co_i64_i32 v[61:62], null, v156, s38, 0
	s_lshl_b32 s56, s34, 6
	s_wait_alu 0xfffe
	s_mov_b64 s[4:5], s[56:57]
	s_branch .LBB0_150
.LBB0_149:                              ;   in Loop: Header=BB0_12 Depth=1
	v_mov_b32_e32 v7, 0
	v_mov_b32_e32 v3, 0
	s_mov_b64 s[4:5], 0
	s_delay_alu instid0(VALU_DEP_2) | instskip(NEXT) | instid1(VALU_DEP_2)
	v_dual_mov_b32 v6, v7 :: v_dual_mov_b32 v153, 0xfeffffff
	v_dual_mov_b32 v2, v3 :: v_dual_mov_b32 v1, v3
	v_mov_b32_e32 v10, v3
	v_dual_mov_b32 v0, v3 :: v_dual_mov_b32 v149, 0
	v_dual_mov_b32 v4, v7 :: v_dual_mov_b32 v5, v7
	;; [unrolled: 1-line block ×5, first 2 shown]
	v_mov_b32_e32 v13, v7
.LBB0_150:                              ;   in Loop: Header=BB0_12 Depth=1
	v_lshlrev_b32_e32 v154, 1, v74
	s_wait_alu 0xfffe
	s_lshl_b64 s[82:83], s[4:5], 1
	v_lshlrev_b64_e32 v[63:64], 1, v[63:64]
	s_add_nc_u64 s[80:81], s[80:81], s[82:83]
	v_lshlrev_b64_e32 v[61:62], 1, v[61:62]
	s_wait_alu 0xfffe
	v_add_co_u32 v154, s3, s80, v154
	s_wait_alu 0xf1ff
	v_add_co_ci_u32_e64 v155, null, s81, 0, s3
	s_mul_u64 s[80:81], s[4:5], s[26:27]
	v_add_co_u32 v63, vcc_lo, v154, v63
	s_wait_alu 0xfffe
	s_lshl_b64 s[80:81], s[80:81], 2
	s_wait_alu 0xfffd
	v_add_co_ci_u32_e64 v64, null, v155, v64, vcc_lo
	v_add_co_u32 v61, vcc_lo, v154, v61
	s_wait_alu 0xfffe
	s_add_nc_u64 s[78:79], s[78:79], s[80:81]
	s_wait_alu 0xfffd
	v_add_co_ci_u32_e64 v62, null, v155, v62, vcc_lo
	s_wait_alu 0xfffe
	v_add_co_u32 v154, vcc_lo, s78, v46
	s_wait_alu 0xfffd
	v_add_co_ci_u32_e64 v155, null, s79, v47, vcc_lo
	v_add_co_u32 v156, vcc_lo, s78, v48
	s_wait_alu 0xfffd
	v_add_co_ci_u32_e64 v157, null, s79, v49, vcc_lo
	;; [unrolled: 3-line block ×8, first 2 shown]
	s_clause 0x1
	global_load_b32 v166, v[63:64], off
	global_load_b32 v167, v[61:62], off
	s_clause 0x3
	global_load_b128 v[61:64], v[154:155], off
	global_load_b128 v[154:157], v[156:157], off
	;; [unrolled: 1-line block ×4, first 2 shown]
	s_mul_u64 s[4:5], s[4:5], s[36:37]
	v_add_nc_u32_e32 v150, 0x2400, v150
	s_wait_alu 0xfffe
	s_lshl_b64 s[4:5], s[4:5], 2
	s_cmp_eq_u64 s[74:75], 0
	s_wait_alu 0xfffe
	s_add_nc_u64 s[4:5], s[76:77], s[4:5]
	s_cselect_b32 s3, -1, 0
	s_wait_alu 0xfffe
	v_add_co_u32 v168, vcc_lo, s4, v38
	s_wait_alu 0xfffd
	v_add_co_ci_u32_e64 v169, null, s5, v39, vcc_lo
	v_add_co_u32 v170, vcc_lo, s4, v40
	s_wait_alu 0xfffd
	v_add_co_ci_u32_e64 v171, null, s5, v41, vcc_lo
	v_add_co_u32 v172, vcc_lo, s4, v42
	s_wait_alu 0xfffd
	v_add_co_ci_u32_e64 v173, null, s5, v43, vcc_lo
	v_add_co_u32 v176, vcc_lo, s4, v44
	s_wait_alu 0xfffd
	v_add_co_ci_u32_e64 v177, null, s5, v45, vcc_lo
	v_add_co_u32 v174, vcc_lo, v168, v124
	s_wait_alu 0xfffd
	v_add_co_ci_u32_e64 v175, null, 0, v169, vcc_lo
	v_add_co_u32 v178, vcc_lo, v170, v124
	s_wait_alu 0xfffd
	v_add_co_ci_u32_e64 v179, null, 0, v171, vcc_lo
	v_add_co_u32 v182, vcc_lo, v172, v124
	s_wait_alu 0xfffd
	v_add_co_ci_u32_e64 v183, null, 0, v173, vcc_lo
	v_add_co_u32 v186, vcc_lo, v176, v124
	s_wait_alu 0xfffd
	v_add_co_ci_u32_e64 v187, null, 0, v177, vcc_lo
	v_cmp_lt_i32_e32 vcc_lo, v151, v152
	s_xor_b32 s4, s0, -1
	s_wait_loadcnt 0x4
	ds_store_2addr_b32 v150, v166, v167 offset1:144
	s_wait_loadcnt 0x3
	ds_store_b128 v77, v[61:64]
	s_wait_loadcnt 0x2
	ds_store_b128 v78, v[154:157]
	;; [unrolled: 2-line block ×4, first 2 shown]
	s_wait_dscnt 0x0
	s_barrier_signal -1
	s_barrier_wait -1
	global_inv scope:SCOPE_SE
	ds_load_b128 v[61:64], v81
	ds_load_b128 v[162:165], v81 offset:32
	ds_load_b128 v[166:169], v81 offset:64
	;; [unrolled: 1-line block ×3, first 2 shown]
	v_add_nc_u32_e32 v150, 0x2400, v82
	v_add_nc_u32_e32 v154, 0x2408, v82
	s_wait_loadcnt_dscnt 0x0
	s_barrier_signal -1
	s_barrier_wait -1
	global_inv scope:SCOPE_SE
	s_clause 0x3
	global_load_b128 v[174:177], v[174:175], off
	global_load_b128 v[178:181], v[178:179], off
	;; [unrolled: 1-line block ×4, first 2 shown]
	ds_load_2addr_b32 v[190:191], v150 offset1:1
	ds_load_2addr_b32 v[192:193], v154 offset1:1
	s_wait_alu 0xfffe
	s_or_b32 s3, s4, s3
	s_wait_loadcnt 0x3
	ds_store_b128 v77, v[174:177]
	s_wait_loadcnt 0x2
	ds_store_b128 v78, v[178:181]
	;; [unrolled: 2-line block ×4, first 2 shown]
	v_wmma_f32_16x16x16_f16 v[154:161], v[61:64], v[24:27], 0
	s_wait_dscnt 0x5
	v_lshrrev_b32_e32 v25, 16, v190
	v_cvt_f32_f16_e64 v24, v190
	v_cvt_f32_f16_e64 v26, v191
	v_wmma_f32_16x16x16_f16 v[154:161], v[162:165], v[28:31], v[154:161]
	s_wait_dscnt 0x0
	s_barrier_signal -1
	s_barrier_wait -1
	global_inv scope:SCOPE_SE
	v_wmma_f32_16x16x16_f16 v[154:161], v[166:169], v[20:23], v[154:161]
	v_lshrrev_b32_e32 v20, 16, v191
	v_cvt_f32_f16_e64 v23, v193
	v_lshrrev_b32_e32 v22, 16, v192
	v_cvt_f32_f16_e64 v21, v192
	v_wmma_f32_16x16x16_f16 v[154:161], v[170:173], v[16:19], v[154:161]
	v_cvt_f32_f16_e32 v18, v20
	v_cvt_f32_f16_e32 v16, v25
	v_lshrrev_b32_e32 v17, 16, v193
	v_cvt_f32_f16_e32 v19, v22
	s_delay_alu instid0(VALU_DEP_4) | instskip(NEXT) | instid1(VALU_DEP_4)
	v_dual_add_f32 v23, v160, v23 :: v_dual_add_f32 v18, v157, v18
	v_add_f32_e32 v22, v155, v16
	s_delay_alu instid0(VALU_DEP_4)
	v_cvt_f32_f16_e32 v16, v17
	v_add_f32_e32 v21, v158, v21
	v_add_f32_e32 v19, v159, v19
	v_dual_add_f32 v27, 0x40051340, v18 :: v_dual_add_f32 v20, v154, v24
	v_add_f32_e32 v25, 0x40051340, v22
	v_add_f32_e32 v24, v156, v26
	s_delay_alu instid0(VALU_DEP_3) | instskip(NEXT) | instid1(VALU_DEP_1)
	v_dual_add_f32 v28, 0x40051340, v19 :: v_dual_add_f32 v17, 0x40051340, v20
	v_max3_num_f32 v17, v153, v17, v25
	v_add_f32_e32 v25, v161, v16
	s_delay_alu instid0(VALU_DEP_4) | instskip(SKIP_1) | instid1(VALU_DEP_3)
	v_add_f32_e32 v26, 0x40051340, v24
	v_add_f32_e32 v16, 0x40051340, v21
	v_add_f32_e32 v29, 0x40051340, v25
	s_delay_alu instid0(VALU_DEP_3) | instskip(SKIP_3) | instid1(VALU_DEP_3)
	v_max3_num_f32 v17, v17, v26, v27
	s_wait_alu 0xfffd
	v_cndmask_b32_e32 v26, v148, v151, vcc_lo
	v_add_f32_e32 v27, 0x40051340, v23
	v_max3_num_f32 v17, v17, v16, v28
	s_delay_alu instid0(VALU_DEP_3) | instskip(NEXT) | instid1(VALU_DEP_2)
	v_lshlrev_b32_e32 v16, 2, v26
	v_max3_num_f32 v17, v17, v27, v29
	ds_bpermute_b32 v26, v16, v17
	s_wait_dscnt 0x0
	v_max_num_f32_e32 v26, v26, v26
	s_delay_alu instid0(VALU_DEP_1) | instskip(NEXT) | instid1(VALU_DEP_1)
	v_max_num_f32_e32 v17, v17, v26
	v_sub_f32_e32 v19, v19, v17
	v_sub_f32_e32 v24, v24, v17
	;; [unrolled: 1-line block ×5, first 2 shown]
	v_dual_mul_f32 v61, 0x3fb8aa3b, v19 :: v_dual_sub_f32 v20, v20, v17
	v_dual_mul_f32 v29, 0x3fb8aa3b, v24 :: v_dual_sub_f32 v22, v22, v17
	v_mul_f32_e32 v31, 0x3fb8aa3b, v21
	v_mul_f32_e32 v63, 0x3fb8aa3b, v25
	s_delay_alu instid0(VALU_DEP_4) | instskip(NEXT) | instid1(VALU_DEP_4)
	v_mul_f32_e32 v27, 0x3fb8aa3b, v20
	v_fma_f32 v154, 0x3fb8aa3b, v24, -v29
	v_mul_f32_e32 v28, 0x3fb8aa3b, v22
	v_rndne_f32_e32 v159, v31
	v_sub_f32_e32 v26, v153, v17
	v_rndne_f32_e32 v151, v27
	v_sub_f32_e32 v18, v18, v17
	v_fma_f32 v150, 0x3fb8aa3b, v20, -v27
	v_rndne_f32_e32 v153, v28
	v_rndne_f32_e32 v165, v63
	s_delay_alu instid0(VALU_DEP_4) | instskip(NEXT) | instid1(VALU_DEP_4)
	v_dual_sub_f32 v27, v27, v151 :: v_dual_mul_f32 v30, 0x3fb8aa3b, v18
	v_fmac_f32_e32 v150, 0x32a5705f, v20
	v_fma_f32 v152, 0x3fb8aa3b, v22, -v28
	v_fma_f32 v164, 0x3fb8aa3b, v25, -v63
	v_sub_f32_e32 v63, v63, v165
	s_delay_alu instid0(VALU_DEP_4)
	v_dual_sub_f32 v28, v28, v153 :: v_dual_add_f32 v27, v27, v150
	v_cvt_i32_f32_e32 v151, v151
	v_rndne_f32_e32 v155, v29
	v_fma_f32 v158, 0x3fb8aa3b, v21, -v31
	v_cmp_ngt_f32_e32 vcc_lo, 0xc2ce8ed0, v20
	v_exp_f32_e32 v27, v27
	v_rndne_f32_e32 v157, v30
	v_sub_f32_e32 v29, v29, v155
	v_dual_sub_f32 v31, v31, v159 :: v_dual_mul_f32 v64, 0x3fb8aa3b, v26
	v_fma_f32 v156, 0x3fb8aa3b, v18, -v30
	v_fma_f32 v160, 0x3fb8aa3b, v19, -v61
	v_rndne_f32_e32 v161, v61
	v_cvt_i32_f32_e32 v155, v155
	v_mul_f32_e32 v62, 0x3fb8aa3b, v23
	s_delay_alu instid0(TRANS32_DEP_1)
	v_ldexp_f32 v27, v27, v151
	v_fmac_f32_e32 v158, 0x32a5705f, v21
	v_sub_f32_e32 v61, v61, v161
	v_cvt_i32_f32_e32 v159, v159
	v_cvt_i32_f32_e32 v153, v153
	s_wait_alu 0xfffd
	v_dual_cndmask_b32 v27, 0, v27 :: v_dual_fmac_f32 v154, 0x32a5705f, v24
	v_dual_add_f32 v31, v31, v158 :: v_dual_sub_f32 v30, v30, v157
	v_cmp_ngt_f32_e32 vcc_lo, 0xc2ce8ed0, v22
	v_cvt_i32_f32_e32 v157, v157
	s_delay_alu instid0(VALU_DEP_4) | instskip(NEXT) | instid1(VALU_DEP_4)
	v_add_f32_e32 v29, v29, v154
	v_exp_f32_e32 v31, v31
	v_cvt_i32_f32_e32 v161, v161
	v_fma_f32 v162, 0x3fb8aa3b, v23, -v62
	v_rndne_f32_e32 v163, v62
	v_exp_f32_e32 v29, v29
	v_fma_f32 v166, 0x3fb8aa3b, v26, -v64
	v_rndne_f32_e32 v167, v64
	v_cvt_i32_f32_e32 v165, v165
	s_delay_alu instid0(TRANS32_DEP_2) | instskip(SKIP_3) | instid1(TRANS32_DEP_1)
	v_ldexp_f32 v31, v31, v159
	v_fmac_f32_e32 v164, 0x32a5705f, v25
	v_fmac_f32_e32 v156, 0x32a5705f, v18
	v_cvt_i32_f32_e32 v150, v167
	v_ldexp_f32 v29, v29, v155
	v_fmac_f32_e32 v160, 0x32a5705f, v19
	v_dual_fmac_f32 v152, 0x32a5705f, v22 :: v_dual_add_f32 v63, v63, v164
	v_add_f32_e32 v30, v30, v156
	s_delay_alu instid0(VALU_DEP_3) | instskip(NEXT) | instid1(VALU_DEP_3)
	v_add_f32_e32 v61, v61, v160
	v_add_f32_e32 v28, v28, v152
	s_delay_alu instid0(VALU_DEP_4) | instskip(NEXT) | instid1(VALU_DEP_3)
	v_exp_f32_e32 v63, v63
	v_exp_f32_e32 v30, v30
	s_delay_alu instid0(VALU_DEP_2) | instskip(NEXT) | instid1(VALU_DEP_1)
	v_exp_f32_e32 v61, v61
	v_exp_f32_e32 v28, v28
	v_ldexp_f32 v63, v63, v165
	s_delay_alu instid0(TRANS32_DEP_3) | instskip(NEXT) | instid1(TRANS32_DEP_2)
	v_ldexp_f32 v30, v30, v157
	v_ldexp_f32 v61, v61, v161
	s_delay_alu instid0(TRANS32_DEP_1) | instskip(SKIP_1) | instid1(VALU_DEP_1)
	v_ldexp_f32 v28, v28, v153
	s_wait_alu 0xfffd
	v_cndmask_b32_e32 v28, 0, v28, vcc_lo
	v_cmp_ngt_f32_e32 vcc_lo, 0xc2ce8ed0, v24
	s_wait_alu 0xfffd
	v_cndmask_b32_e32 v29, 0, v29, vcc_lo
	v_cmp_ngt_f32_e32 vcc_lo, 0xc2ce8ed0, v18
	;; [unrolled: 3-line block ×4, first 2 shown]
	s_wait_alu 0xfffd
	v_dual_fmac_f32 v162, 0x32a5705f, v23 :: v_dual_cndmask_b32 v61, 0, v61
	v_sub_f32_e32 v62, v62, v163
	v_cvt_i32_f32_e32 v163, v163
	v_cmp_ngt_f32_e32 vcc_lo, 0xc2ce8ed0, v23
	s_delay_alu instid0(VALU_DEP_3) | instskip(NEXT) | instid1(VALU_DEP_1)
	v_add_f32_e32 v62, v62, v162
	v_exp_f32_e32 v62, v62
	s_delay_alu instid0(TRANS32_DEP_1) | instskip(SKIP_1) | instid1(VALU_DEP_1)
	v_ldexp_f32 v62, v62, v163
	s_wait_alu 0xfffd
	v_cndmask_b32_e32 v62, 0, v62, vcc_lo
	v_sub_f32_e32 v64, v64, v167
	v_cmp_ngt_f32_e32 vcc_lo, 0xc2ce8ed0, v25
	s_wait_alu 0xfffd
	v_dual_fmac_f32 v166, 0x32a5705f, v26 :: v_dual_cndmask_b32 v63, 0, v63
	s_delay_alu instid0(VALU_DEP_1) | instskip(SKIP_1) | instid1(VALU_DEP_2)
	v_add_f32_e32 v64, v64, v166
	v_cmp_ngt_f32_e32 vcc_lo, 0xc2ce8ed0, v26
	v_exp_f32_e32 v64, v64
	s_delay_alu instid0(TRANS32_DEP_1) | instskip(SKIP_1) | instid1(VALU_DEP_1)
	v_ldexp_f32 v64, v64, v150
	s_wait_alu 0xfffd
	v_cndmask_b32_e32 v64, 0, v64, vcc_lo
	v_cmp_nlt_f32_e32 vcc_lo, 0x42b17218, v20
	s_wait_alu 0xfffd
	v_cndmask_b32_e32 v20, 0x7f800000, v27, vcc_lo
	v_cmp_nlt_f32_e32 vcc_lo, 0x42b17218, v22
	;; [unrolled: 3-line block ×3, first 2 shown]
	s_delay_alu instid0(VALU_DEP_2) | instskip(SKIP_4) | instid1(VALU_DEP_3)
	v_add_f32_e32 v28, v20, v22
	s_wait_alu 0xfffd
	v_cndmask_b32_e32 v24, 0x7f800000, v29, vcc_lo
	v_cmp_nlt_f32_e32 vcc_lo, 0x42b17218, v18
	v_cvt_f16_f32_e32 v20, v20
	v_cvt_f16_f32_e32 v29, v24
	s_wait_alu 0xfffd
	v_cndmask_b32_e32 v18, 0x7f800000, v30, vcc_lo
	v_cmp_nlt_f32_e32 vcc_lo, 0x42b17218, v21
	s_delay_alu instid0(VALU_DEP_2) | instskip(SKIP_3) | instid1(VALU_DEP_2)
	v_cvt_f16_f32_e32 v30, v18
	s_wait_alu 0xfffd
	v_cndmask_b32_e32 v21, 0x7f800000, v31, vcc_lo
	v_cmp_nlt_f32_e32 vcc_lo, 0x42b17218, v19
	v_cvt_f16_f32_e32 v31, v21
	s_wait_alu 0xfffd
	v_cndmask_b32_e32 v19, 0x7f800000, v61, vcc_lo
	v_cmp_nlt_f32_e32 vcc_lo, 0x42b17218, v23
	s_wait_alu 0xfffd
	v_cndmask_b32_e32 v27, 0x7f800000, v62, vcc_lo
	v_cmp_nlt_f32_e32 vcc_lo, 0x42b17218, v26
	s_delay_alu instid0(VALU_DEP_2)
	v_cvt_f16_f32_e32 v61, v27
	s_wait_alu 0xfffd
	v_cndmask_b32_e32 v23, 0x7f800000, v64, vcc_lo
	v_cmp_nlt_f32_e32 vcc_lo, 0x42b17218, v25
	s_wait_alu 0xfffd
	v_cndmask_b32_e32 v25, 0x7f800000, v63, vcc_lo
	v_cmp_le_f32_e32 vcc_lo, 0xc1a00000, v26
	v_cvt_f16_f32_e32 v63, v22
	s_delay_alu instid0(VALU_DEP_3) | instskip(SKIP_2) | instid1(VALU_DEP_3)
	v_cvt_f16_f32_e32 v62, v25
	s_wait_alu 0xfffd
	v_dual_cndmask_b32 v26, 0, v23 :: v_dual_add_f32 v23, v24, v28
	v_perm_b32 v20, v63, v20, 0x5040100
	ds_load_2addr_b32 v[63:64], v83 offset1:16
	ds_load_2addr_b32 v[152:153], v83 offset0:36 offset1:52
	ds_load_2addr_b32 v[154:155], v83 offset0:72 offset1:88
	;; [unrolled: 1-line block ×5, first 2 shown]
	ds_load_2addr_b32 v[160:161], v84 offset1:16
	ds_load_2addr_b32 v[162:163], v85 offset1:16
	v_cvt_f16_f32_e32 v28, v19
	v_cvt_f16_f32_e32 v24, v26
	v_add_f32_e32 v18, v18, v23
	v_perm_b32 v23, v62, v61, 0x5040100
	s_wait_loadcnt_dscnt 0x0
	v_perm_b32 v22, v28, v31, 0x5040100
	v_and_b32_e32 v24, 0xffff, v24
	v_add_f32_e32 v18, v21, v18
	v_perm_b32 v21, v30, v29, 0x5040100
	s_barrier_signal -1
	s_barrier_wait -1
	v_mul_u32_u24_e32 v24, 0x10001, v24
	v_add_f32_e32 v18, v19, v18
	v_perm_b32 v28, v152, v63, 0x5040100
	v_perm_b32 v61, v153, v64, 0x7060302
	;; [unrolled: 1-line block ×3, first 2 shown]
	v_pk_mul_f16 v12, v12, v24
	v_add_f32_e32 v18, v27, v18
	v_pk_mul_f16 v13, v13, v24
	v_pk_mul_f16 v14, v14, v24
	;; [unrolled: 1-line block ×4, first 2 shown]
	v_add_f32_e32 v18, v25, v18
	v_pk_mul_f16 v9, v9, v24
	v_pk_mul_f16 v10, v10, v24
	;; [unrolled: 1-line block ×7, first 2 shown]
	v_fmac_f32_e32 v18, v149, v26
	v_pk_mul_f16 v0, v0, v24
	v_pk_mul_f16 v1, v1, v24
	;; [unrolled: 1-line block ×4, first 2 shown]
	v_perm_b32 v24, v152, v63, 0x7060302
	v_perm_b32 v25, v156, v154, 0x7060302
	;; [unrolled: 1-line block ×13, first 2 shown]
	v_wmma_f16_16x16x16_f16 v[12:15], v[28:31], v[20:23], v[12:15]
	v_wmma_f16_16x16x16_f16 v[8:11], v[24:27], v[20:23], v[8:11]
	ds_bpermute_b32 v19, v16, v18
	v_wmma_f16_16x16x16_f16 v[4:7], v[149:152], v[20:23], v[4:7]
	v_wmma_f16_16x16x16_f16 v[0:3], v[61:64], v[20:23], v[0:3]
	s_wait_dscnt 0x0
	global_inv scope:SCOPE_SE
	s_wait_alu 0xfffe
	s_and_saveexec_b32 s4, s3
	s_wait_alu 0xfffe
	s_xor_b32 s3, exec_lo, s4
	s_wait_alu 0xfffe
	s_or_saveexec_b32 s3, s3
	v_add_f32_e32 v18, v18, v19
	s_wait_alu 0xfffe
	s_xor_b32 exec_lo, exec_lo, s3
	s_cbranch_execz .LBB0_152
; %bb.151:                              ;   in Loop: Header=BB0_12 Depth=1
	v_dual_max_num_f32 v20, v17, v17 :: v_dual_lshlrev_b32 v19, 2, v86
	global_load_b32 v19, v19, s[74:75]
	s_wait_loadcnt 0x0
	v_max_num_f32_e32 v21, v19, v19
	s_delay_alu instid0(VALU_DEP_1) | instskip(NEXT) | instid1(VALU_DEP_1)
	v_max_num_f32_e32 v20, v20, v21
	v_sub_f32_e32 v17, v17, v20
	s_delay_alu instid0(VALU_DEP_1) | instskip(NEXT) | instid1(VALU_DEP_1)
	v_mul_f32_e32 v21, 0x3fb8aa3b, v17
	v_fma_f32 v22, 0x3fb8aa3b, v17, -v21
	v_rndne_f32_e32 v23, v21
	s_delay_alu instid0(VALU_DEP_1) | instskip(SKIP_2) | instid1(VALU_DEP_2)
	v_dual_fmac_f32 v22, 0x32a5705f, v17 :: v_dual_sub_f32 v21, v21, v23
	v_sub_f32_e32 v19, v19, v20
	v_cvt_i32_f32_e32 v23, v23
	v_dual_add_f32 v21, v21, v22 :: v_dual_mul_f32 v22, 0x3fb8aa3b, v19
	v_cmp_ngt_f32_e32 vcc_lo, 0xc2ce8ed0, v17
	s_delay_alu instid0(VALU_DEP_2) | instskip(SKIP_1) | instid1(VALU_DEP_1)
	v_fma_f32 v24, 0x3fb8aa3b, v19, -v22
	v_rndne_f32_e32 v25, v22
	v_sub_f32_e32 v22, v22, v25
	s_delay_alu instid0(VALU_DEP_3) | instskip(SKIP_1) | instid1(VALU_DEP_1)
	v_fmac_f32_e32 v24, 0x32a5705f, v19
	v_exp_f32_e32 v21, v21
	v_add_f32_e32 v22, v22, v24
	s_delay_alu instid0(VALU_DEP_1) | instskip(NEXT) | instid1(TRANS32_DEP_2)
	v_exp_f32_e32 v22, v22
	v_ldexp_f32 v21, v21, v23
	v_cvt_i32_f32_e32 v23, v25
	s_wait_alu 0xfffd
	s_delay_alu instid0(VALU_DEP_2) | instskip(SKIP_2) | instid1(VALU_DEP_2)
	v_cndmask_b32_e32 v21, 0, v21, vcc_lo
	v_cmp_nlt_f32_e32 vcc_lo, 0x42b17218, v17
	s_wait_alu 0xfffd
	v_cndmask_b32_e32 v21, 0x7f800000, v21, vcc_lo
	v_cmp_le_f32_e32 vcc_lo, 0xc1a00000, v17
	s_delay_alu instid0(TRANS32_DEP_1) | instskip(SKIP_1) | instid1(VALU_DEP_3)
	v_ldexp_f32 v17, v22, v23
	s_wait_alu 0xfffd
	v_cndmask_b32_e32 v21, 0, v21, vcc_lo
	v_cmp_ngt_f32_e32 vcc_lo, 0xc2ce8ed0, v19
	s_delay_alu instid0(VALU_DEP_2) | instskip(SKIP_3) | instid1(VALU_DEP_3)
	v_cvt_f16_f32_e32 v22, v21
	s_wait_alu 0xfffd
	v_cndmask_b32_e32 v17, 0, v17, vcc_lo
	v_cmp_nlt_f32_e32 vcc_lo, 0x42b17218, v19
	v_and_b32_e32 v22, 0xffff, v22
	s_wait_alu 0xfffd
	s_delay_alu instid0(VALU_DEP_3) | instskip(SKIP_1) | instid1(VALU_DEP_3)
	v_cndmask_b32_e32 v19, 0x7f800000, v17, vcc_lo
	v_mov_b32_e32 v17, v20
	v_mul_u32_u24_e32 v22, 0x10001, v22
	s_delay_alu instid0(VALU_DEP_3) | instskip(NEXT) | instid1(VALU_DEP_2)
	v_fmac_f32_e32 v19, v18, v21
	v_pk_mul_f16 v12, v12, v22
	v_pk_mul_f16 v13, v13, v22
	;; [unrolled: 1-line block ×16, first 2 shown]
	v_mov_b32_e32 v18, v19
.LBB0_152:                              ;   in Loop: Header=BB0_12 Depth=1
	s_or_b32 exec_lo, exec_lo, s3
	s_and_saveexec_b32 s3, s2
; %bb.153:                              ;   in Loop: Header=BB0_12 Depth=1
	v_add_nc_u32_e32 v19, 0, v92
	ds_store_2addr_b32 v19, v17, v18 offset0:32 offset1:33
; %bb.154:                              ;   in Loop: Header=BB0_12 Depth=1
	s_wait_alu 0xfffe
	s_or_b32 exec_lo, exec_lo, s3
	s_wait_loadcnt_dscnt 0x0
	s_barrier_signal -1
	s_barrier_wait -1
	global_inv scope:SCOPE_SE
	s_and_saveexec_b32 s3, s1
	s_wait_alu 0xfffe
	s_xor_b32 s3, exec_lo, s3
	s_cbranch_execz .LBB0_156
; %bb.155:                              ;   in Loop: Header=BB0_12 Depth=1
	s_wait_loadcnt 0x0
	s_barrier_signal -1
	s_barrier_wait -1
	global_inv scope:SCOPE_SE
                                        ; implicit-def: $vgpr16
.LBB0_156:                              ;   in Loop: Header=BB0_12 Depth=1
	s_wait_alu 0xfffe
	s_and_not1_saveexec_b32 s3, s3
	s_cbranch_execz .LBB0_158
; %bb.157:                              ;   in Loop: Header=BB0_12 Depth=1
	v_add_nc_u32_e32 v17, 0, v93
	s_delay_alu instid0(VALU_DEP_1)
	v_add_nc_u32_e32 v21, 0x80, v17
	ds_load_2addr_stride64_b64 v[17:20], v21 offset1:9
	s_wait_loadcnt_dscnt 0x0
	s_barrier_signal -1
	s_barrier_wait -1
	global_inv scope:SCOPE_SE
	v_dual_max_num_f32 v22, v19, v19 :: v_dual_max_num_f32 v23, v17, v17
	s_delay_alu instid0(VALU_DEP_1) | instskip(SKIP_3) | instid1(VALU_DEP_1)
	v_max_num_f32_e32 v22, v23, v22
	ds_bpermute_b32 v23, v16, v22
	s_wait_dscnt 0x0
	v_max_num_f32_e32 v23, v23, v23
	v_max_num_f32_e32 v22, v22, v23
	s_delay_alu instid0(VALU_DEP_1) | instskip(NEXT) | instid1(VALU_DEP_1)
	v_sub_f32_e32 v19, v19, v22
	v_dual_sub_f32 v22, v17, v22 :: v_dual_mul_f32 v17, 0x3fb8aa3b, v19
	s_delay_alu instid0(VALU_DEP_1) | instskip(SKIP_1) | instid1(VALU_DEP_3)
	v_mul_f32_e32 v23, 0x3fb8aa3b, v22
	v_cmp_ngt_f32_e32 vcc_lo, 0xc2ce8ed0, v19
	v_fma_f32 v24, 0x3fb8aa3b, v19, -v17
	v_rndne_f32_e32 v25, v17
	s_delay_alu instid0(VALU_DEP_4) | instskip(SKIP_1) | instid1(VALU_DEP_3)
	v_fma_f32 v26, 0x3fb8aa3b, v22, -v23
	v_rndne_f32_e32 v27, v23
	v_dual_fmac_f32 v24, 0x32a5705f, v19 :: v_dual_sub_f32 v17, v17, v25
	s_delay_alu instid0(VALU_DEP_2) | instskip(NEXT) | instid1(VALU_DEP_2)
	v_dual_fmac_f32 v26, 0x32a5705f, v22 :: v_dual_sub_f32 v23, v23, v27
	v_add_f32_e32 v17, v17, v24
	v_cvt_i32_f32_e32 v24, v25
	s_delay_alu instid0(VALU_DEP_3) | instskip(SKIP_1) | instid1(VALU_DEP_4)
	v_add_f32_e32 v23, v23, v26
	v_cvt_i32_f32_e32 v25, v27
	v_exp_f32_e32 v17, v17
	s_delay_alu instid0(VALU_DEP_2) | instskip(NEXT) | instid1(TRANS32_DEP_2)
	v_exp_f32_e32 v23, v23
	v_ldexp_f32 v17, v17, v24
	s_delay_alu instid0(TRANS32_DEP_1) | instskip(SKIP_1) | instid1(VALU_DEP_2)
	v_ldexp_f32 v23, v23, v25
	s_wait_alu 0xfffd
	v_cndmask_b32_e32 v17, 0, v17, vcc_lo
	v_cmp_ngt_f32_e32 vcc_lo, 0xc2ce8ed0, v22
	s_wait_alu 0xfffd
	v_cndmask_b32_e32 v23, 0, v23, vcc_lo
	v_cmp_nlt_f32_e32 vcc_lo, 0x42b17218, v19
	s_wait_alu 0xfffd
	v_cndmask_b32_e32 v17, 0x7f800000, v17, vcc_lo
	v_cmp_nlt_f32_e32 vcc_lo, 0x42b17218, v22
	s_wait_alu 0xfffd
	s_delay_alu instid0(VALU_DEP_2) | instskip(NEXT) | instid1(VALU_DEP_1)
	v_dual_mul_f32 v20, v20, v17 :: v_dual_cndmask_b32 v19, 0x7f800000, v23
	v_fmac_f32_e32 v20, v18, v19
	ds_bpermute_b32 v16, v16, v20
	s_wait_dscnt 0x0
	v_add_f32_e32 v20, v20, v16
	s_delay_alu instid0(VALU_DEP_1)
	v_mov_b32_e32 v18, v20
	ds_store_2addr_stride64_b64 v21, v[19:20], v[17:18] offset1:9
.LBB0_158:                              ;   in Loop: Header=BB0_12 Depth=1
	s_wait_alu 0xfffe
	s_or_b32 exec_lo, exec_lo, s3
	v_perm_b32 v16, v8, v12, 0x5040100
	v_perm_b32 v8, v8, v12, 0x7060302
	;; [unrolled: 1-line block ×8, first 2 shown]
	v_add_nc_u32_e32 v15, v94, v95
	v_perm_b32 v17, v0, v4, 0x5040100
	v_perm_b32 v0, v0, v4, 0x7060302
	;; [unrolled: 1-line block ×8, first 2 shown]
	ds_store_2addr_b32 v15, v16, v8 offset1:1
	ds_store_2addr_b32 v15, v12, v9 offset0:2 offset1:3
	ds_store_2addr_b32 v15, v13, v10 offset0:4 offset1:5
	;; [unrolled: 1-line block ×7, first 2 shown]
	s_wait_loadcnt_dscnt 0x0
	s_barrier_signal -1
	s_barrier_wait -1
	global_inv scope:SCOPE_SE
	s_and_saveexec_b32 s5, s0
	s_cbranch_execz .LBB0_10
; %bb.159:                              ;   in Loop: Header=BB0_12 Depth=1
	v_add_nc_u32_e32 v0, s94, v96
	v_or_b32_e32 v1, s39, v60
	s_delay_alu instid0(VALU_DEP_1) | instskip(SKIP_1) | instid1(VALU_DEP_4)
	v_cmp_gt_i32_e64 s3, s33, v1
	v_mov_b32_e32 v1, 0x47
	v_cmp_gt_i32_e32 vcc_lo, s24, v0
	s_and_b32 s4, vcc_lo, s3
	s_wait_alu 0xfffe
	s_and_saveexec_b32 s34, s4
	s_cbranch_execz .LBB0_161
; %bb.160:                              ;   in Loop: Header=BB0_12 Depth=1
	v_add_nc_u32_e32 v9, 0, v97
	v_add_nc_u32_e32 v7, v72, v97
	ds_load_2addr_b32 v[1:2], v9 offset0:32 offset1:33
	ds_load_2addr_stride64_b32 v[3:4], v7 offset1:9
	v_add_nc_u32_e32 v5, 0x80, v9
	ds_load_2addr_stride64_b32 v[5:6], v5 offset0:9 offset1:18
	ds_load_2addr_stride64_b32 v[7:8], v7 offset0:18 offset1:27
	ds_load_b32 v9, v9 offset:7040
	s_wait_dscnt 0x3
	v_fma_mix_f32 v10, v1, v3, 0 op_sel_hi:[0,1,0]
	v_fma_mix_f32 v1, v1, v3, 0 op_sel:[0,1,0] op_sel_hi:[0,1,0]
	s_wait_dscnt 0x2
	s_delay_alu instid0(VALU_DEP_2) | instskip(NEXT) | instid1(VALU_DEP_2)
	v_fma_mix_f32 v3, v5, v4, v10 op_sel_hi:[0,1,0]
	v_fma_mix_f32 v1, v5, v4, v1 op_sel:[0,1,0] op_sel_hi:[0,1,0]
	s_wait_dscnt 0x1
	s_delay_alu instid0(VALU_DEP_2) | instskip(NEXT) | instid1(VALU_DEP_2)
	;; [unrolled: 4-line block ×3, first 2 shown]
	v_fma_mix_f32 v3, v9, v8, v3 op_sel_hi:[0,1,0]
	v_fma_mix_f32 v4, v9, v8, v1 op_sel:[0,1,0] op_sel_hi:[0,1,0]
	s_delay_alu instid0(VALU_DEP_2) | instskip(NEXT) | instid1(VALU_DEP_2)
	v_div_scale_f32 v5, null, v2, v2, v3
	v_div_scale_f32 v6, null, v2, v2, v4
	v_div_scale_f32 v10, vcc_lo, v3, v2, v3
	s_delay_alu instid0(VALU_DEP_3) | instskip(NEXT) | instid1(VALU_DEP_2)
	v_rcp_f32_e32 v7, v5
	v_rcp_f32_e32 v8, v6
	v_div_scale_f32 v11, s4, v4, v2, v4
	s_delay_alu instid0(TRANS32_DEP_2) | instskip(NEXT) | instid1(TRANS32_DEP_1)
	v_fma_f32 v1, -v5, v7, 1.0
	v_fma_f32 v9, -v6, v8, 1.0
	s_delay_alu instid0(VALU_DEP_2) | instskip(NEXT) | instid1(VALU_DEP_2)
	v_fmac_f32_e32 v7, v1, v7
	v_fmac_f32_e32 v8, v9, v8
	v_mad_co_u64_u32 v[0:1], null, v0, s25, v[60:61]
	s_delay_alu instid0(VALU_DEP_2) | instskip(NEXT) | instid1(VALU_DEP_2)
	v_dual_mul_f32 v9, v10, v7 :: v_dual_mul_f32 v12, v11, v8
	v_lshl_add_u32 v0, v0, 5, v36
	s_delay_alu instid0(VALU_DEP_2) | instskip(NEXT) | instid1(VALU_DEP_3)
	v_fma_f32 v1, -v5, v9, v10
	v_fma_f32 v13, -v6, v12, v11
	s_delay_alu instid0(VALU_DEP_2) | instskip(NEXT) | instid1(VALU_DEP_2)
	v_fmac_f32_e32 v9, v1, v7
	v_fmac_f32_e32 v12, v13, v8
	v_ashrrev_i32_e32 v1, 31, v0
	s_delay_alu instid0(VALU_DEP_3) | instskip(NEXT) | instid1(VALU_DEP_3)
	v_fma_f32 v5, -v5, v9, v10
	v_fma_f32 v6, -v6, v12, v11
	s_delay_alu instid0(VALU_DEP_3) | instskip(SKIP_1) | instid1(VALU_DEP_3)
	v_lshlrev_b64_e32 v[0:1], 3, v[0:1]
	s_wait_alu 0xfffd
	v_div_fmas_f32 v5, v5, v7, v9
	s_mov_b32 vcc_lo, s4
	s_wait_alu 0xfffe
	v_div_fmas_f32 v6, v6, v8, v12
	s_delay_alu instid0(VALU_DEP_2) | instskip(SKIP_1) | instid1(VALU_DEP_3)
	v_div_fixup_f32 v3, v5, v2, v3
	v_add_co_u32 v5, vcc_lo, s72, v0
	v_div_fixup_f32 v4, v6, v2, v4
	s_wait_alu 0xfffd
	v_add_co_ci_u32_e64 v6, null, s73, v1, vcc_lo
	v_mov_b32_e32 v1, 0
	global_store_b64 v[5:6], v[3:4], off
.LBB0_161:                              ;   in Loop: Header=BB0_12 Depth=1
	s_wait_alu 0xfffe
	s_or_b32 exec_lo, exec_lo, s34
	s_mov_b32 s4, -1
	s_mov_b32 s34, exec_lo
	v_cmpx_gt_i32_e32 0x47, v1
; %bb.162:                              ;   in Loop: Header=BB0_12 Depth=1
	v_cmp_eq_u32_e32 vcc_lo, 0, v1
	s_or_not1_b32 s4, vcc_lo, exec_lo
; %bb.163:                              ;   in Loop: Header=BB0_12 Depth=1
	s_wait_alu 0xfffe
	s_or_b32 exec_lo, exec_lo, s34
	s_delay_alu instid0(SALU_CYCLE_1)
	s_and_b32 exec_lo, exec_lo, s4
	s_cbranch_execz .LBB0_10
; %bb.164:                              ;   in Loop: Header=BB0_12 Depth=1
	v_add_nc_u32_e32 v0, s94, v98
	v_or_b32_e32 v1, s39, v34
	s_delay_alu instid0(VALU_DEP_1) | instskip(SKIP_1) | instid1(VALU_DEP_4)
	v_cmp_gt_i32_e64 s4, s33, v1
	v_mov_b32_e32 v1, 0x47
	v_cmp_gt_i32_e32 vcc_lo, s24, v0
	s_and_b32 s4, vcc_lo, s4
	s_wait_alu 0xfffe
	s_and_saveexec_b32 s34, s4
	s_cbranch_execz .LBB0_166
; %bb.165:                              ;   in Loop: Header=BB0_12 Depth=1
	v_add_nc_u32_e32 v9, 0, v99
	v_add_nc_u32_e32 v7, v72, v99
	ds_load_2addr_b32 v[1:2], v9 offset0:32 offset1:33
	ds_load_2addr_stride64_b32 v[3:4], v7 offset1:9
	v_add_nc_u32_e32 v5, 0x80, v9
	ds_load_2addr_stride64_b32 v[5:6], v5 offset0:9 offset1:18
	ds_load_2addr_stride64_b32 v[7:8], v7 offset0:18 offset1:27
	ds_load_b32 v9, v9 offset:7040
	s_wait_dscnt 0x3
	v_fma_mix_f32 v10, v1, v3, 0 op_sel_hi:[0,1,0]
	v_fma_mix_f32 v1, v1, v3, 0 op_sel:[0,1,0] op_sel_hi:[0,1,0]
	s_wait_dscnt 0x2
	s_delay_alu instid0(VALU_DEP_2) | instskip(NEXT) | instid1(VALU_DEP_2)
	v_fma_mix_f32 v3, v5, v4, v10 op_sel_hi:[0,1,0]
	v_fma_mix_f32 v1, v5, v4, v1 op_sel:[0,1,0] op_sel_hi:[0,1,0]
	s_wait_dscnt 0x1
	s_delay_alu instid0(VALU_DEP_2) | instskip(NEXT) | instid1(VALU_DEP_2)
	;; [unrolled: 4-line block ×3, first 2 shown]
	v_fma_mix_f32 v3, v9, v8, v3 op_sel_hi:[0,1,0]
	v_fma_mix_f32 v4, v9, v8, v1 op_sel:[0,1,0] op_sel_hi:[0,1,0]
	s_delay_alu instid0(VALU_DEP_2) | instskip(NEXT) | instid1(VALU_DEP_2)
	v_div_scale_f32 v5, null, v2, v2, v3
	v_div_scale_f32 v6, null, v2, v2, v4
	v_div_scale_f32 v10, vcc_lo, v3, v2, v3
	s_delay_alu instid0(VALU_DEP_3) | instskip(NEXT) | instid1(VALU_DEP_2)
	v_rcp_f32_e32 v7, v5
	v_rcp_f32_e32 v8, v6
	v_div_scale_f32 v11, s4, v4, v2, v4
	s_delay_alu instid0(TRANS32_DEP_2) | instskip(NEXT) | instid1(TRANS32_DEP_1)
	v_fma_f32 v1, -v5, v7, 1.0
	v_fma_f32 v9, -v6, v8, 1.0
	s_delay_alu instid0(VALU_DEP_2) | instskip(NEXT) | instid1(VALU_DEP_2)
	v_fmac_f32_e32 v7, v1, v7
	v_fmac_f32_e32 v8, v9, v8
	v_mad_co_u64_u32 v[0:1], null, v0, s25, v[34:35]
	s_delay_alu instid0(VALU_DEP_2) | instskip(NEXT) | instid1(VALU_DEP_2)
	v_dual_mul_f32 v9, v10, v7 :: v_dual_mul_f32 v12, v11, v8
	v_lshl_add_u32 v0, v0, 5, v36
	s_delay_alu instid0(VALU_DEP_2) | instskip(NEXT) | instid1(VALU_DEP_3)
	v_fma_f32 v1, -v5, v9, v10
	v_fma_f32 v13, -v6, v12, v11
	s_delay_alu instid0(VALU_DEP_2) | instskip(NEXT) | instid1(VALU_DEP_2)
	v_fmac_f32_e32 v9, v1, v7
	v_fmac_f32_e32 v12, v13, v8
	v_ashrrev_i32_e32 v1, 31, v0
	s_delay_alu instid0(VALU_DEP_3) | instskip(NEXT) | instid1(VALU_DEP_3)
	v_fma_f32 v5, -v5, v9, v10
	v_fma_f32 v6, -v6, v12, v11
	s_delay_alu instid0(VALU_DEP_3) | instskip(SKIP_1) | instid1(VALU_DEP_3)
	v_lshlrev_b64_e32 v[0:1], 3, v[0:1]
	s_wait_alu 0xfffd
	v_div_fmas_f32 v5, v5, v7, v9
	s_mov_b32 vcc_lo, s4
	s_wait_alu 0xfffe
	v_div_fmas_f32 v6, v6, v8, v12
	s_delay_alu instid0(VALU_DEP_2) | instskip(SKIP_1) | instid1(VALU_DEP_3)
	v_div_fixup_f32 v3, v5, v2, v3
	v_add_co_u32 v5, vcc_lo, s72, v0
	v_div_fixup_f32 v4, v6, v2, v4
	s_wait_alu 0xfffd
	v_add_co_ci_u32_e64 v6, null, s73, v1, vcc_lo
	v_mov_b32_e32 v1, 0
	global_store_b64 v[5:6], v[3:4], off
.LBB0_166:                              ;   in Loop: Header=BB0_12 Depth=1
	s_wait_alu 0xfffe
	s_or_b32 exec_lo, exec_lo, s34
	s_mov_b32 s4, -1
	s_mov_b32 s34, exec_lo
	v_cmpx_gt_i32_e32 0x47, v1
; %bb.167:                              ;   in Loop: Header=BB0_12 Depth=1
	v_cmp_eq_u32_e32 vcc_lo, 0, v1
	s_or_not1_b32 s4, vcc_lo, exec_lo
; %bb.168:                              ;   in Loop: Header=BB0_12 Depth=1
	s_wait_alu 0xfffe
	s_or_b32 exec_lo, exec_lo, s34
	s_delay_alu instid0(SALU_CYCLE_1)
	s_and_b32 exec_lo, exec_lo, s4
	s_cbranch_execz .LBB0_10
; %bb.169:                              ;   in Loop: Header=BB0_12 Depth=1
	v_dual_mov_b32 v1, 0x47 :: v_dual_add_nc_u32 v0, s94, v100
	s_delay_alu instid0(VALU_DEP_1)
	v_cmp_gt_i32_e32 vcc_lo, s24, v0
	s_and_b32 s4, vcc_lo, s3
	s_wait_alu 0xfffe
	s_and_saveexec_b32 s34, s4
	s_cbranch_execz .LBB0_171
; %bb.170:                              ;   in Loop: Header=BB0_12 Depth=1
	v_add_nc_u32_e32 v9, 0, v101
	v_add_nc_u32_e32 v7, v72, v101
	ds_load_2addr_b32 v[1:2], v9 offset0:32 offset1:33
	ds_load_2addr_stride64_b32 v[3:4], v7 offset1:9
	v_add_nc_u32_e32 v5, 0x80, v9
	ds_load_2addr_stride64_b32 v[5:6], v5 offset0:9 offset1:18
	ds_load_2addr_stride64_b32 v[7:8], v7 offset0:18 offset1:27
	ds_load_b32 v9, v9 offset:7040
	s_wait_dscnt 0x3
	v_fma_mix_f32 v10, v1, v3, 0 op_sel_hi:[0,1,0]
	v_fma_mix_f32 v1, v1, v3, 0 op_sel:[0,1,0] op_sel_hi:[0,1,0]
	s_wait_dscnt 0x2
	s_delay_alu instid0(VALU_DEP_2) | instskip(NEXT) | instid1(VALU_DEP_2)
	v_fma_mix_f32 v3, v5, v4, v10 op_sel_hi:[0,1,0]
	v_fma_mix_f32 v1, v5, v4, v1 op_sel:[0,1,0] op_sel_hi:[0,1,0]
	s_wait_dscnt 0x1
	s_delay_alu instid0(VALU_DEP_2) | instskip(NEXT) | instid1(VALU_DEP_2)
	;; [unrolled: 4-line block ×3, first 2 shown]
	v_fma_mix_f32 v3, v9, v8, v3 op_sel_hi:[0,1,0]
	v_fma_mix_f32 v4, v9, v8, v1 op_sel:[0,1,0] op_sel_hi:[0,1,0]
	s_delay_alu instid0(VALU_DEP_2) | instskip(NEXT) | instid1(VALU_DEP_2)
	v_div_scale_f32 v5, null, v2, v2, v3
	v_div_scale_f32 v6, null, v2, v2, v4
	v_div_scale_f32 v10, vcc_lo, v3, v2, v3
	s_delay_alu instid0(VALU_DEP_3) | instskip(NEXT) | instid1(VALU_DEP_2)
	v_rcp_f32_e32 v7, v5
	v_rcp_f32_e32 v8, v6
	v_div_scale_f32 v11, s4, v4, v2, v4
	s_delay_alu instid0(TRANS32_DEP_2) | instskip(NEXT) | instid1(TRANS32_DEP_1)
	v_fma_f32 v1, -v5, v7, 1.0
	v_fma_f32 v9, -v6, v8, 1.0
	s_delay_alu instid0(VALU_DEP_2) | instskip(NEXT) | instid1(VALU_DEP_2)
	v_fmac_f32_e32 v7, v1, v7
	v_fmac_f32_e32 v8, v9, v8
	v_mad_co_u64_u32 v[0:1], null, v0, s25, v[60:61]
	s_delay_alu instid0(VALU_DEP_2) | instskip(NEXT) | instid1(VALU_DEP_2)
	v_dual_mul_f32 v9, v10, v7 :: v_dual_mul_f32 v12, v11, v8
	v_lshl_add_u32 v0, v0, 5, v36
	s_delay_alu instid0(VALU_DEP_2) | instskip(NEXT) | instid1(VALU_DEP_3)
	v_fma_f32 v1, -v5, v9, v10
	v_fma_f32 v13, -v6, v12, v11
	s_delay_alu instid0(VALU_DEP_2) | instskip(NEXT) | instid1(VALU_DEP_2)
	v_fmac_f32_e32 v9, v1, v7
	v_fmac_f32_e32 v12, v13, v8
	v_ashrrev_i32_e32 v1, 31, v0
	s_delay_alu instid0(VALU_DEP_3) | instskip(NEXT) | instid1(VALU_DEP_3)
	v_fma_f32 v5, -v5, v9, v10
	v_fma_f32 v6, -v6, v12, v11
	s_delay_alu instid0(VALU_DEP_3) | instskip(SKIP_1) | instid1(VALU_DEP_3)
	v_lshlrev_b64_e32 v[0:1], 3, v[0:1]
	s_wait_alu 0xfffd
	v_div_fmas_f32 v5, v5, v7, v9
	s_mov_b32 vcc_lo, s4
	s_wait_alu 0xfffe
	v_div_fmas_f32 v6, v6, v8, v12
	s_delay_alu instid0(VALU_DEP_2) | instskip(SKIP_1) | instid1(VALU_DEP_3)
	v_div_fixup_f32 v3, v5, v2, v3
	v_add_co_u32 v5, vcc_lo, s72, v0
	v_div_fixup_f32 v4, v6, v2, v4
	s_wait_alu 0xfffd
	v_add_co_ci_u32_e64 v6, null, s73, v1, vcc_lo
	v_mov_b32_e32 v1, 0
	global_store_b64 v[5:6], v[3:4], off
.LBB0_171:                              ;   in Loop: Header=BB0_12 Depth=1
	s_wait_alu 0xfffe
	s_or_b32 exec_lo, exec_lo, s34
	s_mov_b32 s4, -1
	s_mov_b32 s34, exec_lo
	v_cmpx_gt_i32_e32 0x47, v1
; %bb.172:                              ;   in Loop: Header=BB0_12 Depth=1
	v_cmp_eq_u32_e32 vcc_lo, 0, v1
	s_or_not1_b32 s4, vcc_lo, exec_lo
; %bb.173:                              ;   in Loop: Header=BB0_12 Depth=1
	s_wait_alu 0xfffe
	s_or_b32 exec_lo, exec_lo, s34
	s_delay_alu instid0(SALU_CYCLE_1)
	s_and_b32 exec_lo, exec_lo, s4
	s_cbranch_execz .LBB0_10
; %bb.174:                              ;   in Loop: Header=BB0_12 Depth=1
	v_add_nc_u32_e32 v0, s94, v102
	v_or_b32_e32 v1, s39, v35
	s_delay_alu instid0(VALU_DEP_1) | instskip(SKIP_1) | instid1(VALU_DEP_4)
	v_cmp_gt_i32_e64 s4, s33, v1
	v_mov_b32_e32 v1, 0x47
	v_cmp_gt_i32_e32 vcc_lo, s24, v0
	s_and_b32 s4, vcc_lo, s4
	s_wait_alu 0xfffe
	s_and_saveexec_b32 s34, s4
	s_cbranch_execz .LBB0_176
; %bb.175:                              ;   in Loop: Header=BB0_12 Depth=1
	v_add_nc_u32_e32 v9, 0, v103
	v_add_nc_u32_e32 v7, v72, v103
	ds_load_2addr_b32 v[1:2], v9 offset0:32 offset1:33
	ds_load_2addr_stride64_b32 v[3:4], v7 offset1:9
	v_add_nc_u32_e32 v5, 0x80, v9
	ds_load_2addr_stride64_b32 v[5:6], v5 offset0:9 offset1:18
	ds_load_2addr_stride64_b32 v[7:8], v7 offset0:18 offset1:27
	ds_load_b32 v9, v9 offset:7040
	s_wait_dscnt 0x3
	v_fma_mix_f32 v10, v1, v3, 0 op_sel_hi:[0,1,0]
	v_fma_mix_f32 v1, v1, v3, 0 op_sel:[0,1,0] op_sel_hi:[0,1,0]
	s_wait_dscnt 0x2
	s_delay_alu instid0(VALU_DEP_2) | instskip(NEXT) | instid1(VALU_DEP_2)
	v_fma_mix_f32 v3, v5, v4, v10 op_sel_hi:[0,1,0]
	v_fma_mix_f32 v1, v5, v4, v1 op_sel:[0,1,0] op_sel_hi:[0,1,0]
	s_wait_dscnt 0x1
	s_delay_alu instid0(VALU_DEP_2) | instskip(NEXT) | instid1(VALU_DEP_2)
	;; [unrolled: 4-line block ×3, first 2 shown]
	v_fma_mix_f32 v3, v9, v8, v3 op_sel_hi:[0,1,0]
	v_fma_mix_f32 v4, v9, v8, v1 op_sel:[0,1,0] op_sel_hi:[0,1,0]
	s_delay_alu instid0(VALU_DEP_2) | instskip(NEXT) | instid1(VALU_DEP_2)
	v_div_scale_f32 v5, null, v2, v2, v3
	v_div_scale_f32 v6, null, v2, v2, v4
	v_div_scale_f32 v10, vcc_lo, v3, v2, v3
	s_delay_alu instid0(VALU_DEP_3) | instskip(NEXT) | instid1(VALU_DEP_2)
	v_rcp_f32_e32 v7, v5
	v_rcp_f32_e32 v8, v6
	v_div_scale_f32 v11, s4, v4, v2, v4
	s_delay_alu instid0(TRANS32_DEP_2) | instskip(NEXT) | instid1(TRANS32_DEP_1)
	v_fma_f32 v1, -v5, v7, 1.0
	v_fma_f32 v9, -v6, v8, 1.0
	s_delay_alu instid0(VALU_DEP_2) | instskip(NEXT) | instid1(VALU_DEP_2)
	v_fmac_f32_e32 v7, v1, v7
	v_fmac_f32_e32 v8, v9, v8
	v_mad_co_u64_u32 v[0:1], null, v0, s25, v[35:36]
	s_delay_alu instid0(VALU_DEP_2) | instskip(NEXT) | instid1(VALU_DEP_2)
	v_dual_mul_f32 v9, v10, v7 :: v_dual_mul_f32 v12, v11, v8
	v_lshl_add_u32 v0, v0, 5, v36
	s_delay_alu instid0(VALU_DEP_2) | instskip(NEXT) | instid1(VALU_DEP_3)
	v_fma_f32 v1, -v5, v9, v10
	v_fma_f32 v13, -v6, v12, v11
	s_delay_alu instid0(VALU_DEP_2) | instskip(NEXT) | instid1(VALU_DEP_2)
	v_fmac_f32_e32 v9, v1, v7
	v_fmac_f32_e32 v12, v13, v8
	v_ashrrev_i32_e32 v1, 31, v0
	s_delay_alu instid0(VALU_DEP_3) | instskip(NEXT) | instid1(VALU_DEP_3)
	v_fma_f32 v5, -v5, v9, v10
	v_fma_f32 v6, -v6, v12, v11
	s_delay_alu instid0(VALU_DEP_3) | instskip(SKIP_1) | instid1(VALU_DEP_3)
	v_lshlrev_b64_e32 v[0:1], 3, v[0:1]
	s_wait_alu 0xfffd
	v_div_fmas_f32 v5, v5, v7, v9
	s_mov_b32 vcc_lo, s4
	s_wait_alu 0xfffe
	v_div_fmas_f32 v6, v6, v8, v12
	s_delay_alu instid0(VALU_DEP_2) | instskip(SKIP_1) | instid1(VALU_DEP_3)
	v_div_fixup_f32 v3, v5, v2, v3
	v_add_co_u32 v5, vcc_lo, s72, v0
	v_div_fixup_f32 v4, v6, v2, v4
	s_wait_alu 0xfffd
	v_add_co_ci_u32_e64 v6, null, s73, v1, vcc_lo
	v_mov_b32_e32 v1, 0
	global_store_b64 v[5:6], v[3:4], off
.LBB0_176:                              ;   in Loop: Header=BB0_12 Depth=1
	s_wait_alu 0xfffe
	s_or_b32 exec_lo, exec_lo, s34
	s_mov_b32 s4, -1
	s_mov_b32 s34, exec_lo
	v_cmpx_gt_i32_e32 0x47, v1
; %bb.177:                              ;   in Loop: Header=BB0_12 Depth=1
	v_cmp_eq_u32_e32 vcc_lo, 0, v1
	s_or_not1_b32 s4, vcc_lo, exec_lo
; %bb.178:                              ;   in Loop: Header=BB0_12 Depth=1
	s_wait_alu 0xfffe
	s_or_b32 exec_lo, exec_lo, s34
	s_delay_alu instid0(SALU_CYCLE_1)
	s_and_b32 exec_lo, exec_lo, s4
	s_cbranch_execz .LBB0_10
; %bb.179:                              ;   in Loop: Header=BB0_12 Depth=1
	v_dual_mov_b32 v1, 0x47 :: v_dual_add_nc_u32 v0, s94, v104
	s_delay_alu instid0(VALU_DEP_1)
	v_cmp_gt_i32_e32 vcc_lo, s24, v0
	s_and_b32 s4, vcc_lo, s3
	s_wait_alu 0xfffe
	s_and_saveexec_b32 s34, s4
	s_cbranch_execz .LBB0_181
; %bb.180:                              ;   in Loop: Header=BB0_12 Depth=1
	v_add_nc_u32_e32 v9, 0, v105
	v_add_nc_u32_e32 v7, v72, v105
	ds_load_2addr_b32 v[1:2], v9 offset0:32 offset1:33
	ds_load_2addr_stride64_b32 v[3:4], v7 offset1:9
	v_add_nc_u32_e32 v5, 0x80, v9
	ds_load_2addr_stride64_b32 v[5:6], v5 offset0:9 offset1:18
	ds_load_2addr_stride64_b32 v[7:8], v7 offset0:18 offset1:27
	ds_load_b32 v9, v9 offset:7040
	s_wait_dscnt 0x3
	v_fma_mix_f32 v10, v1, v3, 0 op_sel_hi:[0,1,0]
	v_fma_mix_f32 v1, v1, v3, 0 op_sel:[0,1,0] op_sel_hi:[0,1,0]
	s_wait_dscnt 0x2
	s_delay_alu instid0(VALU_DEP_2) | instskip(NEXT) | instid1(VALU_DEP_2)
	v_fma_mix_f32 v3, v5, v4, v10 op_sel_hi:[0,1,0]
	v_fma_mix_f32 v1, v5, v4, v1 op_sel:[0,1,0] op_sel_hi:[0,1,0]
	s_wait_dscnt 0x1
	s_delay_alu instid0(VALU_DEP_2) | instskip(NEXT) | instid1(VALU_DEP_2)
	;; [unrolled: 4-line block ×3, first 2 shown]
	v_fma_mix_f32 v3, v9, v8, v3 op_sel_hi:[0,1,0]
	v_fma_mix_f32 v4, v9, v8, v1 op_sel:[0,1,0] op_sel_hi:[0,1,0]
	s_delay_alu instid0(VALU_DEP_2) | instskip(NEXT) | instid1(VALU_DEP_2)
	v_div_scale_f32 v5, null, v2, v2, v3
	v_div_scale_f32 v6, null, v2, v2, v4
	v_div_scale_f32 v10, vcc_lo, v3, v2, v3
	s_delay_alu instid0(VALU_DEP_3) | instskip(NEXT) | instid1(VALU_DEP_2)
	v_rcp_f32_e32 v7, v5
	v_rcp_f32_e32 v8, v6
	v_div_scale_f32 v11, s4, v4, v2, v4
	s_delay_alu instid0(TRANS32_DEP_2) | instskip(NEXT) | instid1(TRANS32_DEP_1)
	v_fma_f32 v1, -v5, v7, 1.0
	v_fma_f32 v9, -v6, v8, 1.0
	s_delay_alu instid0(VALU_DEP_2) | instskip(NEXT) | instid1(VALU_DEP_2)
	v_fmac_f32_e32 v7, v1, v7
	v_fmac_f32_e32 v8, v9, v8
	v_mad_co_u64_u32 v[0:1], null, v0, s25, v[60:61]
	s_delay_alu instid0(VALU_DEP_2) | instskip(NEXT) | instid1(VALU_DEP_2)
	v_dual_mul_f32 v9, v10, v7 :: v_dual_mul_f32 v12, v11, v8
	v_lshl_add_u32 v0, v0, 5, v36
	s_delay_alu instid0(VALU_DEP_2) | instskip(NEXT) | instid1(VALU_DEP_3)
	v_fma_f32 v1, -v5, v9, v10
	v_fma_f32 v13, -v6, v12, v11
	s_delay_alu instid0(VALU_DEP_2) | instskip(NEXT) | instid1(VALU_DEP_2)
	v_fmac_f32_e32 v9, v1, v7
	v_fmac_f32_e32 v12, v13, v8
	v_ashrrev_i32_e32 v1, 31, v0
	s_delay_alu instid0(VALU_DEP_3) | instskip(NEXT) | instid1(VALU_DEP_3)
	v_fma_f32 v5, -v5, v9, v10
	v_fma_f32 v6, -v6, v12, v11
	s_delay_alu instid0(VALU_DEP_3) | instskip(SKIP_1) | instid1(VALU_DEP_3)
	v_lshlrev_b64_e32 v[0:1], 3, v[0:1]
	s_wait_alu 0xfffd
	v_div_fmas_f32 v5, v5, v7, v9
	s_mov_b32 vcc_lo, s4
	s_wait_alu 0xfffe
	v_div_fmas_f32 v6, v6, v8, v12
	s_delay_alu instid0(VALU_DEP_2) | instskip(SKIP_1) | instid1(VALU_DEP_3)
	v_div_fixup_f32 v3, v5, v2, v3
	v_add_co_u32 v5, vcc_lo, s72, v0
	v_div_fixup_f32 v4, v6, v2, v4
	s_wait_alu 0xfffd
	v_add_co_ci_u32_e64 v6, null, s73, v1, vcc_lo
	v_mov_b32_e32 v1, 0
	global_store_b64 v[5:6], v[3:4], off
.LBB0_181:                              ;   in Loop: Header=BB0_12 Depth=1
	s_wait_alu 0xfffe
	s_or_b32 exec_lo, exec_lo, s34
	s_mov_b32 s4, -1
	s_mov_b32 s34, exec_lo
	v_cmpx_gt_i32_e32 0x47, v1
; %bb.182:                              ;   in Loop: Header=BB0_12 Depth=1
	v_cmp_eq_u32_e32 vcc_lo, 0, v1
	s_or_not1_b32 s4, vcc_lo, exec_lo
; %bb.183:                              ;   in Loop: Header=BB0_12 Depth=1
	s_wait_alu 0xfffe
	s_or_b32 exec_lo, exec_lo, s34
	s_delay_alu instid0(SALU_CYCLE_1)
	s_and_b32 exec_lo, exec_lo, s4
	s_cbranch_execz .LBB0_10
; %bb.184:                              ;   in Loop: Header=BB0_12 Depth=1
	v_add_nc_u32_e32 v0, s94, v106
	v_or_b32_e32 v1, s39, v37
	s_delay_alu instid0(VALU_DEP_1) | instskip(SKIP_1) | instid1(VALU_DEP_4)
	v_cmp_gt_i32_e64 s4, s33, v1
	v_mov_b32_e32 v1, 0x47
	v_cmp_gt_i32_e32 vcc_lo, s24, v0
	s_and_b32 s4, vcc_lo, s4
	s_wait_alu 0xfffe
	s_and_saveexec_b32 s34, s4
	s_cbranch_execz .LBB0_186
; %bb.185:                              ;   in Loop: Header=BB0_12 Depth=1
	v_add_nc_u32_e32 v9, 0, v107
	v_add_nc_u32_e32 v7, v72, v107
	ds_load_2addr_b32 v[1:2], v9 offset0:32 offset1:33
	ds_load_2addr_stride64_b32 v[3:4], v7 offset1:9
	v_add_nc_u32_e32 v5, 0x80, v9
	ds_load_2addr_stride64_b32 v[5:6], v5 offset0:9 offset1:18
	ds_load_2addr_stride64_b32 v[7:8], v7 offset0:18 offset1:27
	ds_load_b32 v9, v9 offset:7040
	s_wait_dscnt 0x3
	v_fma_mix_f32 v10, v1, v3, 0 op_sel_hi:[0,1,0]
	v_fma_mix_f32 v1, v1, v3, 0 op_sel:[0,1,0] op_sel_hi:[0,1,0]
	s_wait_dscnt 0x2
	s_delay_alu instid0(VALU_DEP_2) | instskip(NEXT) | instid1(VALU_DEP_2)
	v_fma_mix_f32 v3, v5, v4, v10 op_sel_hi:[0,1,0]
	v_fma_mix_f32 v1, v5, v4, v1 op_sel:[0,1,0] op_sel_hi:[0,1,0]
	s_wait_dscnt 0x1
	s_delay_alu instid0(VALU_DEP_2) | instskip(NEXT) | instid1(VALU_DEP_2)
	;; [unrolled: 4-line block ×3, first 2 shown]
	v_fma_mix_f32 v3, v9, v8, v3 op_sel_hi:[0,1,0]
	v_fma_mix_f32 v4, v9, v8, v1 op_sel:[0,1,0] op_sel_hi:[0,1,0]
	s_delay_alu instid0(VALU_DEP_2) | instskip(NEXT) | instid1(VALU_DEP_2)
	v_div_scale_f32 v5, null, v2, v2, v3
	v_div_scale_f32 v6, null, v2, v2, v4
	v_div_scale_f32 v10, vcc_lo, v3, v2, v3
	s_delay_alu instid0(VALU_DEP_3) | instskip(NEXT) | instid1(VALU_DEP_2)
	v_rcp_f32_e32 v7, v5
	v_rcp_f32_e32 v8, v6
	v_div_scale_f32 v11, s4, v4, v2, v4
	s_delay_alu instid0(TRANS32_DEP_2) | instskip(NEXT) | instid1(TRANS32_DEP_1)
	v_fma_f32 v1, -v5, v7, 1.0
	v_fma_f32 v9, -v6, v8, 1.0
	s_delay_alu instid0(VALU_DEP_2) | instskip(NEXT) | instid1(VALU_DEP_2)
	v_fmac_f32_e32 v7, v1, v7
	v_fmac_f32_e32 v8, v9, v8
	v_mad_co_u64_u32 v[0:1], null, v0, s25, v[37:38]
	s_delay_alu instid0(VALU_DEP_2) | instskip(NEXT) | instid1(VALU_DEP_2)
	v_dual_mul_f32 v9, v10, v7 :: v_dual_mul_f32 v12, v11, v8
	v_lshl_add_u32 v0, v0, 5, v36
	s_delay_alu instid0(VALU_DEP_2) | instskip(NEXT) | instid1(VALU_DEP_3)
	v_fma_f32 v1, -v5, v9, v10
	v_fma_f32 v13, -v6, v12, v11
	s_delay_alu instid0(VALU_DEP_2) | instskip(NEXT) | instid1(VALU_DEP_2)
	v_fmac_f32_e32 v9, v1, v7
	v_fmac_f32_e32 v12, v13, v8
	v_ashrrev_i32_e32 v1, 31, v0
	s_delay_alu instid0(VALU_DEP_3) | instskip(NEXT) | instid1(VALU_DEP_3)
	v_fma_f32 v5, -v5, v9, v10
	v_fma_f32 v6, -v6, v12, v11
	s_delay_alu instid0(VALU_DEP_3) | instskip(SKIP_1) | instid1(VALU_DEP_3)
	v_lshlrev_b64_e32 v[0:1], 3, v[0:1]
	s_wait_alu 0xfffd
	v_div_fmas_f32 v5, v5, v7, v9
	s_mov_b32 vcc_lo, s4
	s_wait_alu 0xfffe
	v_div_fmas_f32 v6, v6, v8, v12
	s_delay_alu instid0(VALU_DEP_2) | instskip(SKIP_1) | instid1(VALU_DEP_3)
	v_div_fixup_f32 v3, v5, v2, v3
	v_add_co_u32 v5, vcc_lo, s72, v0
	v_div_fixup_f32 v4, v6, v2, v4
	s_wait_alu 0xfffd
	v_add_co_ci_u32_e64 v6, null, s73, v1, vcc_lo
	v_mov_b32_e32 v1, 0
	global_store_b64 v[5:6], v[3:4], off
.LBB0_186:                              ;   in Loop: Header=BB0_12 Depth=1
	s_wait_alu 0xfffe
	s_or_b32 exec_lo, exec_lo, s34
	s_mov_b32 s4, -1
	s_mov_b32 s34, exec_lo
	v_cmpx_gt_i32_e32 0x47, v1
; %bb.187:                              ;   in Loop: Header=BB0_12 Depth=1
	v_cmp_eq_u32_e32 vcc_lo, 0, v1
	s_or_not1_b32 s4, vcc_lo, exec_lo
; %bb.188:                              ;   in Loop: Header=BB0_12 Depth=1
	s_wait_alu 0xfffe
	s_or_b32 exec_lo, exec_lo, s34
	s_delay_alu instid0(SALU_CYCLE_1)
	s_and_b32 exec_lo, exec_lo, s4
	s_cbranch_execz .LBB0_10
; %bb.189:                              ;   in Loop: Header=BB0_12 Depth=1
	v_dual_mov_b32 v1, 0x47 :: v_dual_add_nc_u32 v0, s94, v108
	s_delay_alu instid0(VALU_DEP_1)
	v_cmp_gt_i32_e32 vcc_lo, s24, v0
	s_and_b32 s4, vcc_lo, s3
	s_wait_alu 0xfffe
	s_and_saveexec_b32 s34, s4
	s_cbranch_execz .LBB0_191
; %bb.190:                              ;   in Loop: Header=BB0_12 Depth=1
	v_add_nc_u32_e32 v9, 0, v109
	v_add_nc_u32_e32 v7, v72, v109
	ds_load_2addr_b32 v[1:2], v9 offset0:32 offset1:33
	ds_load_2addr_stride64_b32 v[3:4], v7 offset1:9
	v_add_nc_u32_e32 v5, 0x80, v9
	ds_load_2addr_stride64_b32 v[5:6], v5 offset0:9 offset1:18
	ds_load_2addr_stride64_b32 v[7:8], v7 offset0:18 offset1:27
	ds_load_b32 v9, v9 offset:7040
	s_wait_dscnt 0x3
	v_fma_mix_f32 v10, v1, v3, 0 op_sel_hi:[0,1,0]
	v_fma_mix_f32 v1, v1, v3, 0 op_sel:[0,1,0] op_sel_hi:[0,1,0]
	s_wait_dscnt 0x2
	s_delay_alu instid0(VALU_DEP_2) | instskip(NEXT) | instid1(VALU_DEP_2)
	v_fma_mix_f32 v3, v5, v4, v10 op_sel_hi:[0,1,0]
	v_fma_mix_f32 v1, v5, v4, v1 op_sel:[0,1,0] op_sel_hi:[0,1,0]
	s_wait_dscnt 0x1
	s_delay_alu instid0(VALU_DEP_2) | instskip(NEXT) | instid1(VALU_DEP_2)
	;; [unrolled: 4-line block ×3, first 2 shown]
	v_fma_mix_f32 v3, v9, v8, v3 op_sel_hi:[0,1,0]
	v_fma_mix_f32 v4, v9, v8, v1 op_sel:[0,1,0] op_sel_hi:[0,1,0]
	s_delay_alu instid0(VALU_DEP_2) | instskip(NEXT) | instid1(VALU_DEP_2)
	v_div_scale_f32 v5, null, v2, v2, v3
	v_div_scale_f32 v6, null, v2, v2, v4
	v_div_scale_f32 v10, vcc_lo, v3, v2, v3
	s_delay_alu instid0(VALU_DEP_3) | instskip(NEXT) | instid1(VALU_DEP_2)
	v_rcp_f32_e32 v7, v5
	v_rcp_f32_e32 v8, v6
	v_div_scale_f32 v11, s4, v4, v2, v4
	s_delay_alu instid0(TRANS32_DEP_2) | instskip(NEXT) | instid1(TRANS32_DEP_1)
	v_fma_f32 v1, -v5, v7, 1.0
	v_fma_f32 v9, -v6, v8, 1.0
	s_delay_alu instid0(VALU_DEP_2) | instskip(NEXT) | instid1(VALU_DEP_2)
	v_fmac_f32_e32 v7, v1, v7
	v_fmac_f32_e32 v8, v9, v8
	v_mad_co_u64_u32 v[0:1], null, v0, s25, v[60:61]
	s_delay_alu instid0(VALU_DEP_2) | instskip(NEXT) | instid1(VALU_DEP_2)
	v_dual_mul_f32 v9, v10, v7 :: v_dual_mul_f32 v12, v11, v8
	v_lshl_add_u32 v0, v0, 5, v36
	s_delay_alu instid0(VALU_DEP_2) | instskip(NEXT) | instid1(VALU_DEP_3)
	v_fma_f32 v1, -v5, v9, v10
	v_fma_f32 v13, -v6, v12, v11
	s_delay_alu instid0(VALU_DEP_2) | instskip(NEXT) | instid1(VALU_DEP_2)
	v_fmac_f32_e32 v9, v1, v7
	v_fmac_f32_e32 v12, v13, v8
	v_ashrrev_i32_e32 v1, 31, v0
	s_delay_alu instid0(VALU_DEP_3) | instskip(NEXT) | instid1(VALU_DEP_3)
	v_fma_f32 v5, -v5, v9, v10
	v_fma_f32 v6, -v6, v12, v11
	s_delay_alu instid0(VALU_DEP_3) | instskip(SKIP_1) | instid1(VALU_DEP_3)
	v_lshlrev_b64_e32 v[0:1], 3, v[0:1]
	s_wait_alu 0xfffd
	v_div_fmas_f32 v5, v5, v7, v9
	s_mov_b32 vcc_lo, s4
	s_wait_alu 0xfffe
	v_div_fmas_f32 v6, v6, v8, v12
	s_delay_alu instid0(VALU_DEP_2) | instskip(SKIP_1) | instid1(VALU_DEP_3)
	v_div_fixup_f32 v3, v5, v2, v3
	v_add_co_u32 v5, vcc_lo, s72, v0
	v_div_fixup_f32 v4, v6, v2, v4
	s_wait_alu 0xfffd
	v_add_co_ci_u32_e64 v6, null, s73, v1, vcc_lo
	v_mov_b32_e32 v1, 0
	global_store_b64 v[5:6], v[3:4], off
.LBB0_191:                              ;   in Loop: Header=BB0_12 Depth=1
	s_wait_alu 0xfffe
	s_or_b32 exec_lo, exec_lo, s34
	s_mov_b32 s4, -1
	s_mov_b32 s34, exec_lo
	v_cmpx_gt_i32_e32 0x47, v1
; %bb.192:                              ;   in Loop: Header=BB0_12 Depth=1
	v_cmp_eq_u32_e32 vcc_lo, 0, v1
	s_or_not1_b32 s4, vcc_lo, exec_lo
; %bb.193:                              ;   in Loop: Header=BB0_12 Depth=1
	s_wait_alu 0xfffe
	s_or_b32 exec_lo, exec_lo, s34
	s_delay_alu instid0(SALU_CYCLE_1)
	s_and_b32 exec_lo, exec_lo, s4
	s_cbranch_execz .LBB0_10
; %bb.194:                              ;   in Loop: Header=BB0_12 Depth=1
	v_add_nc_u32_e32 v0, s94, v125
	v_or_b32_e32 v1, s39, v54
	s_delay_alu instid0(VALU_DEP_1) | instskip(SKIP_1) | instid1(VALU_DEP_4)
	v_cmp_gt_i32_e64 s4, s33, v1
	v_mov_b32_e32 v1, 0x47
	v_cmp_gt_i32_e32 vcc_lo, s24, v0
	s_and_b32 s4, vcc_lo, s4
	s_wait_alu 0xfffe
	s_and_saveexec_b32 s34, s4
	s_cbranch_execz .LBB0_196
; %bb.195:                              ;   in Loop: Header=BB0_12 Depth=1
	v_add_nc_u32_e32 v9, 0, v110
	v_add_nc_u32_e32 v7, v72, v110
	ds_load_2addr_b32 v[1:2], v9 offset0:32 offset1:33
	ds_load_2addr_stride64_b32 v[3:4], v7 offset1:9
	v_add_nc_u32_e32 v5, 0x80, v9
	ds_load_2addr_stride64_b32 v[5:6], v5 offset0:9 offset1:18
	ds_load_2addr_stride64_b32 v[7:8], v7 offset0:18 offset1:27
	ds_load_b32 v9, v9 offset:7040
	s_wait_dscnt 0x3
	v_fma_mix_f32 v10, v1, v3, 0 op_sel_hi:[0,1,0]
	v_fma_mix_f32 v1, v1, v3, 0 op_sel:[0,1,0] op_sel_hi:[0,1,0]
	s_wait_dscnt 0x2
	s_delay_alu instid0(VALU_DEP_2) | instskip(NEXT) | instid1(VALU_DEP_2)
	v_fma_mix_f32 v3, v5, v4, v10 op_sel_hi:[0,1,0]
	v_fma_mix_f32 v1, v5, v4, v1 op_sel:[0,1,0] op_sel_hi:[0,1,0]
	s_wait_dscnt 0x1
	s_delay_alu instid0(VALU_DEP_2) | instskip(NEXT) | instid1(VALU_DEP_2)
	;; [unrolled: 4-line block ×3, first 2 shown]
	v_fma_mix_f32 v3, v9, v8, v3 op_sel_hi:[0,1,0]
	v_fma_mix_f32 v4, v9, v8, v1 op_sel:[0,1,0] op_sel_hi:[0,1,0]
	s_delay_alu instid0(VALU_DEP_2) | instskip(NEXT) | instid1(VALU_DEP_2)
	v_div_scale_f32 v5, null, v2, v2, v3
	v_div_scale_f32 v6, null, v2, v2, v4
	v_div_scale_f32 v10, vcc_lo, v3, v2, v3
	s_delay_alu instid0(VALU_DEP_3) | instskip(NEXT) | instid1(VALU_DEP_2)
	v_rcp_f32_e32 v7, v5
	v_rcp_f32_e32 v8, v6
	v_div_scale_f32 v11, s4, v4, v2, v4
	s_delay_alu instid0(TRANS32_DEP_2) | instskip(NEXT) | instid1(TRANS32_DEP_1)
	v_fma_f32 v1, -v5, v7, 1.0
	v_fma_f32 v9, -v6, v8, 1.0
	s_delay_alu instid0(VALU_DEP_2) | instskip(NEXT) | instid1(VALU_DEP_2)
	v_fmac_f32_e32 v7, v1, v7
	v_fmac_f32_e32 v8, v9, v8
	v_mad_co_u64_u32 v[0:1], null, v0, s25, v[54:55]
	s_delay_alu instid0(VALU_DEP_2) | instskip(NEXT) | instid1(VALU_DEP_2)
	v_dual_mul_f32 v9, v10, v7 :: v_dual_mul_f32 v12, v11, v8
	v_lshl_add_u32 v0, v0, 5, v36
	s_delay_alu instid0(VALU_DEP_2) | instskip(NEXT) | instid1(VALU_DEP_3)
	v_fma_f32 v1, -v5, v9, v10
	v_fma_f32 v13, -v6, v12, v11
	s_delay_alu instid0(VALU_DEP_2) | instskip(NEXT) | instid1(VALU_DEP_2)
	v_fmac_f32_e32 v9, v1, v7
	v_fmac_f32_e32 v12, v13, v8
	v_ashrrev_i32_e32 v1, 31, v0
	s_delay_alu instid0(VALU_DEP_3) | instskip(NEXT) | instid1(VALU_DEP_3)
	v_fma_f32 v5, -v5, v9, v10
	v_fma_f32 v6, -v6, v12, v11
	s_delay_alu instid0(VALU_DEP_3) | instskip(SKIP_1) | instid1(VALU_DEP_3)
	v_lshlrev_b64_e32 v[0:1], 3, v[0:1]
	s_wait_alu 0xfffd
	v_div_fmas_f32 v5, v5, v7, v9
	s_mov_b32 vcc_lo, s4
	s_wait_alu 0xfffe
	v_div_fmas_f32 v6, v6, v8, v12
	s_delay_alu instid0(VALU_DEP_2) | instskip(SKIP_1) | instid1(VALU_DEP_3)
	v_div_fixup_f32 v3, v5, v2, v3
	v_add_co_u32 v5, vcc_lo, s72, v0
	v_div_fixup_f32 v4, v6, v2, v4
	s_wait_alu 0xfffd
	v_add_co_ci_u32_e64 v6, null, s73, v1, vcc_lo
	v_mov_b32_e32 v1, 0
	global_store_b64 v[5:6], v[3:4], off
.LBB0_196:                              ;   in Loop: Header=BB0_12 Depth=1
	s_wait_alu 0xfffe
	s_or_b32 exec_lo, exec_lo, s34
	s_mov_b32 s4, -1
	s_mov_b32 s34, exec_lo
	v_cmpx_gt_i32_e32 0x47, v1
; %bb.197:                              ;   in Loop: Header=BB0_12 Depth=1
	v_cmp_eq_u32_e32 vcc_lo, 0, v1
	s_or_not1_b32 s4, vcc_lo, exec_lo
; %bb.198:                              ;   in Loop: Header=BB0_12 Depth=1
	s_wait_alu 0xfffe
	s_or_b32 exec_lo, exec_lo, s34
	s_delay_alu instid0(SALU_CYCLE_1)
	s_and_b32 exec_lo, exec_lo, s4
	s_cbranch_execz .LBB0_10
; %bb.199:                              ;   in Loop: Header=BB0_12 Depth=1
	v_dual_mov_b32 v1, 0x47 :: v_dual_add_nc_u32 v0, s94, v111
	s_delay_alu instid0(VALU_DEP_1)
	v_cmp_gt_i32_e32 vcc_lo, s24, v0
	s_and_b32 s4, vcc_lo, s3
	s_wait_alu 0xfffe
	s_and_saveexec_b32 s34, s4
	s_cbranch_execz .LBB0_201
; %bb.200:                              ;   in Loop: Header=BB0_12 Depth=1
	v_add_nc_u32_e32 v9, 0, v112
	v_add_nc_u32_e32 v7, v72, v112
	ds_load_2addr_b32 v[1:2], v9 offset0:32 offset1:33
	ds_load_2addr_stride64_b32 v[3:4], v7 offset1:9
	v_add_nc_u32_e32 v5, 0x80, v9
	ds_load_2addr_stride64_b32 v[5:6], v5 offset0:9 offset1:18
	ds_load_2addr_stride64_b32 v[7:8], v7 offset0:18 offset1:27
	ds_load_b32 v9, v9 offset:7040
	s_wait_dscnt 0x3
	v_fma_mix_f32 v10, v1, v3, 0 op_sel_hi:[0,1,0]
	v_fma_mix_f32 v1, v1, v3, 0 op_sel:[0,1,0] op_sel_hi:[0,1,0]
	s_wait_dscnt 0x2
	s_delay_alu instid0(VALU_DEP_2) | instskip(NEXT) | instid1(VALU_DEP_2)
	v_fma_mix_f32 v3, v5, v4, v10 op_sel_hi:[0,1,0]
	v_fma_mix_f32 v1, v5, v4, v1 op_sel:[0,1,0] op_sel_hi:[0,1,0]
	s_wait_dscnt 0x1
	s_delay_alu instid0(VALU_DEP_2) | instskip(NEXT) | instid1(VALU_DEP_2)
	v_fma_mix_f32 v3, v6, v7, v3 op_sel_hi:[0,1,0]
	v_fma_mix_f32 v1, v6, v7, v1 op_sel:[0,1,0] op_sel_hi:[0,1,0]
	s_wait_dscnt 0x0
	s_delay_alu instid0(VALU_DEP_2) | instskip(NEXT) | instid1(VALU_DEP_2)
	v_fma_mix_f32 v3, v9, v8, v3 op_sel_hi:[0,1,0]
	v_fma_mix_f32 v4, v9, v8, v1 op_sel:[0,1,0] op_sel_hi:[0,1,0]
	s_delay_alu instid0(VALU_DEP_2) | instskip(NEXT) | instid1(VALU_DEP_2)
	v_div_scale_f32 v5, null, v2, v2, v3
	v_div_scale_f32 v6, null, v2, v2, v4
	v_div_scale_f32 v11, s4, v4, v2, v4
	s_delay_alu instid0(VALU_DEP_3) | instskip(NEXT) | instid1(VALU_DEP_2)
	v_rcp_f32_e32 v7, v5
	v_rcp_f32_e32 v8, v6
	v_div_scale_f32 v10, vcc_lo, v3, v2, v3
	s_delay_alu instid0(TRANS32_DEP_2) | instskip(NEXT) | instid1(TRANS32_DEP_1)
	v_fma_f32 v1, -v5, v7, 1.0
	v_fma_f32 v9, -v6, v8, 1.0
	s_delay_alu instid0(VALU_DEP_1) | instskip(NEXT) | instid1(VALU_DEP_3)
	v_fmac_f32_e32 v8, v9, v8
	v_fmac_f32_e32 v7, v1, v7
	v_mad_co_u64_u32 v[0:1], null, v0, s25, v[60:61]
	s_delay_alu instid0(VALU_DEP_3) | instskip(NEXT) | instid1(VALU_DEP_2)
	v_mul_f32_e32 v12, v11, v8
	v_lshl_add_u32 v0, v0, 5, v36
	s_delay_alu instid0(VALU_DEP_2) | instskip(NEXT) | instid1(VALU_DEP_1)
	v_fma_f32 v13, -v6, v12, v11
	v_dual_mul_f32 v9, v10, v7 :: v_dual_fmac_f32 v12, v13, v8
	s_delay_alu instid0(VALU_DEP_1) | instskip(NEXT) | instid1(VALU_DEP_2)
	v_fma_f32 v1, -v5, v9, v10
	v_fma_f32 v6, -v6, v12, v11
	s_delay_alu instid0(VALU_DEP_2) | instskip(SKIP_1) | instid1(VALU_DEP_2)
	v_fmac_f32_e32 v9, v1, v7
	v_ashrrev_i32_e32 v1, 31, v0
	v_fma_f32 v5, -v5, v9, v10
	s_delay_alu instid0(VALU_DEP_2) | instskip(SKIP_1) | instid1(VALU_DEP_2)
	v_lshlrev_b64_e32 v[0:1], 3, v[0:1]
	s_wait_alu 0xfffd
	v_div_fmas_f32 v5, v5, v7, v9
	s_mov_b32 vcc_lo, s4
	s_wait_alu 0xfffe
	v_div_fmas_f32 v6, v6, v8, v12
	s_delay_alu instid0(VALU_DEP_2) | instskip(SKIP_1) | instid1(VALU_DEP_3)
	v_div_fixup_f32 v3, v5, v2, v3
	v_add_co_u32 v5, vcc_lo, s72, v0
	v_div_fixup_f32 v4, v6, v2, v4
	s_wait_alu 0xfffd
	v_add_co_ci_u32_e64 v6, null, s73, v1, vcc_lo
	v_mov_b32_e32 v1, 0
	global_store_b64 v[5:6], v[3:4], off
.LBB0_201:                              ;   in Loop: Header=BB0_12 Depth=1
	s_wait_alu 0xfffe
	s_or_b32 exec_lo, exec_lo, s34
	s_mov_b32 s4, -1
	s_mov_b32 s34, exec_lo
	v_cmpx_gt_i32_e32 0x47, v1
; %bb.202:                              ;   in Loop: Header=BB0_12 Depth=1
	v_cmp_eq_u32_e32 vcc_lo, 0, v1
	s_or_not1_b32 s4, vcc_lo, exec_lo
; %bb.203:                              ;   in Loop: Header=BB0_12 Depth=1
	s_wait_alu 0xfffe
	s_or_b32 exec_lo, exec_lo, s34
	s_delay_alu instid0(SALU_CYCLE_1)
	s_and_b32 exec_lo, exec_lo, s4
	s_cbranch_execz .LBB0_10
; %bb.204:                              ;   in Loop: Header=BB0_12 Depth=1
	v_add_nc_u32_e32 v0, s94, v126
	v_or_b32_e32 v1, s39, v55
	s_delay_alu instid0(VALU_DEP_1) | instskip(SKIP_1) | instid1(VALU_DEP_4)
	v_cmp_gt_i32_e64 s4, s33, v1
	v_mov_b32_e32 v1, 0x47
	v_cmp_gt_i32_e32 vcc_lo, s24, v0
	s_and_b32 s4, vcc_lo, s4
	s_wait_alu 0xfffe
	s_and_saveexec_b32 s34, s4
	s_cbranch_execz .LBB0_206
; %bb.205:                              ;   in Loop: Header=BB0_12 Depth=1
	v_add_nc_u32_e32 v9, 0, v113
	v_add_nc_u32_e32 v7, v72, v113
	ds_load_2addr_b32 v[1:2], v9 offset0:32 offset1:33
	ds_load_2addr_stride64_b32 v[3:4], v7 offset1:9
	v_add_nc_u32_e32 v5, 0x80, v9
	ds_load_2addr_stride64_b32 v[5:6], v5 offset0:9 offset1:18
	ds_load_2addr_stride64_b32 v[7:8], v7 offset0:18 offset1:27
	ds_load_b32 v9, v9 offset:7040
	s_wait_dscnt 0x3
	v_fma_mix_f32 v10, v1, v3, 0 op_sel_hi:[0,1,0]
	v_fma_mix_f32 v1, v1, v3, 0 op_sel:[0,1,0] op_sel_hi:[0,1,0]
	s_wait_dscnt 0x2
	s_delay_alu instid0(VALU_DEP_2) | instskip(NEXT) | instid1(VALU_DEP_2)
	v_fma_mix_f32 v3, v5, v4, v10 op_sel_hi:[0,1,0]
	v_fma_mix_f32 v1, v5, v4, v1 op_sel:[0,1,0] op_sel_hi:[0,1,0]
	s_wait_dscnt 0x1
	s_delay_alu instid0(VALU_DEP_2) | instskip(NEXT) | instid1(VALU_DEP_2)
	;; [unrolled: 4-line block ×3, first 2 shown]
	v_fma_mix_f32 v3, v9, v8, v3 op_sel_hi:[0,1,0]
	v_fma_mix_f32 v4, v9, v8, v1 op_sel:[0,1,0] op_sel_hi:[0,1,0]
	s_delay_alu instid0(VALU_DEP_2) | instskip(NEXT) | instid1(VALU_DEP_2)
	v_div_scale_f32 v5, null, v2, v2, v3
	v_div_scale_f32 v6, null, v2, v2, v4
	v_div_scale_f32 v10, vcc_lo, v3, v2, v3
	s_delay_alu instid0(VALU_DEP_3) | instskip(NEXT) | instid1(VALU_DEP_2)
	v_rcp_f32_e32 v7, v5
	v_rcp_f32_e32 v8, v6
	v_div_scale_f32 v11, s4, v4, v2, v4
	s_delay_alu instid0(TRANS32_DEP_2) | instskip(NEXT) | instid1(TRANS32_DEP_1)
	v_fma_f32 v1, -v5, v7, 1.0
	v_fma_f32 v9, -v6, v8, 1.0
	s_delay_alu instid0(VALU_DEP_2) | instskip(NEXT) | instid1(VALU_DEP_2)
	v_fmac_f32_e32 v7, v1, v7
	v_fmac_f32_e32 v8, v9, v8
	v_mad_co_u64_u32 v[0:1], null, v0, s25, v[55:56]
	s_delay_alu instid0(VALU_DEP_2) | instskip(NEXT) | instid1(VALU_DEP_2)
	v_dual_mul_f32 v9, v10, v7 :: v_dual_mul_f32 v12, v11, v8
	v_lshl_add_u32 v0, v0, 5, v36
	s_delay_alu instid0(VALU_DEP_2) | instskip(NEXT) | instid1(VALU_DEP_3)
	v_fma_f32 v1, -v5, v9, v10
	v_fma_f32 v13, -v6, v12, v11
	s_delay_alu instid0(VALU_DEP_2) | instskip(NEXT) | instid1(VALU_DEP_2)
	v_fmac_f32_e32 v9, v1, v7
	v_fmac_f32_e32 v12, v13, v8
	v_ashrrev_i32_e32 v1, 31, v0
	s_delay_alu instid0(VALU_DEP_3) | instskip(NEXT) | instid1(VALU_DEP_3)
	v_fma_f32 v5, -v5, v9, v10
	v_fma_f32 v6, -v6, v12, v11
	s_delay_alu instid0(VALU_DEP_3) | instskip(SKIP_1) | instid1(VALU_DEP_3)
	v_lshlrev_b64_e32 v[0:1], 3, v[0:1]
	s_wait_alu 0xfffd
	v_div_fmas_f32 v5, v5, v7, v9
	s_mov_b32 vcc_lo, s4
	s_wait_alu 0xfffe
	v_div_fmas_f32 v6, v6, v8, v12
	s_delay_alu instid0(VALU_DEP_2) | instskip(SKIP_1) | instid1(VALU_DEP_3)
	v_div_fixup_f32 v3, v5, v2, v3
	v_add_co_u32 v5, vcc_lo, s72, v0
	v_div_fixup_f32 v4, v6, v2, v4
	s_wait_alu 0xfffd
	v_add_co_ci_u32_e64 v6, null, s73, v1, vcc_lo
	v_mov_b32_e32 v1, 0
	global_store_b64 v[5:6], v[3:4], off
.LBB0_206:                              ;   in Loop: Header=BB0_12 Depth=1
	s_wait_alu 0xfffe
	s_or_b32 exec_lo, exec_lo, s34
	s_mov_b32 s4, -1
	s_mov_b32 s34, exec_lo
	v_cmpx_gt_i32_e32 0x47, v1
; %bb.207:                              ;   in Loop: Header=BB0_12 Depth=1
	v_cmp_eq_u32_e32 vcc_lo, 0, v1
	s_or_not1_b32 s4, vcc_lo, exec_lo
; %bb.208:                              ;   in Loop: Header=BB0_12 Depth=1
	s_wait_alu 0xfffe
	s_or_b32 exec_lo, exec_lo, s34
	s_delay_alu instid0(SALU_CYCLE_1)
	s_and_b32 exec_lo, exec_lo, s4
	s_cbranch_execz .LBB0_10
; %bb.209:                              ;   in Loop: Header=BB0_12 Depth=1
	v_dual_mov_b32 v1, 0x47 :: v_dual_add_nc_u32 v0, s94, v114
	s_delay_alu instid0(VALU_DEP_1)
	v_cmp_gt_i32_e32 vcc_lo, s24, v0
	s_and_b32 s4, vcc_lo, s3
	s_wait_alu 0xfffe
	s_and_saveexec_b32 s34, s4
	s_cbranch_execz .LBB0_211
; %bb.210:                              ;   in Loop: Header=BB0_12 Depth=1
	v_add_nc_u32_e32 v9, 0, v115
	v_add_nc_u32_e32 v7, v72, v115
	ds_load_2addr_b32 v[1:2], v9 offset0:32 offset1:33
	ds_load_2addr_stride64_b32 v[3:4], v7 offset1:9
	v_add_nc_u32_e32 v5, 0x80, v9
	ds_load_2addr_stride64_b32 v[5:6], v5 offset0:9 offset1:18
	ds_load_2addr_stride64_b32 v[7:8], v7 offset0:18 offset1:27
	ds_load_b32 v9, v9 offset:7040
	s_wait_dscnt 0x3
	v_fma_mix_f32 v10, v1, v3, 0 op_sel_hi:[0,1,0]
	v_fma_mix_f32 v1, v1, v3, 0 op_sel:[0,1,0] op_sel_hi:[0,1,0]
	s_wait_dscnt 0x2
	s_delay_alu instid0(VALU_DEP_2) | instskip(NEXT) | instid1(VALU_DEP_2)
	v_fma_mix_f32 v3, v5, v4, v10 op_sel_hi:[0,1,0]
	v_fma_mix_f32 v1, v5, v4, v1 op_sel:[0,1,0] op_sel_hi:[0,1,0]
	s_wait_dscnt 0x1
	s_delay_alu instid0(VALU_DEP_2) | instskip(NEXT) | instid1(VALU_DEP_2)
	;; [unrolled: 4-line block ×3, first 2 shown]
	v_fma_mix_f32 v3, v9, v8, v3 op_sel_hi:[0,1,0]
	v_fma_mix_f32 v4, v9, v8, v1 op_sel:[0,1,0] op_sel_hi:[0,1,0]
	s_delay_alu instid0(VALU_DEP_2) | instskip(NEXT) | instid1(VALU_DEP_2)
	v_div_scale_f32 v5, null, v2, v2, v3
	v_div_scale_f32 v6, null, v2, v2, v4
	v_div_scale_f32 v10, vcc_lo, v3, v2, v3
	s_delay_alu instid0(VALU_DEP_3) | instskip(NEXT) | instid1(VALU_DEP_2)
	v_rcp_f32_e32 v7, v5
	v_rcp_f32_e32 v8, v6
	v_div_scale_f32 v11, s4, v4, v2, v4
	s_delay_alu instid0(TRANS32_DEP_2) | instskip(NEXT) | instid1(TRANS32_DEP_1)
	v_fma_f32 v1, -v5, v7, 1.0
	v_fma_f32 v9, -v6, v8, 1.0
	s_delay_alu instid0(VALU_DEP_2) | instskip(NEXT) | instid1(VALU_DEP_2)
	v_fmac_f32_e32 v7, v1, v7
	v_fmac_f32_e32 v8, v9, v8
	v_mad_co_u64_u32 v[0:1], null, v0, s25, v[60:61]
	s_delay_alu instid0(VALU_DEP_2) | instskip(NEXT) | instid1(VALU_DEP_2)
	v_dual_mul_f32 v9, v10, v7 :: v_dual_mul_f32 v12, v11, v8
	v_lshl_add_u32 v0, v0, 5, v36
	s_delay_alu instid0(VALU_DEP_2) | instskip(NEXT) | instid1(VALU_DEP_3)
	v_fma_f32 v1, -v5, v9, v10
	v_fma_f32 v13, -v6, v12, v11
	s_delay_alu instid0(VALU_DEP_2) | instskip(NEXT) | instid1(VALU_DEP_2)
	v_fmac_f32_e32 v9, v1, v7
	v_fmac_f32_e32 v12, v13, v8
	v_ashrrev_i32_e32 v1, 31, v0
	s_delay_alu instid0(VALU_DEP_3) | instskip(NEXT) | instid1(VALU_DEP_3)
	v_fma_f32 v5, -v5, v9, v10
	v_fma_f32 v6, -v6, v12, v11
	s_delay_alu instid0(VALU_DEP_3) | instskip(SKIP_1) | instid1(VALU_DEP_3)
	v_lshlrev_b64_e32 v[0:1], 3, v[0:1]
	s_wait_alu 0xfffd
	v_div_fmas_f32 v5, v5, v7, v9
	s_mov_b32 vcc_lo, s4
	s_wait_alu 0xfffe
	v_div_fmas_f32 v6, v6, v8, v12
	s_delay_alu instid0(VALU_DEP_2) | instskip(SKIP_1) | instid1(VALU_DEP_3)
	v_div_fixup_f32 v3, v5, v2, v3
	v_add_co_u32 v5, vcc_lo, s72, v0
	v_div_fixup_f32 v4, v6, v2, v4
	s_wait_alu 0xfffd
	v_add_co_ci_u32_e64 v6, null, s73, v1, vcc_lo
	v_mov_b32_e32 v1, 0
	global_store_b64 v[5:6], v[3:4], off
.LBB0_211:                              ;   in Loop: Header=BB0_12 Depth=1
	s_wait_alu 0xfffe
	s_or_b32 exec_lo, exec_lo, s34
	s_mov_b32 s4, -1
	s_mov_b32 s34, exec_lo
	v_cmpx_gt_i32_e32 0x47, v1
; %bb.212:                              ;   in Loop: Header=BB0_12 Depth=1
	v_cmp_eq_u32_e32 vcc_lo, 0, v1
	s_or_not1_b32 s4, vcc_lo, exec_lo
; %bb.213:                              ;   in Loop: Header=BB0_12 Depth=1
	s_wait_alu 0xfffe
	s_or_b32 exec_lo, exec_lo, s34
	s_delay_alu instid0(SALU_CYCLE_1)
	s_and_b32 exec_lo, exec_lo, s4
	s_cbranch_execz .LBB0_10
; %bb.214:                              ;   in Loop: Header=BB0_12 Depth=1
	v_add_nc_u32_e32 v0, s94, v127
	v_or_b32_e32 v1, s39, v56
	s_delay_alu instid0(VALU_DEP_1) | instskip(SKIP_1) | instid1(VALU_DEP_4)
	v_cmp_gt_i32_e64 s4, s33, v1
	v_mov_b32_e32 v1, 0x47
	v_cmp_gt_i32_e32 vcc_lo, s24, v0
	s_and_b32 s4, vcc_lo, s4
	s_wait_alu 0xfffe
	s_and_saveexec_b32 s34, s4
	s_cbranch_execz .LBB0_216
; %bb.215:                              ;   in Loop: Header=BB0_12 Depth=1
	v_add_nc_u32_e32 v9, 0, v116
	v_add_nc_u32_e32 v7, v72, v116
	ds_load_2addr_b32 v[1:2], v9 offset0:32 offset1:33
	ds_load_2addr_stride64_b32 v[3:4], v7 offset1:9
	v_add_nc_u32_e32 v5, 0x80, v9
	ds_load_2addr_stride64_b32 v[5:6], v5 offset0:9 offset1:18
	ds_load_2addr_stride64_b32 v[7:8], v7 offset0:18 offset1:27
	ds_load_b32 v9, v9 offset:7040
	s_wait_dscnt 0x3
	v_fma_mix_f32 v10, v1, v3, 0 op_sel_hi:[0,1,0]
	v_fma_mix_f32 v1, v1, v3, 0 op_sel:[0,1,0] op_sel_hi:[0,1,0]
	s_wait_dscnt 0x2
	s_delay_alu instid0(VALU_DEP_2) | instskip(NEXT) | instid1(VALU_DEP_2)
	v_fma_mix_f32 v3, v5, v4, v10 op_sel_hi:[0,1,0]
	v_fma_mix_f32 v1, v5, v4, v1 op_sel:[0,1,0] op_sel_hi:[0,1,0]
	s_wait_dscnt 0x1
	s_delay_alu instid0(VALU_DEP_2) | instskip(NEXT) | instid1(VALU_DEP_2)
	;; [unrolled: 4-line block ×3, first 2 shown]
	v_fma_mix_f32 v3, v9, v8, v3 op_sel_hi:[0,1,0]
	v_fma_mix_f32 v4, v9, v8, v1 op_sel:[0,1,0] op_sel_hi:[0,1,0]
	s_delay_alu instid0(VALU_DEP_2) | instskip(NEXT) | instid1(VALU_DEP_2)
	v_div_scale_f32 v5, null, v2, v2, v3
	v_div_scale_f32 v6, null, v2, v2, v4
	v_div_scale_f32 v11, s4, v4, v2, v4
	s_delay_alu instid0(VALU_DEP_3) | instskip(NEXT) | instid1(VALU_DEP_2)
	v_rcp_f32_e32 v7, v5
	v_rcp_f32_e32 v8, v6
	v_div_scale_f32 v10, vcc_lo, v3, v2, v3
	s_delay_alu instid0(TRANS32_DEP_2) | instskip(NEXT) | instid1(TRANS32_DEP_1)
	v_fma_f32 v1, -v5, v7, 1.0
	v_fma_f32 v9, -v6, v8, 1.0
	s_delay_alu instid0(VALU_DEP_1) | instskip(NEXT) | instid1(VALU_DEP_3)
	v_fmac_f32_e32 v8, v9, v8
	v_fmac_f32_e32 v7, v1, v7
	v_mad_co_u64_u32 v[0:1], null, v0, s25, v[56:57]
	s_delay_alu instid0(VALU_DEP_3) | instskip(NEXT) | instid1(VALU_DEP_2)
	v_mul_f32_e32 v12, v11, v8
	v_lshl_add_u32 v0, v0, 5, v36
	s_delay_alu instid0(VALU_DEP_2) | instskip(NEXT) | instid1(VALU_DEP_1)
	v_fma_f32 v13, -v6, v12, v11
	v_dual_mul_f32 v9, v10, v7 :: v_dual_fmac_f32 v12, v13, v8
	s_delay_alu instid0(VALU_DEP_1) | instskip(NEXT) | instid1(VALU_DEP_2)
	v_fma_f32 v1, -v5, v9, v10
	v_fma_f32 v6, -v6, v12, v11
	s_delay_alu instid0(VALU_DEP_2) | instskip(SKIP_1) | instid1(VALU_DEP_2)
	v_fmac_f32_e32 v9, v1, v7
	v_ashrrev_i32_e32 v1, 31, v0
	v_fma_f32 v5, -v5, v9, v10
	s_delay_alu instid0(VALU_DEP_2) | instskip(SKIP_1) | instid1(VALU_DEP_2)
	v_lshlrev_b64_e32 v[0:1], 3, v[0:1]
	s_wait_alu 0xfffd
	v_div_fmas_f32 v5, v5, v7, v9
	s_mov_b32 vcc_lo, s4
	s_wait_alu 0xfffe
	v_div_fmas_f32 v6, v6, v8, v12
	s_delay_alu instid0(VALU_DEP_2) | instskip(SKIP_1) | instid1(VALU_DEP_3)
	v_div_fixup_f32 v3, v5, v2, v3
	v_add_co_u32 v5, vcc_lo, s72, v0
	v_div_fixup_f32 v4, v6, v2, v4
	s_wait_alu 0xfffd
	v_add_co_ci_u32_e64 v6, null, s73, v1, vcc_lo
	v_mov_b32_e32 v1, 0
	global_store_b64 v[5:6], v[3:4], off
.LBB0_216:                              ;   in Loop: Header=BB0_12 Depth=1
	s_wait_alu 0xfffe
	s_or_b32 exec_lo, exec_lo, s34
	s_mov_b32 s4, -1
	s_mov_b32 s34, exec_lo
	v_cmpx_gt_i32_e32 0x47, v1
; %bb.217:                              ;   in Loop: Header=BB0_12 Depth=1
	v_cmp_eq_u32_e32 vcc_lo, 0, v1
	s_or_not1_b32 s4, vcc_lo, exec_lo
; %bb.218:                              ;   in Loop: Header=BB0_12 Depth=1
	s_wait_alu 0xfffe
	s_or_b32 exec_lo, exec_lo, s34
	s_delay_alu instid0(SALU_CYCLE_1)
	s_and_b32 exec_lo, exec_lo, s4
	s_cbranch_execz .LBB0_10
; %bb.219:                              ;   in Loop: Header=BB0_12 Depth=1
	v_dual_mov_b32 v1, 0x47 :: v_dual_add_nc_u32 v0, s94, v117
	s_delay_alu instid0(VALU_DEP_1)
	v_cmp_gt_i32_e32 vcc_lo, s24, v0
	s_and_b32 s4, vcc_lo, s3
	s_wait_alu 0xfffe
	s_and_saveexec_b32 s34, s4
	s_cbranch_execz .LBB0_221
; %bb.220:                              ;   in Loop: Header=BB0_12 Depth=1
	v_add_nc_u32_e32 v9, 0, v118
	v_add_nc_u32_e32 v7, v72, v118
	ds_load_2addr_b32 v[1:2], v9 offset0:32 offset1:33
	ds_load_2addr_stride64_b32 v[3:4], v7 offset1:9
	v_add_nc_u32_e32 v5, 0x80, v9
	ds_load_2addr_stride64_b32 v[5:6], v5 offset0:9 offset1:18
	ds_load_2addr_stride64_b32 v[7:8], v7 offset0:18 offset1:27
	ds_load_b32 v9, v9 offset:7040
	s_wait_dscnt 0x3
	v_fma_mix_f32 v10, v1, v3, 0 op_sel_hi:[0,1,0]
	v_fma_mix_f32 v1, v1, v3, 0 op_sel:[0,1,0] op_sel_hi:[0,1,0]
	s_wait_dscnt 0x2
	s_delay_alu instid0(VALU_DEP_2) | instskip(NEXT) | instid1(VALU_DEP_2)
	v_fma_mix_f32 v3, v5, v4, v10 op_sel_hi:[0,1,0]
	v_fma_mix_f32 v1, v5, v4, v1 op_sel:[0,1,0] op_sel_hi:[0,1,0]
	s_wait_dscnt 0x1
	s_delay_alu instid0(VALU_DEP_2) | instskip(NEXT) | instid1(VALU_DEP_2)
	;; [unrolled: 4-line block ×3, first 2 shown]
	v_fma_mix_f32 v3, v9, v8, v3 op_sel_hi:[0,1,0]
	v_fma_mix_f32 v4, v9, v8, v1 op_sel:[0,1,0] op_sel_hi:[0,1,0]
	s_delay_alu instid0(VALU_DEP_2) | instskip(NEXT) | instid1(VALU_DEP_2)
	v_div_scale_f32 v5, null, v2, v2, v3
	v_div_scale_f32 v6, null, v2, v2, v4
	v_div_scale_f32 v10, vcc_lo, v3, v2, v3
	s_delay_alu instid0(VALU_DEP_3) | instskip(NEXT) | instid1(VALU_DEP_2)
	v_rcp_f32_e32 v7, v5
	v_rcp_f32_e32 v8, v6
	v_div_scale_f32 v11, s4, v4, v2, v4
	s_delay_alu instid0(TRANS32_DEP_2) | instskip(NEXT) | instid1(TRANS32_DEP_1)
	v_fma_f32 v1, -v5, v7, 1.0
	v_fma_f32 v9, -v6, v8, 1.0
	s_delay_alu instid0(VALU_DEP_2) | instskip(NEXT) | instid1(VALU_DEP_2)
	v_fmac_f32_e32 v7, v1, v7
	v_fmac_f32_e32 v8, v9, v8
	v_mad_co_u64_u32 v[0:1], null, v0, s25, v[60:61]
	s_delay_alu instid0(VALU_DEP_2) | instskip(NEXT) | instid1(VALU_DEP_2)
	v_dual_mul_f32 v9, v10, v7 :: v_dual_mul_f32 v12, v11, v8
	v_lshl_add_u32 v0, v0, 5, v36
	s_delay_alu instid0(VALU_DEP_2) | instskip(NEXT) | instid1(VALU_DEP_3)
	v_fma_f32 v1, -v5, v9, v10
	v_fma_f32 v13, -v6, v12, v11
	s_delay_alu instid0(VALU_DEP_2) | instskip(NEXT) | instid1(VALU_DEP_2)
	v_fmac_f32_e32 v9, v1, v7
	v_fmac_f32_e32 v12, v13, v8
	v_ashrrev_i32_e32 v1, 31, v0
	s_delay_alu instid0(VALU_DEP_3) | instskip(NEXT) | instid1(VALU_DEP_3)
	v_fma_f32 v5, -v5, v9, v10
	v_fma_f32 v6, -v6, v12, v11
	s_delay_alu instid0(VALU_DEP_3) | instskip(SKIP_1) | instid1(VALU_DEP_3)
	v_lshlrev_b64_e32 v[0:1], 3, v[0:1]
	s_wait_alu 0xfffd
	v_div_fmas_f32 v5, v5, v7, v9
	s_mov_b32 vcc_lo, s4
	s_wait_alu 0xfffe
	v_div_fmas_f32 v6, v6, v8, v12
	s_delay_alu instid0(VALU_DEP_2) | instskip(SKIP_1) | instid1(VALU_DEP_3)
	v_div_fixup_f32 v3, v5, v2, v3
	v_add_co_u32 v5, vcc_lo, s72, v0
	v_div_fixup_f32 v4, v6, v2, v4
	s_wait_alu 0xfffd
	v_add_co_ci_u32_e64 v6, null, s73, v1, vcc_lo
	v_mov_b32_e32 v1, 0
	global_store_b64 v[5:6], v[3:4], off
.LBB0_221:                              ;   in Loop: Header=BB0_12 Depth=1
	s_wait_alu 0xfffe
	s_or_b32 exec_lo, exec_lo, s34
	s_mov_b32 s4, -1
	s_mov_b32 s34, exec_lo
	v_cmpx_gt_i32_e32 0x47, v1
; %bb.222:                              ;   in Loop: Header=BB0_12 Depth=1
	v_cmp_eq_u32_e32 vcc_lo, 0, v1
	s_or_not1_b32 s4, vcc_lo, exec_lo
; %bb.223:                              ;   in Loop: Header=BB0_12 Depth=1
	s_wait_alu 0xfffe
	s_or_b32 exec_lo, exec_lo, s34
	s_delay_alu instid0(SALU_CYCLE_1)
	s_and_b32 exec_lo, exec_lo, s4
	s_cbranch_execz .LBB0_10
; %bb.224:                              ;   in Loop: Header=BB0_12 Depth=1
	v_add_nc_u32_e32 v0, s94, v128
	v_or_b32_e32 v1, s39, v57
	s_delay_alu instid0(VALU_DEP_1) | instskip(SKIP_1) | instid1(VALU_DEP_4)
	v_cmp_gt_i32_e64 s4, s33, v1
	v_mov_b32_e32 v1, 0x47
	v_cmp_gt_i32_e32 vcc_lo, s24, v0
	s_and_b32 s4, vcc_lo, s4
	s_wait_alu 0xfffe
	s_and_saveexec_b32 s34, s4
	s_cbranch_execz .LBB0_226
; %bb.225:                              ;   in Loop: Header=BB0_12 Depth=1
	v_add_nc_u32_e32 v9, 0, v119
	v_add_nc_u32_e32 v7, v72, v119
	ds_load_2addr_b32 v[1:2], v9 offset0:32 offset1:33
	ds_load_2addr_stride64_b32 v[3:4], v7 offset1:9
	v_add_nc_u32_e32 v5, 0x80, v9
	ds_load_2addr_stride64_b32 v[5:6], v5 offset0:9 offset1:18
	ds_load_2addr_stride64_b32 v[7:8], v7 offset0:18 offset1:27
	ds_load_b32 v9, v9 offset:7040
	s_wait_dscnt 0x3
	v_fma_mix_f32 v10, v1, v3, 0 op_sel_hi:[0,1,0]
	v_fma_mix_f32 v1, v1, v3, 0 op_sel:[0,1,0] op_sel_hi:[0,1,0]
	s_wait_dscnt 0x2
	s_delay_alu instid0(VALU_DEP_2) | instskip(NEXT) | instid1(VALU_DEP_2)
	v_fma_mix_f32 v3, v5, v4, v10 op_sel_hi:[0,1,0]
	v_fma_mix_f32 v1, v5, v4, v1 op_sel:[0,1,0] op_sel_hi:[0,1,0]
	s_wait_dscnt 0x1
	s_delay_alu instid0(VALU_DEP_2) | instskip(NEXT) | instid1(VALU_DEP_2)
	;; [unrolled: 4-line block ×3, first 2 shown]
	v_fma_mix_f32 v3, v9, v8, v3 op_sel_hi:[0,1,0]
	v_fma_mix_f32 v4, v9, v8, v1 op_sel:[0,1,0] op_sel_hi:[0,1,0]
	s_delay_alu instid0(VALU_DEP_2) | instskip(NEXT) | instid1(VALU_DEP_2)
	v_div_scale_f32 v5, null, v2, v2, v3
	v_div_scale_f32 v6, null, v2, v2, v4
	v_div_scale_f32 v10, vcc_lo, v3, v2, v3
	s_delay_alu instid0(VALU_DEP_3) | instskip(NEXT) | instid1(VALU_DEP_2)
	v_rcp_f32_e32 v7, v5
	v_rcp_f32_e32 v8, v6
	v_div_scale_f32 v11, s4, v4, v2, v4
	s_delay_alu instid0(TRANS32_DEP_2) | instskip(NEXT) | instid1(TRANS32_DEP_1)
	v_fma_f32 v1, -v5, v7, 1.0
	v_fma_f32 v9, -v6, v8, 1.0
	s_delay_alu instid0(VALU_DEP_2) | instskip(NEXT) | instid1(VALU_DEP_2)
	v_fmac_f32_e32 v7, v1, v7
	v_fmac_f32_e32 v8, v9, v8
	v_mad_co_u64_u32 v[0:1], null, v0, s25, v[57:58]
	s_delay_alu instid0(VALU_DEP_2) | instskip(NEXT) | instid1(VALU_DEP_2)
	v_dual_mul_f32 v9, v10, v7 :: v_dual_mul_f32 v12, v11, v8
	v_lshl_add_u32 v0, v0, 5, v36
	s_delay_alu instid0(VALU_DEP_2) | instskip(NEXT) | instid1(VALU_DEP_3)
	v_fma_f32 v1, -v5, v9, v10
	v_fma_f32 v13, -v6, v12, v11
	s_delay_alu instid0(VALU_DEP_2) | instskip(NEXT) | instid1(VALU_DEP_2)
	v_fmac_f32_e32 v9, v1, v7
	v_fmac_f32_e32 v12, v13, v8
	v_ashrrev_i32_e32 v1, 31, v0
	s_delay_alu instid0(VALU_DEP_3) | instskip(NEXT) | instid1(VALU_DEP_3)
	v_fma_f32 v5, -v5, v9, v10
	v_fma_f32 v6, -v6, v12, v11
	s_delay_alu instid0(VALU_DEP_3) | instskip(SKIP_1) | instid1(VALU_DEP_3)
	v_lshlrev_b64_e32 v[0:1], 3, v[0:1]
	s_wait_alu 0xfffd
	v_div_fmas_f32 v5, v5, v7, v9
	s_mov_b32 vcc_lo, s4
	s_wait_alu 0xfffe
	v_div_fmas_f32 v6, v6, v8, v12
	s_delay_alu instid0(VALU_DEP_2) | instskip(SKIP_1) | instid1(VALU_DEP_3)
	v_div_fixup_f32 v3, v5, v2, v3
	v_add_co_u32 v5, vcc_lo, s72, v0
	v_div_fixup_f32 v4, v6, v2, v4
	s_wait_alu 0xfffd
	v_add_co_ci_u32_e64 v6, null, s73, v1, vcc_lo
	v_mov_b32_e32 v1, 0
	global_store_b64 v[5:6], v[3:4], off
.LBB0_226:                              ;   in Loop: Header=BB0_12 Depth=1
	s_wait_alu 0xfffe
	s_or_b32 exec_lo, exec_lo, s34
	s_mov_b32 s4, -1
	s_mov_b32 s34, exec_lo
	v_cmpx_gt_i32_e32 0x47, v1
; %bb.227:                              ;   in Loop: Header=BB0_12 Depth=1
	v_cmp_eq_u32_e32 vcc_lo, 0, v1
	s_or_not1_b32 s4, vcc_lo, exec_lo
; %bb.228:                              ;   in Loop: Header=BB0_12 Depth=1
	s_wait_alu 0xfffe
	s_or_b32 exec_lo, exec_lo, s34
	s_delay_alu instid0(SALU_CYCLE_1)
	s_and_b32 exec_lo, exec_lo, s4
	s_cbranch_execz .LBB0_10
; %bb.229:                              ;   in Loop: Header=BB0_12 Depth=1
	v_dual_mov_b32 v1, 0x47 :: v_dual_add_nc_u32 v0, s94, v120
	s_delay_alu instid0(VALU_DEP_1)
	v_cmp_gt_i32_e32 vcc_lo, s24, v0
	s_and_b32 s3, vcc_lo, s3
	s_wait_alu 0xfffe
	s_and_saveexec_b32 s4, s3
	s_cbranch_execz .LBB0_231
; %bb.230:                              ;   in Loop: Header=BB0_12 Depth=1
	v_add_nc_u32_e32 v9, 0, v121
	v_add_nc_u32_e32 v7, v72, v121
	ds_load_2addr_b32 v[1:2], v9 offset0:32 offset1:33
	ds_load_2addr_stride64_b32 v[3:4], v7 offset1:9
	v_add_nc_u32_e32 v5, 0x80, v9
	ds_load_2addr_stride64_b32 v[5:6], v5 offset0:9 offset1:18
	ds_load_2addr_stride64_b32 v[7:8], v7 offset0:18 offset1:27
	ds_load_b32 v9, v9 offset:7040
	s_wait_dscnt 0x3
	v_fma_mix_f32 v10, v1, v3, 0 op_sel_hi:[0,1,0]
	v_fma_mix_f32 v1, v1, v3, 0 op_sel:[0,1,0] op_sel_hi:[0,1,0]
	s_wait_dscnt 0x2
	s_delay_alu instid0(VALU_DEP_2) | instskip(NEXT) | instid1(VALU_DEP_2)
	v_fma_mix_f32 v3, v5, v4, v10 op_sel_hi:[0,1,0]
	v_fma_mix_f32 v1, v5, v4, v1 op_sel:[0,1,0] op_sel_hi:[0,1,0]
	s_wait_dscnt 0x1
	s_delay_alu instid0(VALU_DEP_2) | instskip(NEXT) | instid1(VALU_DEP_2)
	;; [unrolled: 4-line block ×3, first 2 shown]
	v_fma_mix_f32 v3, v9, v8, v3 op_sel_hi:[0,1,0]
	v_fma_mix_f32 v4, v9, v8, v1 op_sel:[0,1,0] op_sel_hi:[0,1,0]
	s_delay_alu instid0(VALU_DEP_2) | instskip(NEXT) | instid1(VALU_DEP_2)
	v_div_scale_f32 v5, null, v2, v2, v3
	v_div_scale_f32 v6, null, v2, v2, v4
	v_div_scale_f32 v10, vcc_lo, v3, v2, v3
	s_delay_alu instid0(VALU_DEP_3) | instskip(NEXT) | instid1(VALU_DEP_2)
	v_rcp_f32_e32 v7, v5
	v_rcp_f32_e32 v8, v6
	v_div_scale_f32 v11, s3, v4, v2, v4
	s_delay_alu instid0(TRANS32_DEP_2) | instskip(NEXT) | instid1(TRANS32_DEP_1)
	v_fma_f32 v1, -v5, v7, 1.0
	v_fma_f32 v9, -v6, v8, 1.0
	s_delay_alu instid0(VALU_DEP_2) | instskip(NEXT) | instid1(VALU_DEP_2)
	v_fmac_f32_e32 v7, v1, v7
	v_fmac_f32_e32 v8, v9, v8
	v_mad_co_u64_u32 v[0:1], null, v0, s25, v[60:61]
	s_delay_alu instid0(VALU_DEP_2) | instskip(NEXT) | instid1(VALU_DEP_2)
	v_dual_mul_f32 v9, v10, v7 :: v_dual_mul_f32 v12, v11, v8
	v_lshl_add_u32 v0, v0, 5, v36
	s_delay_alu instid0(VALU_DEP_2) | instskip(NEXT) | instid1(VALU_DEP_3)
	v_fma_f32 v1, -v5, v9, v10
	v_fma_f32 v13, -v6, v12, v11
	s_delay_alu instid0(VALU_DEP_2) | instskip(NEXT) | instid1(VALU_DEP_2)
	v_fmac_f32_e32 v9, v1, v7
	v_fmac_f32_e32 v12, v13, v8
	v_ashrrev_i32_e32 v1, 31, v0
	s_delay_alu instid0(VALU_DEP_3) | instskip(NEXT) | instid1(VALU_DEP_3)
	v_fma_f32 v5, -v5, v9, v10
	v_fma_f32 v6, -v6, v12, v11
	s_delay_alu instid0(VALU_DEP_3) | instskip(SKIP_1) | instid1(VALU_DEP_3)
	v_lshlrev_b64_e32 v[0:1], 3, v[0:1]
	s_wait_alu 0xfffd
	v_div_fmas_f32 v5, v5, v7, v9
	s_mov_b32 vcc_lo, s3
	s_wait_alu 0xfffe
	v_div_fmas_f32 v6, v6, v8, v12
	s_delay_alu instid0(VALU_DEP_2) | instskip(SKIP_1) | instid1(VALU_DEP_3)
	v_div_fixup_f32 v3, v5, v2, v3
	v_add_co_u32 v5, vcc_lo, s72, v0
	v_div_fixup_f32 v4, v6, v2, v4
	s_wait_alu 0xfffd
	v_add_co_ci_u32_e64 v6, null, s73, v1, vcc_lo
	v_mov_b32_e32 v1, 0
	global_store_b64 v[5:6], v[3:4], off
.LBB0_231:                              ;   in Loop: Header=BB0_12 Depth=1
	s_wait_alu 0xfffe
	s_or_b32 exec_lo, exec_lo, s4
	s_mov_b32 s3, -1
	s_mov_b32 s4, exec_lo
	v_cmpx_gt_i32_e32 0x47, v1
; %bb.232:                              ;   in Loop: Header=BB0_12 Depth=1
	v_cmp_eq_u32_e32 vcc_lo, 0, v1
	s_or_not1_b32 s3, vcc_lo, exec_lo
; %bb.233:                              ;   in Loop: Header=BB0_12 Depth=1
	s_wait_alu 0xfffe
	s_or_b32 exec_lo, exec_lo, s4
	s_delay_alu instid0(SALU_CYCLE_1)
	s_and_b32 exec_lo, exec_lo, s3
	s_cbranch_execz .LBB0_10
; %bb.234:                              ;   in Loop: Header=BB0_12 Depth=1
	v_add_nc_u32_e32 v0, s94, v129
	v_or_b32_e32 v1, s39, v58
	s_delay_alu instid0(VALU_DEP_2) | instskip(NEXT) | instid1(VALU_DEP_2)
	v_cmp_gt_i32_e32 vcc_lo, s24, v0
	v_cmp_gt_i32_e64 s3, s33, v1
	s_and_b32 s3, vcc_lo, s3
	s_wait_alu 0xfffe
	s_and_b32 exec_lo, exec_lo, s3
	s_cbranch_execz .LBB0_10
; %bb.235:                              ;   in Loop: Header=BB0_12 Depth=1
	v_add_nc_u32_e32 v9, 0, v122
	v_add_nc_u32_e32 v7, v72, v122
	ds_load_2addr_b32 v[1:2], v9 offset0:32 offset1:33
	ds_load_2addr_stride64_b32 v[3:4], v7 offset1:9
	v_add_nc_u32_e32 v5, 0x80, v9
	ds_load_2addr_stride64_b32 v[5:6], v5 offset0:9 offset1:18
	ds_load_2addr_stride64_b32 v[7:8], v7 offset0:18 offset1:27
	ds_load_b32 v9, v9 offset:7040
	s_wait_dscnt 0x3
	v_fma_mix_f32 v10, v1, v3, 0 op_sel_hi:[0,1,0]
	v_fma_mix_f32 v1, v1, v3, 0 op_sel:[0,1,0] op_sel_hi:[0,1,0]
	s_wait_dscnt 0x2
	s_delay_alu instid0(VALU_DEP_2) | instskip(NEXT) | instid1(VALU_DEP_2)
	v_fma_mix_f32 v3, v5, v4, v10 op_sel_hi:[0,1,0]
	v_fma_mix_f32 v1, v5, v4, v1 op_sel:[0,1,0] op_sel_hi:[0,1,0]
	s_wait_dscnt 0x1
	s_delay_alu instid0(VALU_DEP_2) | instskip(NEXT) | instid1(VALU_DEP_2)
	;; [unrolled: 4-line block ×3, first 2 shown]
	v_fma_mix_f32 v3, v9, v8, v3 op_sel_hi:[0,1,0]
	v_fma_mix_f32 v4, v9, v8, v1 op_sel:[0,1,0] op_sel_hi:[0,1,0]
	s_delay_alu instid0(VALU_DEP_2) | instskip(NEXT) | instid1(VALU_DEP_2)
	v_div_scale_f32 v5, null, v2, v2, v3
	v_div_scale_f32 v6, null, v2, v2, v4
	v_div_scale_f32 v10, vcc_lo, v3, v2, v3
	s_delay_alu instid0(VALU_DEP_3) | instskip(NEXT) | instid1(VALU_DEP_2)
	v_rcp_f32_e32 v7, v5
	v_rcp_f32_e32 v8, v6
	v_div_scale_f32 v11, s3, v4, v2, v4
	s_delay_alu instid0(TRANS32_DEP_2) | instskip(NEXT) | instid1(TRANS32_DEP_1)
	v_fma_f32 v1, -v5, v7, 1.0
	v_fma_f32 v9, -v6, v8, 1.0
	s_delay_alu instid0(VALU_DEP_2) | instskip(NEXT) | instid1(VALU_DEP_2)
	v_fmac_f32_e32 v7, v1, v7
	v_fmac_f32_e32 v8, v9, v8
	v_mad_co_u64_u32 v[0:1], null, v0, s25, v[58:59]
	s_delay_alu instid0(VALU_DEP_2) | instskip(NEXT) | instid1(VALU_DEP_2)
	v_dual_mul_f32 v9, v10, v7 :: v_dual_mul_f32 v12, v11, v8
	v_lshl_add_u32 v0, v0, 5, v36
	s_delay_alu instid0(VALU_DEP_2) | instskip(NEXT) | instid1(VALU_DEP_3)
	v_fma_f32 v1, -v5, v9, v10
	v_fma_f32 v13, -v6, v12, v11
	s_delay_alu instid0(VALU_DEP_2) | instskip(NEXT) | instid1(VALU_DEP_2)
	v_fmac_f32_e32 v9, v1, v7
	v_fmac_f32_e32 v12, v13, v8
	v_ashrrev_i32_e32 v1, 31, v0
	s_delay_alu instid0(VALU_DEP_3) | instskip(NEXT) | instid1(VALU_DEP_3)
	v_fma_f32 v5, -v5, v9, v10
	v_fma_f32 v6, -v6, v12, v11
	s_delay_alu instid0(VALU_DEP_3) | instskip(SKIP_1) | instid1(VALU_DEP_3)
	v_lshlrev_b64_e32 v[0:1], 3, v[0:1]
	s_wait_alu 0xfffd
	v_div_fmas_f32 v5, v5, v7, v9
	s_mov_b32 vcc_lo, s3
	s_wait_alu 0xfffe
	v_div_fmas_f32 v6, v6, v8, v12
	v_add_co_u32 v0, vcc_lo, s72, v0
	v_div_fixup_f32 v3, v5, v2, v3
	s_wait_alu 0xfffd
	v_add_co_ci_u32_e64 v1, null, s73, v1, vcc_lo
	v_div_fixup_f32 v4, v6, v2, v4
	global_store_b64 v[0:1], v[3:4], off
	s_branch .LBB0_10
.LBB0_236:
	v_readlane_b32 s50, v207, 1
	v_readlane_b32 s67, v207, 9
	;; [unrolled: 1-line block ×6, first 2 shown]
	s_and_not1_b32 vcc_lo, exec_lo, s3
	s_wait_alu 0xfffe
	s_cbranch_vccnz .LBB0_8
.LBB0_237:
	s_abs_i32 s0, s99
	s_abs_i32 s3, s48
	s_wait_alu 0xfffe
	s_cvt_f32_u32 s1, s0
	s_sub_co_i32 s2, 0, s0
	v_mov_b32_e32 v18, s46
	s_wait_alu 0xfffe
	v_rcp_iflag_f32_e32 v0, s1
	s_delay_alu instid0(TRANS32_DEP_1) | instskip(SKIP_2) | instid1(SALU_CYCLE_2)
	v_readfirstlane_b32 s1, v0
	s_mul_f32 s1, s1, 0x4f7ffffe
	s_wait_alu 0xfffe
	s_cvt_u32_f32 s1, s1
	s_wait_alu 0xfffe
	s_delay_alu instid0(SALU_CYCLE_2)
	s_mul_i32 s2, s2, s1
	s_wait_alu 0xfffe
	s_mul_hi_u32 s2, s1, s2
	s_wait_alu 0xfffe
	s_add_co_i32 s1, s1, s2
	s_xor_b32 s2, s48, s99
	s_wait_alu 0xfffe
	s_mul_hi_u32 s1, s3, s1
	s_ashr_i32 s2, s2, 31
	s_wait_alu 0xfffe
	s_mul_i32 s4, s1, s0
	s_wait_alu 0xfffe
	s_sub_co_i32 s3, s3, s4
	s_add_co_i32 s4, s1, 1
	s_wait_alu 0xfffe
	s_sub_co_i32 s5, s3, s0
	s_cmp_ge_u32 s3, s0
	s_cselect_b32 s1, s4, s1
	s_wait_alu 0xfffe
	s_cselect_b32 s3, s5, s3
	s_add_co_i32 s4, s1, 1
	s_wait_alu 0xfffe
	s_cmp_ge_u32 s3, s0
	s_cselect_b32 s0, s4, s1
	s_abs_i32 s1, s98
	s_wait_alu 0xfffe
	s_xor_b32 s0, s0, s2
	s_cvt_f32_u32 s3, s1
	s_wait_alu 0xfffe
	s_sub_co_i32 s2, s0, s2
	s_sub_co_i32 s0, 0, s1
	s_wait_alu 0xfffe
	s_mul_i32 s4, s2, s99
	v_rcp_iflag_f32_e32 v0, s3
	s_wait_alu 0xfffe
	s_sub_co_i32 s4, s48, s4
	s_wait_alu 0xfffe
	s_abs_i32 s5, s4
	s_delay_alu instid0(TRANS32_DEP_1) | instskip(SKIP_2) | instid1(SALU_CYCLE_2)
	v_readfirstlane_b32 s3, v0
	s_mul_f32 s3, s3, 0x4f7ffffe
	s_wait_alu 0xfffe
	s_cvt_u32_f32 s3, s3
	s_wait_alu 0xfffe
	s_delay_alu instid0(SALU_CYCLE_2)
	s_mul_i32 s0, s0, s3
	s_wait_alu 0xfffe
	s_mul_hi_u32 s0, s3, s0
	s_wait_alu 0xfffe
	s_add_co_i32 s3, s3, s0
	s_wait_alu 0xfffe
	s_mul_hi_u32 s0, s5, s3
	s_xor_b32 s3, s4, s98
	s_wait_alu 0xfffe
	s_mul_i32 s16, s0, s1
	s_ashr_i32 s3, s3, 31
	s_sub_co_i32 s5, s5, s16
	s_add_co_i32 s16, s0, 1
	s_wait_alu 0xfffe
	s_sub_co_i32 s17, s5, s1
	s_cmp_ge_u32 s5, s1
	s_cselect_b32 s0, s16, s0
	s_cselect_b32 s5, s17, s5
	s_wait_alu 0xfffe
	s_add_co_i32 s16, s0, 1
	s_cmp_ge_u32 s5, s1
	s_cselect_b32 s0, s16, s0
	s_abs_i32 s1, s97
	s_wait_alu 0xfffe
	s_xor_b32 s0, s0, s3
	s_cvt_f32_u32 s5, s1
	s_wait_alu 0xfffe
	s_sub_co_i32 s20, s0, s3
	s_sub_co_i32 s0, 0, s1
	s_mul_i32 s3, s20, s98
	v_rcp_iflag_f32_e32 v0, s5
	s_wait_alu 0xfffe
	s_sub_co_i32 s3, s4, s3
	s_wait_alu 0xfffe
	s_abs_i32 s4, s3
	s_delay_alu instid0(TRANS32_DEP_1) | instskip(SKIP_2) | instid1(SALU_CYCLE_2)
	v_readfirstlane_b32 s5, v0
	s_mul_f32 s5, s5, 0x4f7ffffe
	s_wait_alu 0xfffe
	s_cvt_u32_f32 s5, s5
	s_wait_alu 0xfffe
	s_delay_alu instid0(SALU_CYCLE_2)
	s_mul_i32 s0, s0, s5
	s_wait_alu 0xfffe
	s_mul_hi_u32 s0, s5, s0
	s_wait_alu 0xfffe
	s_add_co_i32 s5, s5, s0
	s_wait_alu 0xfffe
	s_mul_hi_u32 s0, s4, s5
	s_xor_b32 s5, s3, s97
	s_wait_alu 0xfffe
	s_mul_i32 s16, s0, s1
	s_ashr_i32 s5, s5, 31
	s_sub_co_i32 s4, s4, s16
	s_add_co_i32 s16, s0, 1
	s_wait_alu 0xfffe
	s_sub_co_i32 s17, s4, s1
	s_cmp_ge_u32 s4, s1
	s_cselect_b32 s0, s16, s0
	s_cselect_b32 s4, s17, s4
	s_wait_alu 0xfffe
	s_add_co_i32 s16, s0, 1
	s_cmp_ge_u32 s4, s1
	s_cselect_b32 s0, s16, s0
	s_wait_alu 0xfffe
	s_xor_b32 s0, s0, s5
	s_wait_alu 0xfffe
	s_sub_co_i32 s0, s0, s5
	s_mov_b32 s5, 0
	s_wait_alu 0xfffe
	s_mul_i32 s1, s0, s97
	s_wait_alu 0xfffe
	s_sub_co_i32 s1, s3, s1
	s_wait_alu 0xfffe
	s_abs_i32 s4, s1
	s_ashr_i32 s1, s1, 31
	s_wait_alu 0xfffe
	s_mul_u64 s[16:17], s[4:5], s[52:53]
	s_xor_b32 s1, s1, s101
	s_mul_i32 s3, s17, s55
	s_wait_alu 0xfffe
	s_sub_co_i32 s3, s4, s3
	s_add_co_i32 s4, s17, 1
	s_wait_alu 0xfffe
	s_sub_co_i32 s16, s3, s55
	s_cmp_ge_u32 s3, s55
	s_cselect_b32 s4, s4, s17
	s_cselect_b32 s3, s16, s3
	s_wait_alu 0xfffe
	s_add_co_i32 s16, s4, 1
	s_cmp_ge_u32 s3, s55
	s_cselect_b32 s3, s16, s4
	s_abs_i32 s21, s58
	s_delay_alu instid0(SALU_CYCLE_1) | instskip(SKIP_1) | instid1(SALU_CYCLE_2)
	s_cvt_f32_u32 s4, s21
	s_wait_alu 0xfffe
	v_rcp_iflag_f32_e32 v0, s4
	s_xor_b32 s4, s3, s1
	s_wait_alu 0xfffe
	s_sub_co_i32 s1, s4, s1
	s_cmp_eq_u64 s[18:19], 0
	s_delay_alu instid0(TRANS32_DEP_1)
	v_readfirstlane_b32 s3, v0
	s_cbranch_scc1 .LBB0_239
; %bb.238:
	v_readlane_b32 s4, v207, 0
	v_mov_b32_e32 v0, 0
	s_mul_i32 s4, s2, s4
	s_wait_alu 0xfffe
	s_add_co_i32 s16, s1, s4
	s_delay_alu instid0(SALU_CYCLE_1) | instskip(NEXT) | instid1(SALU_CYCLE_1)
	s_ashr_i32 s17, s16, 31
	s_lshl_b64 s[16:17], s[16:17], 2
	s_delay_alu instid0(SALU_CYCLE_1) | instskip(SKIP_3) | instid1(VALU_DEP_1)
	s_add_nc_u64 s[16:17], s[18:19], s[16:17]
	global_load_b32 v0, v0, s[16:17]
	s_wait_loadcnt 0x0
	v_ashrrev_i32_e32 v1, 31, v0
	v_lshrrev_b32_e32 v1, 26, v1
	s_delay_alu instid0(VALU_DEP_1) | instskip(NEXT) | instid1(VALU_DEP_1)
	v_add_nc_u32_e32 v0, v0, v1
	v_ashrrev_i32_e32 v0, 6, v0
	s_delay_alu instid0(VALU_DEP_1)
	v_min_i32_e32 v18, s46, v0
.LBB0_239:
	v_bfe_u32 v0, v71, 1, 9
	s_lshl_b32 s16, s0, 1
	s_wait_alu 0xfffe
	s_lshl_b32 s18, s1, 3
	v_or_b32_e32 v1, s16, v68
	s_mul_i32 s0, s2, s45
	v_add_nc_u32_e32 v0, s18, v0
	s_wait_alu 0xfffe
	s_ashr_i32 s1, s0, 31
	s_mul_i32 s4, s20, s33
	s_wait_alu 0xfffe
	s_add_nc_u64 s[8:9], s[8:9], s[0:1]
	v_cmp_le_i32_e64 s1, s33, v1
	v_cmp_le_i32_e64 s0, s24, v0
	s_add_co_i32 s4, s16, s4
	v_lshl_add_u32 v59, v36, 2, 0
	s_wait_alu 0xfffe
	s_mul_i32 s16, s4, s44
	s_and_b32 s19, 0xffff, s27
	s_wait_alu 0xfffe
	s_ashr_i32 s17, s16, 31
	s_or_b32 s0, s0, s1
	v_cmp_gt_i32_e32 vcc_lo, s33, v1
	s_wait_alu 0xfffe
	s_and_saveexec_b32 s1, s0
	s_wait_alu 0xfffe
	s_xor_b32 s0, exec_lo, s1
; %bb.240:
	v_mad_u32_u24 v0, 0x90, v65, v59
	v_mov_b32_e32 v1, 0
	ds_store_b32 v0, v1
                                        ; implicit-def: $vgpr0
; %bb.241:
	s_wait_alu 0xfffe
	s_or_saveexec_b32 s4, s0
	s_mul_f32 s1, s3, 0x4f7ffffe
	s_add_nc_u64 s[8:9], s[8:9], s[16:17]
	s_mul_i32 s16, s19, 0x10001
	s_wait_alu 0xfffe
	s_xor_b32 exec_lo, exec_lo, s4
	s_cbranch_execz .LBB0_243
; %bb.242:
	v_mul_lo_u32 v0, v0, s35
	v_mul_lo_u32 v1, v68, s67
	s_delay_alu instid0(VALU_DEP_1) | instskip(NEXT) | instid1(VALU_DEP_1)
	v_add3_u32 v0, v1, v36, v0
	v_ashrrev_i32_e32 v1, 31, v0
	s_delay_alu instid0(VALU_DEP_1) | instskip(NEXT) | instid1(VALU_DEP_1)
	v_lshlrev_b64_e32 v[0:1], 3, v[0:1]
	v_add_co_u32 v0, s0, s8, v0
	s_wait_alu 0xf1ff
	s_delay_alu instid0(VALU_DEP_2) | instskip(SKIP_4) | instid1(VALU_DEP_1)
	v_add_co_ci_u32_e64 v1, null, s9, v1, s0
	global_load_b64 v[0:1], v[0:1], off
	s_wait_loadcnt 0x0
	v_cvt_f16_f32_e32 v0, v0
	v_cvt_f16_f32_e32 v1, v1
	v_pack_b32_f16 v0, v0, v1
	v_mad_u32_u24 v1, 0x90, v65, v59
	s_delay_alu instid0(VALU_DEP_2)
	v_pk_mul_f16 v0, v0, s16
	ds_store_b32 v1, v0
.LBB0_243:
	s_or_b32 exec_lo, exec_lo, s4
	v_lshrrev_b32_e32 v0, 1, v67
	s_cvt_u32_f32 s1, s1
	s_xor_b32 s3, vcc_lo, -1
	s_sub_co_i32 s17, 0, s21
	s_delay_alu instid0(VALU_DEP_1) | instskip(NEXT) | instid1(VALU_DEP_1)
	v_add_nc_u32_e32 v0, s18, v0
	v_cmp_le_i32_e64 s0, s24, v0
	s_wait_alu 0xfffe
	s_or_b32 s0, s0, s3
	s_wait_alu 0xfffe
	s_and_saveexec_b32 s4, s0
	s_wait_alu 0xfffe
	s_xor_b32 s0, exec_lo, s4
; %bb.244:
	v_mad_u32_u24 v0, 0x90, v67, v59
	v_mov_b32_e32 v1, 0
	ds_store_b32 v0, v1
                                        ; implicit-def: $vgpr0
; %bb.245:
	s_wait_alu 0xfffe
	s_or_saveexec_b32 s4, s0
	s_mul_i32 s0, s17, s1
	s_wait_alu 0xfffe
	s_xor_b32 exec_lo, exec_lo, s4
	s_cbranch_execz .LBB0_247
; %bb.246:
	v_mul_lo_u32 v0, v0, s35
	v_mul_lo_u32 v1, v68, s67
	s_delay_alu instid0(VALU_DEP_1) | instskip(NEXT) | instid1(VALU_DEP_1)
	v_add3_u32 v0, v1, v36, v0
	v_ashrrev_i32_e32 v1, 31, v0
	s_delay_alu instid0(VALU_DEP_1) | instskip(NEXT) | instid1(VALU_DEP_1)
	v_lshlrev_b64_e32 v[0:1], 3, v[0:1]
	v_add_co_u32 v0, vcc_lo, s8, v0
	s_wait_alu 0xfffd
	s_delay_alu instid0(VALU_DEP_2) | instskip(SKIP_4) | instid1(VALU_DEP_1)
	v_add_co_ci_u32_e64 v1, null, s9, v1, vcc_lo
	global_load_b64 v[0:1], v[0:1], off
	s_wait_loadcnt 0x0
	v_cvt_f16_f32_e32 v0, v0
	v_cvt_f16_f32_e32 v1, v1
	v_pack_b32_f16 v0, v0, v1
	v_mad_u32_u24 v1, 0x90, v67, v59
	s_delay_alu instid0(VALU_DEP_2)
	v_pk_mul_f16 v0, v0, s16
	ds_store_b32 v1, v0
.LBB0_247:
	s_or_b32 exec_lo, exec_lo, s4
	v_lshrrev_b32_e32 v0, 1, v70
	s_mul_hi_u32 s0, s1, s0
	s_delay_alu instid0(VALU_DEP_1) | instskip(NEXT) | instid1(VALU_DEP_1)
	v_add_nc_u32_e32 v0, s18, v0
	v_cmp_le_i32_e32 vcc_lo, s24, v0
	s_or_b32 s4, vcc_lo, s3
	s_wait_alu 0xfffe
	s_and_saveexec_b32 s17, s4
	s_wait_alu 0xfffe
	s_xor_b32 s4, exec_lo, s17
; %bb.248:
	v_mad_u32_u24 v0, 0x90, v70, v59
	v_mov_b32_e32 v1, 0
                                        ; implicit-def: $vgpr70
	ds_store_b32 v0, v1
                                        ; implicit-def: $vgpr0
; %bb.249:
	s_wait_alu 0xfffe
	s_or_saveexec_b32 s17, s4
	s_abs_i32 s4, s2
	s_add_co_i32 s0, s1, s0
	s_wait_alu 0xfffe
	s_xor_b32 exec_lo, exec_lo, s17
	s_cbranch_execz .LBB0_251
; %bb.250:
	v_mul_lo_u32 v0, v0, s35
	v_mul_lo_u32 v1, v68, s67
	s_delay_alu instid0(VALU_DEP_1) | instskip(NEXT) | instid1(VALU_DEP_1)
	v_add3_u32 v0, v1, v36, v0
	v_ashrrev_i32_e32 v1, 31, v0
	s_delay_alu instid0(VALU_DEP_1) | instskip(NEXT) | instid1(VALU_DEP_1)
	v_lshlrev_b64_e32 v[0:1], 3, v[0:1]
	v_add_co_u32 v0, vcc_lo, s8, v0
	s_wait_alu 0xfffd
	s_delay_alu instid0(VALU_DEP_2) | instskip(SKIP_4) | instid1(VALU_DEP_1)
	v_add_co_ci_u32_e64 v1, null, s9, v1, vcc_lo
	global_load_b64 v[0:1], v[0:1], off
	s_wait_loadcnt 0x0
	v_cvt_f16_f32_e32 v0, v0
	v_cvt_f16_f32_e32 v1, v1
	v_pack_b32_f16 v0, v0, v1
	v_mad_u32_u24 v1, 0x90, v70, v59
	s_delay_alu instid0(VALU_DEP_2)
	v_pk_mul_f16 v0, v0, s16
	ds_store_b32 v1, v0
.LBB0_251:
	s_or_b32 exec_lo, exec_lo, s17
	v_lshrrev_b32_e32 v0, 1, v69
	s_mov_b32 s1, s5
	s_delay_alu instid0(VALU_DEP_1) | instskip(NEXT) | instid1(VALU_DEP_1)
	v_add_nc_u32_e32 v0, s18, v0
	v_cmp_le_i32_e32 vcc_lo, s24, v0
	s_or_b32 s3, vcc_lo, s3
	s_wait_alu 0xfffe
	s_and_saveexec_b32 s17, s3
	s_wait_alu 0xfffe
	s_xor_b32 s3, exec_lo, s17
; %bb.252:
	v_mad_u32_u24 v0, 0x90, v69, v59
	v_mov_b32_e32 v1, 0
                                        ; implicit-def: $vgpr68
                                        ; implicit-def: $vgpr69
	ds_store_b32 v0, v1
                                        ; implicit-def: $vgpr0
; %bb.253:
	s_wait_alu 0xfffe
	s_or_saveexec_b32 s17, s3
	s_mul_u64 s[0:1], s[4:5], s[0:1]
	s_ashr_i32 s3, s2, 31
	s_wait_alu 0xfffe
	s_xor_b32 exec_lo, exec_lo, s17
	s_cbranch_execz .LBB0_255
; %bb.254:
	v_mul_lo_u32 v0, v0, s35
	v_mul_lo_u32 v1, v68, s67
	s_delay_alu instid0(VALU_DEP_1) | instskip(NEXT) | instid1(VALU_DEP_1)
	v_add3_u32 v0, v1, v36, v0
	v_ashrrev_i32_e32 v1, 31, v0
	s_delay_alu instid0(VALU_DEP_1) | instskip(NEXT) | instid1(VALU_DEP_1)
	v_lshlrev_b64_e32 v[0:1], 3, v[0:1]
	v_add_co_u32 v0, vcc_lo, s8, v0
	s_wait_alu 0xfffd
	s_delay_alu instid0(VALU_DEP_2) | instskip(SKIP_4) | instid1(VALU_DEP_1)
	v_add_co_ci_u32_e64 v1, null, s9, v1, vcc_lo
	global_load_b64 v[0:1], v[0:1], off
	s_wait_loadcnt 0x0
	v_cvt_f16_f32_e32 v0, v0
	v_cvt_f16_f32_e32 v1, v1
	v_pack_b32_f16 v0, v0, v1
	v_mad_u32_u24 v1, 0x90, v69, v59
	s_delay_alu instid0(VALU_DEP_2)
	v_pk_mul_f16 v0, v0, s16
	ds_store_b32 v1, v0
.LBB0_255:
	s_or_b32 exec_lo, exec_lo, s17
	v_lshrrev_b32_e32 v16, 2, v36
	v_and_b32_e32 v17, 0xff0, v66
	v_dual_mov_b32 v75, 0 :: v_dual_and_b32 v60, 15, v36
	s_mul_i32 s1, s1, s21
	s_delay_alu instid0(VALU_DEP_3) | instskip(NEXT) | instid1(VALU_DEP_3)
	v_and_b32_e32 v0, 0xfc, v16
	v_mad_u32_u24 v1, 0x90, v17, 0
	s_delay_alu instid0(VALU_DEP_3)
	v_mul_u32_u24_e32 v63, 0x90, v60
	s_wait_loadcnt_dscnt 0x0
	s_barrier_signal -1
	v_lshlrev_b32_e32 v64, 2, v0
	s_barrier_wait -1
	global_inv scope:SCOPE_SE
	s_mul_i32 s0, s20, s47
	s_wait_alu 0xfffe
	s_sub_co_i32 s4, s4, s1
	v_add3_u32 v0, v1, v63, v64
	s_ashr_i32 s1, s0, 31
	s_wait_alu 0xfffe
	s_sub_co_i32 s5, s4, s21
	s_cmp_ge_u32 s4, s21
	v_add_nc_u32_e32 v86, -1, v18
	ds_load_b128 v[8:11], v0
	ds_load_b128 v[12:15], v0 offset:32
	ds_load_b128 v[4:7], v0 offset:64
	;; [unrolled: 1-line block ×3, first 2 shown]
	s_wait_alu 0xfffe
	s_cselect_b32 s4, s5, s4
	s_mul_u64 s[8:9], s[28:29], s[2:3]
	s_wait_alu 0xfffe
	s_sub_co_i32 s5, s4, s21
	s_cmp_ge_u32 s4, s21
	v_cmp_lt_i32_e32 vcc_lo, s34, v86
	s_wait_alu 0xfffe
	s_cselect_b32 s4, s5, s4
	v_lshlrev_b32_e32 v18, 1, v36
	s_wait_alu 0xfffe
	s_xor_b32 s4, s4, s3
	s_add_nc_u64 s[8:9], s[10:11], s[8:9]
	s_wait_alu 0xfffe
	s_sub_co_i32 s4, s4, s3
	s_mul_u64 s[10:11], s[40:41], s[2:3]
	s_wait_alu 0xfffe
	s_ashr_i32 s5, s4, 31
	s_mul_i32 s2, s20, s31
	s_wait_alu 0xfffe
	s_mul_u64 s[4:5], s[42:43], s[4:5]
	s_add_nc_u64 s[10:11], s[12:13], s[10:11]
	s_ashr_i32 s3, s2, 31
	s_and_b32 vcc_lo, exec_lo, vcc_lo
	s_mov_b32 s16, -1
	s_wait_loadcnt_dscnt 0x0
	s_barrier_signal -1
	s_barrier_wait -1
	global_inv scope:SCOPE_SE
	s_wait_alu 0xfffe
	s_cbranch_vccnz .LBB0_259
; %bb.256:
	v_dual_mov_b32 v78, 32 :: v_dual_add_nc_u32 v19, s18, v65
	v_dual_mov_b32 v33, 0 :: v_dual_add_nc_u32 v20, s18, v67
	s_ashr_i32 s37, s36, 31
	s_delay_alu instid0(VALU_DEP_2) | instskip(SKIP_1) | instid1(VALU_DEP_3)
	v_mul_hi_u32 v21, s6, v19
	v_lshrrev_b32_e32 v23, 3, v36
	v_mul_hi_u32 v22, s6, v20
	s_ashr_i32 s27, s26, 31
	s_wait_alu 0xfffe
	v_dual_mov_b32 v58, s27 :: v_dual_lshlrev_b32 v61, 4, v65
	v_add_nc_u32_e32 v23, v23, v66
	v_lshrrev_b32_e32 v25, 1, v36
	v_dual_mov_b32 v56, s37 :: v_dual_add_nc_u32 v21, v19, v21
	v_dual_mov_b32 v57, s26 :: v_dual_add_nc_u32 v22, v20, v22
	s_delay_alu instid0(VALU_DEP_4) | instskip(NEXT) | instid1(VALU_DEP_3)
	v_mul_lo_u32 v43, s26, v23
	v_lshrrev_b32_e32 v21, s7, v21
	v_mul_lo_u32 v34, s36, v23
	s_delay_alu instid0(VALU_DEP_4)
	v_lshrrev_b32_e32 v22, s7, v22
	s_movk_i32 s12, 0x240
	v_and_b32_e32 v62, 0x1f8, v25
	v_mul_lo_u32 v21, v21, s24
	s_wait_alu 0xfffe
	v_mad_u32_u24 v70, 0x90, v65, s12
	v_mul_lo_u32 v22, v22, s24
	s_movk_i32 s12, 0x1b00
	s_lshl_b32 s16, s26, 4
	s_wait_alu 0xfffe
	v_mad_u32_u24 v80, 0x90, v23, s12
	s_lshl_b32 s12, s36, 4
	v_add_nc_u32_e32 v45, s16, v43
	v_sub_nc_u32_e32 v19, v19, v21
	s_wait_alu 0xfffe
	v_add_nc_u32_e32 v37, s12, v34
	v_sub_nc_u32_e32 v20, v20, v22
	v_dual_mov_b32 v55, s36 :: v_dual_lshlrev_b32 v24, 2, v36
	v_mad_co_i64_i32 v[49:50], null, v19, s38, 0
	v_and_b32_e32 v19, 48, v61
	s_delay_alu instid0(VALU_DEP_4) | instskip(SKIP_2) | instid1(VALU_DEP_4)
	v_mad_co_i64_i32 v[51:52], null, v20, s38, 0
	v_and_or_b32 v20, v36, 14, v17
	v_add_nc_u32_e32 v47, s16, v45
	v_add_nc_u16 v21, v19, v62
	v_mul_u32_u24_e32 v84, 0x90, v19
	v_add_nc_u32_e32 v39, s12, v37
	v_lshrrev_b32_e32 v20, 1, v20
	v_lshlrev_b32_e32 v19, 1, v16
	v_lshrrev_b16 v21, 1, v21
	v_add_nc_u32_e32 v53, s16, v47
	v_mbcnt_lo_u32_b32 v73, -1, 0
	v_mul_u32_u24_e32 v79, 0x90, v20
	v_add_nc_u32_e32 v41, s12, v39
	v_and_b32_e32 v77, 0xffff, v21
	v_and_b32_e32 v20, 0x1f8, v19
	v_or_b32_e32 v21, 6, v19
	v_or_b32_e32 v19, 7, v19
	s_movk_i32 s13, 0x900
	s_movk_i32 s17, 0x1200
	v_mul_u32_u24_e32 v68, 0x90, v65
	v_and_b32_e32 v32, 28, v24
	v_mul_u32_u24_e32 v69, 0x90, v23
	s_wait_alu 0xfffe
	v_mad_u32_u24 v72, 0x90, v23, s13
	v_ashrrev_i32_e32 v44, 31, v43
	v_ashrrev_i32_e32 v46, 31, v45
	v_mad_u32_u24 v76, 0x90, v23, s17
	v_ashrrev_i32_e32 v48, 31, v47
	v_ashrrev_i32_e32 v54, 31, v53
	v_xor_b32_e32 v74, 16, v73
	v_ashrrev_i32_e32 v35, 31, v34
	v_ashrrev_i32_e32 v38, 31, v37
	;; [unrolled: 1-line block ×4, first 2 shown]
	v_mul_u32_u24_e32 v83, 0x90, v20
	v_mul_u32_u24_e32 v81, 0x90, v21
	;; [unrolled: 1-line block ×3, first 2 shown]
	s_mov_b32 s16, 0
	s_branch .LBB0_260
.LBB0_257:
                                        ; implicit-def: $sgpr48_sgpr49
	s_load_b64 s[44:45], s[0:1], 0x74
	v_cvt_f32_u32_e32 v1, s50
	s_branch .LBB0_2
.LBB0_258:
                                        ; implicit-def: $sgpr54_sgpr55
	s_load_b64 s[6:7], s[0:1], 0x5c
	s_branch .LBB0_5
.LBB0_259:
                                        ; implicit-def: $vgpr68
                                        ; implicit-def: $vgpr49_vgpr50
                                        ; implicit-def: $vgpr70
                                        ; implicit-def: $vgpr51_vgpr52
                                        ; implicit-def: $vgpr57_vgpr58
                                        ; implicit-def: $vgpr69
                                        ; implicit-def: $vgpr32
                                        ; implicit-def: $vgpr43_vgpr44
                                        ; implicit-def: $vgpr72
                                        ; implicit-def: $vgpr45_vgpr46
                                        ; implicit-def: $vgpr76
                                        ; implicit-def: $vgpr47_vgpr48
                                        ; implicit-def: $vgpr80
                                        ; implicit-def: $vgpr53_vgpr54
                                        ; implicit-def: $vgpr61
                                        ; implicit-def: $vgpr84
                                        ; implicit-def: $vgpr62
                                        ; implicit-def: $vgpr79
                                        ; implicit-def: $vgpr77
                                        ; implicit-def: $vgpr73
                                        ; implicit-def: $vgpr74
                                        ; implicit-def: $vgpr78
                                        ; implicit-def: $vgpr55_vgpr56
                                        ; implicit-def: $vgpr34_vgpr35
                                        ; implicit-def: $vgpr37_vgpr38
                                        ; implicit-def: $vgpr39_vgpr40
                                        ; implicit-def: $vgpr41_vgpr42
                                        ; implicit-def: $vgpr83
                                        ; implicit-def: $vgpr81
                                        ; implicit-def: $vgpr82
.LBB0_260:
	v_lshlrev_b32_e32 v85, 1, v18
	v_lshlrev_b32_e32 v71, 2, v60
	s_add_nc_u64 s[12:13], s[8:9], s[0:1]
	s_add_nc_u64 s[14:15], s[14:15], s[4:5]
	s_wait_alu 0xfffe
	s_and_not1_b32 vcc_lo, exec_lo, s16
	s_add_nc_u64 s[10:11], s[10:11], s[2:3]
	s_wait_alu 0xfffe
	s_cbranch_vccnz .LBB0_264
; %bb.261:
	v_dual_mov_b32 v33, 0 :: v_dual_add_nc_u32 v18, s18, v65
	v_dual_mov_b32 v78, 32 :: v_dual_add_nc_u32 v19, s18, v67
	v_lshlrev_b32_e32 v61, 4, v65
	s_delay_alu instid0(VALU_DEP_3) | instskip(SKIP_1) | instid1(VALU_DEP_4)
	v_mul_hi_u32 v20, s6, v18
	v_mbcnt_lo_u32_b32 v73, -1, 0
	v_mul_hi_u32 v22, s6, v19
	v_mov_b32_e32 v26, v33
	v_lshrrev_b32_e32 v23, 3, v36
	v_add_co_u32 v55, s0, s14, v85
	v_xor_b32_e32 v74, 16, v73
	v_dual_mov_b32 v67, 0xfeffffff :: v_dual_add_nc_u32 v20, v18, v20
	v_dual_mov_b32 v75, v33 :: v_dual_add_nc_u32 v22, v19, v22
	v_dual_mov_b32 v30, v33 :: v_dual_add_nc_u32 v23, v23, v66
	s_delay_alu instid0(VALU_DEP_3) | instskip(NEXT) | instid1(VALU_DEP_3)
	v_lshrrev_b32_e32 v20, s7, v20
	v_lshrrev_b32_e32 v22, s7, v22
	v_and_or_b32 v17, v36, 14, v17
	v_cmp_gt_i32_e32 vcc_lo, 32, v74
	v_lshlrev_b32_e32 v24, 2, v36
	v_mul_lo_u32 v20, v20, s24
	v_mul_lo_u32 v22, v22, s24
	s_wait_alu 0xf1ff
	v_add_co_ci_u32_e64 v56, null, s15, 0, s0
	v_mul_lo_u32 v43, s26, v23
	s_movk_i32 s0, 0x240
	v_mul_lo_u32 v34, s36, v23
	s_wait_alu 0xfffe
	v_mad_u32_u24 v70, 0x90, v65, s0
	v_sub_nc_u32_e32 v18, v18, v20
	v_sub_nc_u32_e32 v19, v19, v22
	s_movk_i32 s0, 0x1200
	v_lshrrev_b32_e32 v17, 1, v17
	v_mov_b32_e32 v22, v33
	v_mad_co_i64_i32 v[49:50], null, v18, s38, 0
	v_lshrrev_b32_e32 v18, 1, v36
	v_mad_co_i64_i32 v[51:52], null, v19, s38, 0
	v_and_b32_e32 v19, 48, v61
	s_delay_alu instid0(VALU_DEP_3)
	v_dual_mov_b32 v27, v33 :: v_dual_and_b32 v62, 0x1f8, v18
	s_wait_alu 0xfffe
	v_mad_u32_u24 v76, 0x90, v23, s0
	s_movk_i32 s0, 0x1b00
	v_mul_u32_u24_e32 v84, 0x90, v19
	s_lshl_b32 s2, s26, 4
	v_add_nc_u16 v18, v19, v62
	s_wait_alu 0xfffe
	v_mad_u32_u24 v80, 0x90, v23, s0
	s_lshl_b32 s0, s36, 4
	v_mul_u32_u24_e32 v69, 0x90, v23
	v_add_nc_u32_e32 v45, s2, v43
	v_lshrrev_b16 v18, 1, v18
	v_mul_u32_u24_e32 v79, 0x90, v17
	s_wait_alu 0xfffe
	v_add_nc_u32_e32 v37, s0, v34
	v_dual_mov_b32 v29, v33 :: v_dual_lshlrev_b32 v16, 1, v16
	v_and_b32_e32 v77, 0xffff, v18
	v_mad_u32_u24 v18, 0x90, v19, 0
	s_wait_alu 0xfffd
	v_dual_cndmask_b32 v19, v73, v74 :: v_dual_and_b32 v32, 28, v24
	s_movk_i32 s1, 0x900
	v_lshlrev_b32_e32 v17, 2, v77
	v_dual_mov_b32 v28, v33 :: v_dual_add_nc_u32 v21, 0, v85
	s_delay_alu instid0(VALU_DEP_3)
	v_dual_mov_b32 v31, v33 :: v_dual_lshlrev_b32 v24, 2, v32
	v_mul_u32_u24_e32 v68, 0x90, v65
	s_wait_alu 0xfffe
	v_mad_u32_u24 v72, 0x90, v23, s1
	v_add3_u32 v90, 0, v79, v17
	v_add3_u32 v57, 0, v69, v24
	v_lshlrev_b32_e32 v91, 2, v19
	v_dual_mov_b32 v24, v33 :: v_dual_add_nc_u32 v39, s0, v37
	v_dual_mov_b32 v20, v33 :: v_dual_add_nc_u32 v47, s2, v45
	v_mov_b32_e32 v23, v33
	v_and_b32_e32 v17, 0x1f8, v16
	v_or_b32_e32 v19, 6, v16
	v_or_b32_e32 v16, 7, v16
	v_add_nc_u32_e32 v53, s2, v47
	v_add_nc_u32_e32 v41, s0, v39
	v_mul_u32_u24_e32 v83, 0x90, v17
	v_mul_u32_u24_e32 v81, 0x90, v19
	;; [unrolled: 1-line block ×3, first 2 shown]
	v_add_nc_u32_e32 v16, v21, v68
	v_ashrrev_i32_e32 v44, 31, v43
	v_dual_mov_b32 v25, v33 :: v_dual_add_nc_u32 v58, 0x900, v57
	v_ashrrev_i32_e32 v46, 31, v45
	v_add_nc_u32_e32 v87, 0x1200, v57
	v_ashrrev_i32_e32 v48, 31, v47
	v_dual_mov_b32 v21, v33 :: v_dual_add_nc_u32 v88, 0x1b00, v57
	v_add3_u32 v89, v18, v63, v64
	v_ashrrev_i32_e32 v35, 31, v34
	v_ashrrev_i32_e32 v38, 31, v37
	v_ashrrev_i32_e32 v40, 31, v39
	v_ashrrev_i32_e32 v42, 31, v41
	v_add3_u32 v92, v18, v83, v71
	v_add3_u32 v93, v18, v81, v71
	;; [unrolled: 1-line block ×3, first 2 shown]
	v_lshlrev_b32_e32 v95, 2, v32
	v_dual_mov_b32 v17, v33 :: v_dual_add_nc_u32 v96, 0x2400, v16
	v_mov_b32_e32 v16, v33
	v_mov_b32_e32 v18, v33
	v_ashrrev_i32_e32 v54, 31, v53
	v_mov_b32_e32 v19, v33
	s_ashr_i32 s27, s26, 31
	s_ashr_i32 s37, s36, 31
	s_lshl_b32 s16, s34, 6
.LBB0_262:                              ; =>This Inner Loop Header: Depth=1
	s_wait_alu 0xfffe
	s_ashr_i32 s17, s16, 31
	v_lshlrev_b64_e32 v[97:98], 1, v[49:50]
	s_wait_alu 0xfffe
	s_lshl_b64 s[0:1], s[16:17], 1
	v_lshlrev_b64_e32 v[99:100], 1, v[51:52]
	s_wait_alu 0xfffe
	v_add_co_u32 v109, vcc_lo, v55, s0
	s_wait_alu 0xfffd
	v_add_co_ci_u32_e64 v110, null, s1, v56, vcc_lo
	v_lshlrev_b64_e32 v[101:102], 2, v[43:44]
	s_mul_u64 s[2:3], s[16:17], s[26:27]
	v_lshlrev_b64_e32 v[103:104], 2, v[45:46]
	s_wait_alu 0xfffe
	s_lshl_b64 s[0:1], s[2:3], 2
	v_add_co_u32 v97, vcc_lo, v109, v97
	v_lshlrev_b64_e32 v[105:106], 2, v[47:48]
	s_wait_alu 0xfffd
	v_add_co_ci_u32_e64 v98, null, v110, v98, vcc_lo
	v_add_co_u32 v99, vcc_lo, v109, v99
	s_wait_alu 0xfffe
	s_add_nc_u64 s[0:1], s[12:13], s[0:1]
	v_lshlrev_b64_e32 v[107:108], 2, v[53:54]
	s_wait_alu 0xfffd
	v_add_co_ci_u32_e64 v100, null, v110, v100, vcc_lo
	s_wait_alu 0xfffe
	v_add_co_u32 v101, vcc_lo, s0, v101
	s_wait_alu 0xfffd
	v_add_co_ci_u32_e64 v102, null, s1, v102, vcc_lo
	v_add_co_u32 v103, vcc_lo, s0, v103
	s_wait_alu 0xfffd
	v_add_co_ci_u32_e64 v104, null, s1, v104, vcc_lo
	;; [unrolled: 3-line block ×4, first 2 shown]
	s_clause 0x1
	global_load_b32 v123, v[97:98], off
	global_load_b32 v124, v[99:100], off
	v_add_co_u32 v97, vcc_lo, v101, v95
	s_wait_alu 0xfffd
	v_add_co_ci_u32_e64 v98, null, 0, v102, vcc_lo
	v_add_co_u32 v101, vcc_lo, v103, v95
	s_wait_alu 0xfffd
	v_add_co_ci_u32_e64 v102, null, 0, v104, vcc_lo
	;; [unrolled: 3-line block ×4, first 2 shown]
	s_clause 0x3
	global_load_b128 v[97:100], v[97:98], off
	global_load_b128 v[101:104], v[101:102], off
	;; [unrolled: 1-line block ×4, first 2 shown]
	v_lshlrev_b64_e32 v[113:114], 2, v[34:35]
	s_mul_u64 s[0:1], s[16:17], s[36:37]
	v_lshlrev_b64_e32 v[115:116], 2, v[37:38]
	s_wait_alu 0xfffe
	s_lshl_b64 s[0:1], s[0:1], 2
	v_lshlrev_b64_e32 v[117:118], 2, v[39:40]
	s_wait_alu 0xfffe
	s_add_nc_u64 s[0:1], s[10:11], s[0:1]
	v_lshlrev_b64_e32 v[119:120], 2, v[41:42]
	s_wait_alu 0xfffe
	v_add_co_u32 v113, vcc_lo, s0, v113
	s_wait_alu 0xfffd
	v_add_co_ci_u32_e64 v114, null, s1, v114, vcc_lo
	v_add_co_u32 v115, vcc_lo, s0, v115
	s_wait_alu 0xfffd
	v_add_co_ci_u32_e64 v116, null, s1, v116, vcc_lo
	v_add_co_u32 v117, vcc_lo, s0, v117
	s_wait_alu 0xfffd
	v_add_co_ci_u32_e64 v118, null, s1, v118, vcc_lo
	v_add_co_u32 v119, vcc_lo, s0, v119
	s_wait_alu 0xfffd
	v_add_co_ci_u32_e64 v120, null, s1, v120, vcc_lo
	v_add_co_u32 v121, vcc_lo, v113, v95
	s_wait_alu 0xfffd
	v_add_co_ci_u32_e64 v122, null, 0, v114, vcc_lo
	v_add_co_u32 v125, vcc_lo, v115, v95
	s_wait_alu 0xfffd
	v_add_co_ci_u32_e64 v126, null, 0, v116, vcc_lo
	v_add_co_u32 v129, vcc_lo, v117, v95
	s_wait_alu 0xfffd
	v_add_co_ci_u32_e64 v130, null, 0, v118, vcc_lo
	v_add_co_u32 v133, vcc_lo, v119, v95
	s_wait_alu 0xfffd
	v_add_co_ci_u32_e64 v134, null, 0, v120, vcc_lo
	v_dual_mov_b32 v141, v67 :: v_dual_mov_b32 v142, v75
	s_add_co_i32 s34, s34, 1
	s_add_co_i32 s16, s16, 64
	s_wait_alu 0xfffe
	v_cmp_lt_i32_e32 vcc_lo, s34, v86
	s_wait_loadcnt 0x4
	ds_store_2addr_b32 v96, v123, v124 offset1:144
	s_wait_loadcnt 0x3
	ds_store_b128 v57, v[97:100]
	s_wait_loadcnt 0x2
	ds_store_b128 v58, v[101:104]
	;; [unrolled: 2-line block ×4, first 2 shown]
	s_wait_dscnt 0x0
	s_barrier_signal -1
	s_barrier_wait -1
	global_inv scope:SCOPE_SE
	ds_load_b128 v[105:108], v89
	ds_load_b128 v[109:112], v89 offset:32
	ds_load_b128 v[113:116], v89 offset:64
	ds_load_b128 v[117:120], v89 offset:96
	s_wait_loadcnt_dscnt 0x0
	s_barrier_signal -1
	s_barrier_wait -1
	global_inv scope:SCOPE_SE
	s_clause 0x3
	global_load_b128 v[121:124], v[121:122], off
	global_load_b128 v[125:128], v[125:126], off
	;; [unrolled: 1-line block ×4, first 2 shown]
	s_and_b32 vcc_lo, exec_lo, vcc_lo
	v_wmma_f32_16x16x16_f16 v[97:104], v[105:108], v[8:11], 0
	s_delay_alu instid0(VALU_DEP_1) | instskip(NEXT) | instid1(VALU_DEP_1)
	v_wmma_f32_16x16x16_f16 v[97:104], v[109:112], v[12:15], v[97:104]
	v_wmma_f32_16x16x16_f16 v[97:104], v[113:116], v[4:7], v[97:104]
	s_delay_alu instid0(VALU_DEP_1)
	v_wmma_f32_16x16x16_f16 v[97:104], v[117:120], v[0:3], v[97:104]
	v_add_nc_u32_e32 v67, 0x2400, v90
	v_add_nc_u32_e32 v75, 0x2408, v90
	ds_load_2addr_b32 v[137:138], v67 offset1:1
	ds_load_2addr_b32 v[139:140], v75 offset1:1
	s_wait_loadcnt 0x3
	ds_store_b128 v57, v[121:124]
	s_wait_loadcnt 0x2
	ds_store_b128 v58, v[125:128]
	;; [unrolled: 2-line block ×4, first 2 shown]
	s_wait_dscnt 0x5
	v_lshrrev_b32_e32 v75, 16, v137
	v_lshrrev_b32_e32 v106, 16, v138
	s_wait_dscnt 0x4
	v_lshrrev_b32_e32 v108, 16, v139
	v_cvt_f32_f16_e64 v67, v137
	v_cvt_f32_f16_e64 v105, v138
	v_cvt_f32_f16_e64 v107, v139
	v_lshrrev_b32_e32 v138, 16, v140
	v_cvt_f32_f16_e32 v75, v75
	v_cvt_f32_f16_e32 v106, v106
	;; [unrolled: 1-line block ×3, first 2 shown]
	v_cvt_f32_f16_e64 v137, v140
	v_cvt_f32_f16_e64 v109, v138
	v_add_f32_e32 v97, v97, v67
	v_dual_add_f32 v75, v98, v75 :: v_dual_add_f32 v98, v99, v105
	v_dual_add_f32 v99, v100, v106 :: v_dual_add_f32 v100, v101, v107
	;; [unrolled: 1-line block ×3, first 2 shown]
	v_add_f32_e32 v103, v104, v109
	v_add_f32_e32 v67, 0x40051340, v97
	s_delay_alu instid0(VALU_DEP_3) | instskip(SKIP_4) | instid1(VALU_DEP_4)
	v_dual_add_f32 v105, 0x40051340, v98 :: v_dual_add_f32 v108, 0x40051340, v101
	v_add_f32_e32 v104, 0x40051340, v75
	v_add_f32_e32 v106, 0x40051340, v99
	v_dual_add_f32 v110, 0x40051340, v103 :: v_dual_add_f32 v107, 0x40051340, v100
	v_add_f32_e32 v109, 0x40051340, v102
	v_max3_num_f32 v67, v141, v67, v104
	s_wait_dscnt 0x0
	s_barrier_signal -1
	s_barrier_wait -1
	global_inv scope:SCOPE_SE
	v_max3_num_f32 v67, v67, v105, v106
	s_delay_alu instid0(VALU_DEP_1) | instskip(NEXT) | instid1(VALU_DEP_1)
	v_max3_num_f32 v67, v67, v107, v108
	v_max3_num_f32 v67, v67, v109, v110
	ds_bpermute_b32 v104, v91, v67
	s_wait_dscnt 0x0
	v_max_num_f32_e32 v104, v104, v104
	s_delay_alu instid0(VALU_DEP_1) | instskip(NEXT) | instid1(VALU_DEP_1)
	v_max_num_f32_e32 v67, v67, v104
	v_sub_f32_e32 v75, v75, v67
	s_delay_alu instid0(VALU_DEP_1) | instskip(SKIP_3) | instid1(VALU_DEP_4)
	v_mul_f32_e32 v106, 0x3fb8aa3b, v75
	v_sub_f32_e32 v98, v98, v67
	v_sub_f32_e32 v100, v100, v67
	v_sub_f32_e32 v102, v102, v67
	v_rndne_f32_e32 v117, v106
	v_sub_f32_e32 v99, v99, v67
	v_mul_f32_e32 v107, 0x3fb8aa3b, v98
	v_cmp_ngt_f32_e64 s1, 0xc2ce8ed0, v98
	v_cmp_ngt_f32_e64 s3, 0xc2ce8ed0, v100
	;; [unrolled: 1-line block ×3, first 2 shown]
	s_delay_alu instid0(VALU_DEP_4) | instskip(NEXT) | instid1(VALU_DEP_1)
	v_fma_f32 v118, 0x3fb8aa3b, v98, -v107
	v_dual_sub_f32 v101, v101, v67 :: v_dual_fmac_f32 v118, 0x32a5705f, v98
	s_delay_alu instid0(VALU_DEP_1) | instskip(SKIP_2) | instid1(VALU_DEP_3)
	v_dual_sub_f32 v97, v97, v67 :: v_dual_mul_f32 v110, 0x3fb8aa3b, v101
	v_sub_f32_e32 v104, v141, v67
	v_cmp_ngt_f32_e64 s4, 0xc2ce8ed0, v101
	v_mul_f32_e32 v105, 0x3fb8aa3b, v97
	s_delay_alu instid0(VALU_DEP_4)
	v_rndne_f32_e32 v141, v110
	v_mul_f32_e32 v111, 0x3fb8aa3b, v102
	v_fma_f32 v140, 0x3fb8aa3b, v101, -v110
	v_cmp_ngt_f32_e64 s7, 0xc2ce8ed0, v104
	v_fma_f32 v114, 0x3fb8aa3b, v97, -v105
	v_rndne_f32_e32 v115, v105
	v_sub_f32_e32 v110, v110, v141
	v_fma_f32 v143, 0x3fb8aa3b, v102, -v111
	v_rndne_f32_e32 v144, v111
	v_fmac_f32_e32 v114, 0x32a5705f, v97
	v_fma_f32 v116, 0x3fb8aa3b, v75, -v106
	v_sub_f32_e32 v106, v106, v117
	v_mul_f32_e32 v108, 0x3fb8aa3b, v99
	v_rndne_f32_e32 v119, v107
	v_fmac_f32_e32 v140, 0x32a5705f, v101
	v_dual_fmac_f32 v116, 0x32a5705f, v75 :: v_dual_fmac_f32 v143, 0x32a5705f, v102
	s_delay_alu instid0(VALU_DEP_4) | instskip(SKIP_3) | instid1(VALU_DEP_4)
	v_rndne_f32_e32 v137, v108
	v_sub_f32_e32 v103, v103, v67
	v_fma_f32 v120, 0x3fb8aa3b, v99, -v108
	v_sub_f32_e32 v107, v107, v119
	v_dual_sub_f32 v111, v111, v144 :: v_dual_sub_f32 v108, v108, v137
	s_delay_alu instid0(VALU_DEP_4) | instskip(NEXT) | instid1(VALU_DEP_4)
	v_dual_mul_f32 v109, 0x3fb8aa3b, v100 :: v_dual_mul_f32 v112, 0x3fb8aa3b, v103
	v_fmac_f32_e32 v120, 0x32a5705f, v99
	s_delay_alu instid0(VALU_DEP_4) | instskip(NEXT) | instid1(VALU_DEP_3)
	v_dual_add_f32 v106, v106, v116 :: v_dual_add_f32 v107, v107, v118
	v_fma_f32 v138, 0x3fb8aa3b, v100, -v109
	s_delay_alu instid0(VALU_DEP_4)
	v_rndne_f32_e32 v146, v112
	v_mul_f32_e32 v113, 0x3fb8aa3b, v104
	v_rndne_f32_e32 v139, v109
	v_fma_f32 v145, 0x3fb8aa3b, v103, -v112
	v_dual_sub_f32 v105, v105, v115 :: v_dual_fmac_f32 v138, 0x32a5705f, v100
	v_sub_f32_e32 v112, v112, v146
	v_fma_f32 v147, 0x3fb8aa3b, v104, -v113
	v_rndne_f32_e32 v148, v113
	v_sub_f32_e32 v109, v109, v139
	v_dual_fmac_f32 v145, 0x32a5705f, v103 :: v_dual_add_f32 v108, v108, v120
	s_delay_alu instid0(VALU_DEP_4) | instskip(NEXT) | instid1(VALU_DEP_4)
	v_fmac_f32_e32 v147, 0x32a5705f, v104
	v_sub_f32_e32 v113, v113, v148
	v_dual_add_f32 v105, v105, v114 :: v_dual_add_f32 v110, v110, v140
	v_add_f32_e32 v109, v109, v138
	v_dual_add_f32 v111, v111, v143 :: v_dual_add_f32 v112, v112, v145
	s_delay_alu instid0(VALU_DEP_4) | instskip(NEXT) | instid1(VALU_DEP_4)
	v_add_f32_e32 v113, v113, v147
	v_exp_f32_e32 v105, v105
	v_exp_f32_e32 v106, v106
	v_exp_f32_e32 v107, v107
	v_exp_f32_e32 v108, v108
	v_exp_f32_e32 v109, v109
	v_exp_f32_e32 v110, v110
	v_exp_f32_e32 v111, v111
	v_exp_f32_e32 v112, v112
	v_exp_f32_e32 v113, v113
	v_cvt_i32_f32_e32 v115, v115
	v_cvt_i32_f32_e32 v117, v117
	;; [unrolled: 1-line block ×9, first 2 shown]
	v_ldexp_f32 v105, v105, v115
	v_ldexp_f32 v106, v106, v117
	v_cmp_ngt_f32_e64 s0, 0xc2ce8ed0, v75
	v_ldexp_f32 v107, v107, v119
	v_ldexp_f32 v108, v108, v137
	v_cmp_ngt_f32_e64 s2, 0xc2ce8ed0, v99
	v_ldexp_f32 v109, v109, v139
	v_ldexp_f32 v110, v110, v141
	;; [unrolled: 1-line block ×4, first 2 shown]
	v_cmp_ngt_f32_e64 s6, 0xc2ce8ed0, v103
	v_ldexp_f32 v113, v113, v148
	v_cmp_ngt_f32_e64 s8, 0xc2ce8ed0, v97
	s_wait_alu 0xf1ff
	v_cndmask_b32_e64 v106, 0, v106, s0
	v_cmp_nlt_f32_e64 s0, 0x42b17218, v75
	v_cndmask_b32_e64 v75, 0, v107, s1
	v_cmp_nlt_f32_e64 s1, 0x42b17218, v98
	v_cndmask_b32_e64 v105, 0, v105, s8
	v_cndmask_b32_e64 v98, 0, v108, s2
	v_cmp_nlt_f32_e64 s2, 0x42b17218, v99
	v_cndmask_b32_e64 v99, 0, v109, s3
	v_cmp_nlt_f32_e64 s3, 0x42b17218, v100
	;; [unrolled: 2-line block ×6, first 2 shown]
	v_cmp_nlt_f32_e64 s8, 0x42b17218, v97
	s_wait_alu 0xf1ff
	v_cndmask_b32_e64 v75, 0x7f800000, v75, s1
	v_cndmask_b32_e64 v107, 0x7f800000, v99, s3
	v_cndmask_b32_e64 v108, 0x7f800000, v100, s4
	v_cndmask_b32_e64 v101, 0x7f800000, v101, s5
	v_cndmask_b32_e64 v97, 0x7f800000, v105, s8
	v_cndmask_b32_e64 v105, 0x7f800000, v106, s0
	v_cndmask_b32_e64 v106, 0x7f800000, v98, s2
	v_cndmask_b32_e64 v98, 0x7f800000, v103, s7
	v_cmp_le_f32_e64 s0, 0xc1a00000, v104
	v_cndmask_b32_e64 v102, 0x7f800000, v102, s6
	v_add_f32_e32 v99, v97, v105
	v_cvt_f16_f32_e32 v103, v106
	v_cvt_f16_f32_e32 v104, v107
	s_wait_alu 0xf1ff
	v_cndmask_b32_e64 v137, 0, v98, s0
	v_cvt_f16_f32_e32 v98, v75
	v_add_f32_e32 v75, v75, v99
	v_cvt_f16_f32_e32 v109, v108
	v_cvt_f16_f32_e32 v100, v101
	v_cvt_f16_f32_e64 v111, v137
	v_perm_b32 v98, v103, v98, 0x5040100
	v_add_f32_e32 v75, v106, v75
	v_cvt_f16_f32_e32 v110, v102
	v_cvt_f16_f32_e32 v97, v97
	v_and_b32_e32 v103, 0xffff, v111
	ds_load_2addr_b32 v[111:112], v92 offset1:16
	ds_load_2addr_b32 v[116:117], v92 offset0:36 offset1:52
	ds_load_2addr_b32 v[113:114], v92 offset0:72 offset1:88
	;; [unrolled: 1-line block ×5, first 2 shown]
	ds_load_2addr_b32 v[124:125], v93 offset1:16
	ds_load_2addr_b32 v[126:127], v94 offset1:16
	v_add_f32_e32 v75, v107, v75
	v_cvt_f16_f32_e32 v105, v105
	v_perm_b32 v100, v110, v100, 0x5040100
	v_mul_u32_u24_e32 v103, 0x10001, v103
	v_perm_b32 v99, v109, v104, 0x5040100
	v_add_f32_e32 v75, v108, v75
	v_perm_b32 v97, v105, v97, 0x5040100
	s_wait_loadcnt_dscnt 0x0
	v_pk_mul_f16 v28, v28, v103
	v_pk_mul_f16 v29, v29, v103
	v_add_f32_e32 v75, v101, v75
	v_pk_mul_f16 v30, v30, v103
	v_pk_mul_f16 v31, v31, v103
	;; [unrolled: 1-line block ×14, first 2 shown]
	v_add_f32_e32 v75, v102, v75
	v_perm_b32 v101, v116, v111, 0x7060302
	v_perm_b32 v102, v118, v113, 0x7060302
	;; [unrolled: 1-line block ×16, first 2 shown]
	v_fmac_f32_e32 v75, v142, v137
	v_wmma_f16_16x16x16_f16 v[28:31], v[105:108], v[97:100], v[28:31]
	v_wmma_f16_16x16x16_f16 v[24:27], v[101:104], v[97:100], v[24:27]
	;; [unrolled: 1-line block ×4, first 2 shown]
	s_barrier_signal -1
	s_barrier_wait -1
	global_inv scope:SCOPE_SE
	s_wait_alu 0xfffe
	s_cbranch_vccnz .LBB0_262
; %bb.263:
	v_dual_mov_b32 v56, s37 :: v_dual_mov_b32 v55, s36
	v_dual_mov_b32 v58, s27 :: v_dual_mov_b32 v57, s26
	s_branch .LBB0_265
.LBB0_264:
	v_mov_b32_e32 v23, 0
	s_delay_alu instid0(VALU_DEP_1) | instskip(NEXT) | instid1(VALU_DEP_1)
	v_dual_mov_b32 v19, 0 :: v_dual_mov_b32 v22, v23
	v_dual_mov_b32 v67, 0xfeffffff :: v_dual_mov_b32 v16, v19
	;; [unrolled: 1-line block ×8, first 2 shown]
.LBB0_265:
	s_lshl_b32 s0, s34, 6
	v_lshlrev_b64_e32 v[49:50], 1, v[49:50]
	s_wait_alu 0xfffe
	s_ashr_i32 s1, s0, 31
	v_mul_lo_u32 v58, s0, v58
	s_wait_alu 0xfffe
	v_mul_lo_u32 v86, s1, v57
	v_mul_hi_u32 v87, s0, v57
	v_mul_lo_u32 v57, s0, v57
	s_lshl_b64 s[2:3], s[0:1], 1
	v_lshlrev_b64_e32 v[90:91], 2, v[32:33]
	s_wait_alu 0xfffe
	s_add_nc_u64 s[2:3], s[14:15], s[2:3]
	v_lshlrev_b64_e32 v[43:44], 2, v[43:44]
	s_wait_alu 0xfffe
	v_add_co_u32 v33, s2, s2, v85
	v_add_nc_u32_e32 v58, v58, v86
	s_wait_alu 0xf1ff
	v_add_co_ci_u32_e64 v86, null, s3, 0, s2
	v_lshlrev_b64_e32 v[51:52], 1, v[51:52]
	v_lshlrev_b64_e32 v[45:46], 2, v[45:46]
	v_add_nc_u32_e32 v58, v58, v87
	v_lshlrev_b64_e32 v[53:54], 2, v[53:54]
	v_lshlrev_b64_e32 v[34:35], 2, v[34:35]
	;; [unrolled: 1-line block ×5, first 2 shown]
	v_add_nc_u32_e32 v100, 0, v84
	v_lshlrev_b64_e32 v[41:42], 2, v[41:42]
	s_delay_alu instid0(VALU_DEP_2) | instskip(NEXT) | instid1(VALU_DEP_4)
	v_add3_u32 v63, v100, v63, v64
	v_add_co_u32 v57, vcc_lo, s12, v57
	s_wait_alu 0xfffd
	v_add_co_ci_u32_e64 v58, null, s13, v58, vcc_lo
	v_add_co_u32 v49, vcc_lo, v33, v49
	s_wait_alu 0xfffd
	v_add_co_ci_u32_e64 v50, null, v86, v50, vcc_lo
	;; [unrolled: 3-line block ×6, first 2 shown]
	v_lshlrev_b64_e32 v[45:46], 2, v[47:48]
	s_delay_alu instid0(VALU_DEP_3) | instskip(SKIP_1) | instid1(VALU_DEP_3)
	v_add_co_u32 v47, vcc_lo, v33, v90
	s_wait_alu 0xfffd
	v_add_co_ci_u32_e64 v48, null, v86, v91, vcc_lo
	s_delay_alu instid0(VALU_DEP_3)
	v_add_co_u32 v33, vcc_lo, v57, v45
	s_wait_alu 0xfffd
	v_add_co_ci_u32_e64 v45, null, v58, v46, vcc_lo
	v_add_co_u32 v46, vcc_lo, v57, v53
	s_wait_alu 0xfffd
	v_add_co_ci_u32_e64 v58, null, v58, v54, vcc_lo
	;; [unrolled: 3-line block ×4, first 2 shown]
	s_clause 0x1
	global_load_b32 v92, v[49:50], off
	global_load_b32 v93, v[43:44], off
	s_clause 0x3
	global_load_b128 v[43:46], v[51:52], off
	global_load_b128 v[47:50], v[47:48], off
	;; [unrolled: 1-line block ×4, first 2 shown]
	v_mul_lo_u32 v33, s0, v56
	v_mul_lo_u32 v56, s1, v55
	v_mul_hi_u32 v57, s0, v55
	v_add_nc_u32_e32 v58, 0, v85
	v_lshlrev_b32_e32 v85, 2, v32
	v_mul_lo_u32 v32, s0, v55
	v_cmp_gt_u32_e64 s0, 16, v36
	s_delay_alu instid0(VALU_DEP_4)
	v_add_nc_u32_e32 v55, v58, v68
	v_add_nc_u32_e32 v33, v33, v56
	;; [unrolled: 1-line block ×3, first 2 shown]
	v_add3_u32 v70, 0, v76, v85
	v_add3_u32 v68, 0, v69, v85
	;; [unrolled: 1-line block ×3, first 2 shown]
	v_add_nc_u32_e32 v33, v33, v57
	v_add3_u32 v72, 0, v80, v85
	s_wait_loadcnt 0x5
	ds_store_b32 v55, v92 offset:9216
	s_wait_loadcnt 0x4
	ds_store_b32 v56, v93 offset:9216
	s_wait_loadcnt 0x3
	ds_store_b128 v68, v[43:46]
	s_wait_loadcnt 0x2
	ds_store_b128 v69, v[47:50]
	;; [unrolled: 2-line block ×4, first 2 shown]
	v_lshlrev_b64_e32 v[32:33], 2, v[32:33]
	s_wait_dscnt 0x0
	s_barrier_signal -1
	s_barrier_wait -1
	global_inv scope:SCOPE_SE
	v_add_co_u32 v32, vcc_lo, s10, v32
	s_wait_alu 0xfffd
	v_add_co_ci_u32_e64 v33, null, s11, v33, vcc_lo
	s_delay_alu instid0(VALU_DEP_2) | instskip(SKIP_1) | instid1(VALU_DEP_2)
	v_add_co_u32 v34, vcc_lo, v32, v34
	s_wait_alu 0xfffd
	v_add_co_ci_u32_e64 v35, null, v33, v35, vcc_lo
	v_add_co_u32 v57, vcc_lo, v32, v37
	s_wait_alu 0xfffd
	v_add_co_ci_u32_e64 v58, null, v33, v38, vcc_lo
	v_add_co_u32 v64, vcc_lo, v32, v39
	s_wait_alu 0xfffd
	v_add_co_ci_u32_e64 v76, null, v33, v40, vcc_lo
	v_add_co_u32 v32, vcc_lo, v32, v41
	s_wait_alu 0xfffd
	v_add_co_ci_u32_e64 v33, null, v33, v42, vcc_lo
	v_add_co_u32 v37, vcc_lo, v34, v90
	s_wait_alu 0xfffd
	v_add_co_ci_u32_e64 v38, null, v35, v91, vcc_lo
	v_add_co_u32 v39, vcc_lo, v57, v90
	s_wait_alu 0xfffd
	v_add_co_ci_u32_e64 v40, null, v58, v91, vcc_lo
	v_add_co_u32 v41, vcc_lo, v64, v90
	s_wait_alu 0xfffd
	v_add_co_ci_u32_e64 v42, null, v76, v91, vcc_lo
	v_add_co_u32 v57, vcc_lo, v32, v90
	s_wait_alu 0xfffd
	v_add_co_ci_u32_e64 v58, null, v33, v91, vcc_lo
	ds_load_b128 v[32:35], v63
	ds_load_b128 v[45:48], v63 offset:32
	ds_load_b128 v[49:52], v63 offset:64
	;; [unrolled: 1-line block ×3, first 2 shown]
	s_wait_loadcnt_dscnt 0x0
	s_barrier_signal -1
	s_barrier_wait -1
	global_inv scope:SCOPE_SE
	s_clause 0x3
	global_load_b128 v[84:87], v[37:38], off
	global_load_b128 v[88:91], v[39:40], off
	;; [unrolled: 1-line block ×4, first 2 shown]
	v_lshlrev_b32_e32 v37, 2, v77
	v_cmp_lt_i32_e32 vcc_lo, v74, v78
	s_delay_alu instid0(VALU_DEP_2) | instskip(NEXT) | instid1(VALU_DEP_1)
	v_add3_u32 v37, 0, v79, v37
	v_add_nc_u32_e32 v38, 0x2400, v37
	v_add_nc_u32_e32 v37, 0x2408, v37
	ds_load_2addr_b32 v[57:58], v38 offset1:1
	ds_load_2addr_b32 v[63:64], v37 offset1:1
	v_wmma_f32_16x16x16_f16 v[37:44], v[32:35], v[8:11], 0
	s_wait_loadcnt 0x3
	ds_store_b128 v68, v[84:87]
	s_wait_loadcnt 0x2
	ds_store_b128 v69, v[88:91]
	;; [unrolled: 2-line block ×4, first 2 shown]
	v_wmma_f32_16x16x16_f16 v[37:44], v[45:48], v[12:15], v[37:44]
	s_wait_dscnt 0x5
	v_lshrrev_b32_e32 v9, 16, v57
	v_cvt_f32_f16_e32 v8, v57
	v_cvt_f32_f16_e32 v10, v58
	s_wait_dscnt 0x0
	v_wmma_f32_16x16x16_f16 v[37:44], v[49:52], v[4:7], v[37:44]
	v_lshrrev_b32_e32 v4, 16, v58
	v_lshrrev_b32_e32 v6, 16, v63
	v_cvt_f32_f16_e32 v5, v63
	v_cvt_f32_f16_e32 v7, v64
	v_wmma_f32_16x16x16_f16 v[37:44], v[53:56], v[0:3], v[37:44]
	v_cvt_f32_f16_e32 v0, v9
	v_lshrrev_b32_e32 v1, 16, v64
	v_cvt_f32_f16_e32 v2, v4
	v_cvt_f32_f16_e32 v3, v6
	v_add_f32_e32 v6, v39, v10
	v_add_f32_e32 v0, v38, v0
	v_cvt_f32_f16_e32 v1, v1
	v_add_f32_e32 v4, v37, v8
	v_dual_add_f32 v2, v40, v2 :: v_dual_add_f32 v5, v41, v5
	s_delay_alu instid0(VALU_DEP_4) | instskip(NEXT) | instid1(VALU_DEP_3)
	v_add_f32_e32 v9, 0x40051340, v0
	v_dual_add_f32 v1, v44, v1 :: v_dual_add_f32 v8, 0x40051340, v4
	v_dual_add_f32 v3, v42, v3 :: v_dual_add_f32 v10, 0x40051340, v6
	s_delay_alu instid0(VALU_DEP_4) | instskip(SKIP_1) | instid1(VALU_DEP_4)
	v_add_f32_e32 v11, 0x40051340, v2
	v_add_f32_e32 v7, v43, v7
	v_max3_num_f32 v8, v67, v8, v9
	s_delay_alu instid0(VALU_DEP_4) | instskip(SKIP_2) | instid1(VALU_DEP_3)
	v_dual_add_f32 v9, 0x40051340, v5 :: v_dual_add_f32 v12, 0x40051340, v3
	v_add_f32_e32 v13, 0x40051340, v1
	s_barrier_signal -1
	v_max3_num_f32 v8, v8, v10, v11
	s_wait_alu 0xfffd
	v_dual_cndmask_b32 v10, v73, v74 :: v_dual_add_f32 v11, 0x40051340, v7
	s_barrier_wait -1
	global_inv scope:SCOPE_SE
	v_max3_num_f32 v8, v8, v9, v12
	v_lshlrev_b32_e32 v37, 2, v10
	v_add3_u32 v10, v100, v82, v71
	s_delay_alu instid0(VALU_DEP_3) | instskip(SKIP_3) | instid1(VALU_DEP_1)
	v_max3_num_f32 v8, v8, v11, v13
	ds_bpermute_b32 v9, v37, v8
	s_wait_dscnt 0x0
	v_max_num_f32_e32 v9, v9, v9
	v_max_num_f32_e32 v38, v8, v9
	v_add3_u32 v8, v100, v83, v71
	v_add3_u32 v9, v100, v81, v71
	s_delay_alu instid0(VALU_DEP_3) | instskip(SKIP_2) | instid1(VALU_DEP_3)
	v_sub_f32_e32 v4, v4, v38
	v_sub_f32_e32 v0, v0, v38
	;; [unrolled: 1-line block ×3, first 2 shown]
	v_mul_f32_e32 v12, 0x3fb8aa3b, v4
	s_delay_alu instid0(VALU_DEP_3) | instskip(SKIP_1) | instid1(VALU_DEP_3)
	v_mul_f32_e32 v13, 0x3fb8aa3b, v0
	v_cmp_ngt_f32_e32 vcc_lo, 0xc2ce8ed0, v4
	v_fma_f32 v40, 0x3fb8aa3b, v4, -v12
	v_sub_f32_e32 v7, v7, v38
	v_rndne_f32_e32 v41, v12
	v_sub_f32_e32 v1, v1, v38
	v_fma_f32 v42, 0x3fb8aa3b, v0, -v13
	v_dual_fmac_f32 v40, 0x32a5705f, v4 :: v_dual_sub_f32 v5, v5, v38
	v_dual_mul_f32 v34, 0x3fb8aa3b, v7 :: v_dual_sub_f32 v3, v3, v38
	v_rndne_f32_e32 v43, v13
	v_sub_f32_e32 v12, v12, v41
	v_dual_mul_f32 v14, 0x3fb8aa3b, v6 :: v_dual_mul_f32 v35, 0x3fb8aa3b, v1
	v_mul_f32_e32 v32, 0x3fb8aa3b, v5
	v_dual_sub_f32 v2, v2, v38 :: v_dual_mul_f32 v33, 0x3fb8aa3b, v3
	v_dual_sub_f32 v11, v67, v38 :: v_dual_fmac_f32 v42, 0x32a5705f, v0
	s_delay_alu instid0(VALU_DEP_4) | instskip(NEXT) | instid1(VALU_DEP_3)
	v_rndne_f32_e32 v45, v14
	v_mul_f32_e32 v15, 0x3fb8aa3b, v2
	v_fma_f32 v52, 0x3fb8aa3b, v7, -v34
	v_sub_f32_e32 v13, v13, v43
	v_fma_f32 v44, 0x3fb8aa3b, v6, -v14
	v_sub_f32_e32 v14, v14, v45
	v_fma_f32 v46, 0x3fb8aa3b, v2, -v15
	v_rndne_f32_e32 v47, v15
	v_dual_fmac_f32 v52, 0x32a5705f, v7 :: v_dual_add_f32 v13, v13, v42
	v_rndne_f32_e32 v51, v33
	v_rndne_f32_e32 v53, v34
	s_delay_alu instid0(VALU_DEP_4)
	v_dual_fmac_f32 v44, 0x32a5705f, v6 :: v_dual_sub_f32 v15, v15, v47
	v_fmac_f32_e32 v46, 0x32a5705f, v2
	v_exp_f32_e32 v13, v13
	v_rndne_f32_e32 v49, v32
	v_mul_f32_e32 v39, 0x3fb8aa3b, v11
	v_fma_f32 v50, 0x3fb8aa3b, v3, -v33
	v_cvt_i32_f32_e32 v43, v43
	v_dual_sub_f32 v33, v33, v51 :: v_dual_sub_f32 v34, v34, v53
	v_add_f32_e32 v15, v15, v46
	v_fma_f32 v48, 0x3fb8aa3b, v5, -v32
	v_fma_f32 v54, 0x3fb8aa3b, v1, -v35
	v_sub_f32_e32 v32, v32, v49
	v_rndne_f32_e32 v57, v39
	v_fmac_f32_e32 v50, 0x32a5705f, v3
	v_exp_f32_e32 v15, v15
	v_ldexp_f32 v13, v13, v43
	v_add_f32_e32 v12, v12, v40
	v_rndne_f32_e32 v55, v35
	v_fma_f32 v56, 0x3fb8aa3b, v11, -v39
	v_cvt_i32_f32_e32 v47, v47
	v_sub_f32_e32 v39, v39, v57
	v_dual_fmac_f32 v54, 0x32a5705f, v1 :: v_dual_add_f32 v33, v33, v50
	v_exp_f32_e32 v12, v12
	v_cvt_i32_f32_e32 v41, v41
	v_dual_fmac_f32 v48, 0x32a5705f, v5 :: v_dual_sub_f32 v35, v35, v55
	s_delay_alu instid0(VALU_DEP_3) | instskip(SKIP_4) | instid1(TRANS32_DEP_2)
	v_exp_f32_e32 v33, v33
	v_ldexp_f32 v15, v15, v47
	v_add_f32_e32 v14, v14, v44
	v_cvt_i32_f32_e32 v51, v51
	v_dual_fmac_f32 v56, 0x32a5705f, v11 :: v_dual_add_f32 v35, v35, v54
	v_ldexp_f32 v12, v12, v41
	s_delay_alu instid0(VALU_DEP_4)
	v_exp_f32_e32 v14, v14
	v_cvt_i32_f32_e32 v45, v45
	v_cvt_i32_f32_e32 v55, v55
	v_exp_f32_e32 v35, v35
	v_ldexp_f32 v33, v33, v51
	v_add_f32_e32 v32, v32, v48
	s_wait_alu 0xfffd
	v_cndmask_b32_e32 v12, 0, v12, vcc_lo
	v_cmp_ngt_f32_e32 vcc_lo, 0xc2ce8ed0, v0
	v_cvt_i32_f32_e32 v49, v49
	v_cvt_i32_f32_e32 v53, v53
	v_exp_f32_e32 v32, v32
	v_ldexp_f32 v14, v14, v45
	s_wait_alu 0xfffd
	v_cndmask_b32_e32 v13, 0, v13, vcc_lo
	v_cmp_ngt_f32_e32 vcc_lo, 0xc2ce8ed0, v6
	v_add_f32_e32 v39, v39, v56
	v_ldexp_f32 v35, v35, v55
	v_add_f32_e32 v34, v34, v52
	v_cvt_i32_f32_e32 v40, v57
	s_wait_alu 0xfffd
	v_cndmask_b32_e32 v14, 0, v14, vcc_lo
	v_cmp_ngt_f32_e32 vcc_lo, 0xc2ce8ed0, v2
	v_ldexp_f32 v32, v32, v49
	v_exp_f32_e32 v34, v34
	v_exp_f32_e32 v39, v39
	s_wait_alu 0xfffd
	v_cndmask_b32_e32 v15, 0, v15, vcc_lo
	v_cmp_ngt_f32_e32 vcc_lo, 0xc2ce8ed0, v5
	s_wait_alu 0xfffd
	v_cndmask_b32_e32 v32, 0, v32, vcc_lo
	v_cmp_ngt_f32_e32 vcc_lo, 0xc2ce8ed0, v3
	s_delay_alu instid0(TRANS32_DEP_2) | instskip(NEXT) | instid1(TRANS32_DEP_1)
	v_ldexp_f32 v34, v34, v53
	v_ldexp_f32 v39, v39, v40
	s_wait_alu 0xfffd
	v_cndmask_b32_e32 v33, 0, v33, vcc_lo
	v_cmp_ngt_f32_e32 vcc_lo, 0xc2ce8ed0, v7
	s_wait_alu 0xfffd
	v_cndmask_b32_e32 v34, 0, v34, vcc_lo
	v_cmp_ngt_f32_e32 vcc_lo, 0xc2ce8ed0, v1
	;; [unrolled: 3-line block ×3, first 2 shown]
	s_wait_alu 0xfffd
	v_cndmask_b32_e32 v39, 0, v39, vcc_lo
	v_cmp_nlt_f32_e32 vcc_lo, 0x42b17218, v4
	s_wait_alu 0xfffd
	v_cndmask_b32_e32 v4, 0x7f800000, v12, vcc_lo
	v_cmp_nlt_f32_e32 vcc_lo, 0x42b17218, v0
	;; [unrolled: 3-line block ×5, first 2 shown]
	s_delay_alu instid0(VALU_DEP_2)
	v_cvt_f16_f32_e32 v13, v2
	s_wait_alu 0xfffd
	v_cndmask_b32_e32 v5, 0x7f800000, v32, vcc_lo
	v_cmp_nlt_f32_e32 vcc_lo, 0x42b17218, v3
	s_wait_alu 0xfffd
	v_cndmask_b32_e32 v3, 0x7f800000, v33, vcc_lo
	v_cmp_nlt_f32_e32 vcc_lo, 0x42b17218, v7
	;; [unrolled: 3-line block ×3, first 2 shown]
	s_delay_alu instid0(VALU_DEP_2)
	v_cvt_f16_f32_e32 v32, v7
	s_wait_alu 0xfffd
	v_cndmask_b32_e32 v12, 0x7f800000, v39, vcc_lo
	v_cmp_nlt_f32_e32 vcc_lo, 0x42b17218, v1
	v_add_f32_e32 v1, v4, v0
	v_cvt_f16_f32_e32 v0, v0
	s_wait_alu 0xfffd
	v_cndmask_b32_e32 v39, 0x7f800000, v35, vcc_lo
	s_delay_alu instid0(VALU_DEP_3) | instskip(SKIP_1) | instid1(VALU_DEP_3)
	v_add_f32_e32 v1, v6, v1
	v_cmp_le_f32_e32 vcc_lo, 0xc1a00000, v11
	v_cvt_f16_f32_e32 v33, v39
	s_delay_alu instid0(VALU_DEP_3)
	v_add_f32_e32 v1, v2, v1
	s_wait_alu 0xfffd
	v_cndmask_b32_e32 v11, 0, v12, vcc_lo
	v_cvt_f16_f32_e32 v4, v4
	v_perm_b32 v35, v33, v32, 0x5040100
	v_add_f32_e32 v1, v5, v1
	v_cvt_f16_f32_e32 v12, v6
	v_cvt_f16_f32_e32 v6, v11
	v_perm_b32 v32, v0, v4, 0x5040100
	s_delay_alu instid0(VALU_DEP_4) | instskip(SKIP_1) | instid1(VALU_DEP_4)
	v_add_f32_e32 v4, v3, v1
	v_cvt_f16_f32_e32 v14, v5
	v_and_b32_e32 v2, 0xffff, v6
	v_perm_b32 v33, v13, v12, 0x5040100
	s_delay_alu instid0(VALU_DEP_4) | instskip(SKIP_1) | instid1(VALU_DEP_4)
	v_add_f32_e32 v4, v7, v4
	v_cvt_f16_f32_e32 v15, v3
	v_mul_u32_u24_e32 v40, 0x10001, v2
	s_delay_alu instid0(VALU_DEP_3) | instskip(NEXT) | instid1(VALU_DEP_3)
	v_add_f32_e32 v39, v39, v4
	v_perm_b32 v34, v15, v14, 0x5040100
	s_delay_alu instid0(VALU_DEP_3)
	v_pk_mul_f16 v0, v28, v40
	v_pk_mul_f16 v1, v29, v40
	;; [unrolled: 1-line block ×4, first 2 shown]
	ds_load_2addr_b32 v[41:42], v8 offset1:16
	ds_load_2addr_b32 v[43:44], v8 offset0:36 offset1:52
	ds_load_2addr_b32 v[28:29], v8 offset0:72 offset1:88
	;; [unrolled: 1-line block ×5, first 2 shown]
	ds_load_2addr_b32 v[30:31], v9 offset1:16
	ds_load_2addr_b32 v[51:52], v10 offset1:16
	v_fmac_f32_e32 v39, v75, v11
	v_pk_mul_f16 v12, v24, v40
	v_pk_mul_f16 v13, v25, v40
	;; [unrolled: 1-line block ×12, first 2 shown]
	ds_bpermute_b32 v40, v37, v39
	s_wait_dscnt 0x7
	v_perm_b32 v16, v43, v41, 0x7060302
	s_wait_dscnt 0x5
	v_perm_b32 v17, v45, v28, 0x7060302
	v_perm_b32 v25, v45, v28, 0x5040100
	s_wait_dscnt 0x3
	v_perm_b32 v18, v49, v47, 0x7060302
	;; [unrolled: 3-line block ×3, first 2 shown]
	v_perm_b32 v27, v51, v30, 0x5040100
	v_perm_b32 v24, v43, v41, 0x5040100
	;; [unrolled: 1-line block ×10, first 2 shown]
	s_wait_loadcnt_dscnt 0x0
	s_barrier_signal -1
	s_barrier_wait -1
	global_inv scope:SCOPE_SE
	s_and_saveexec_b32 s1, s0
	s_cbranch_execz .LBB0_267
; %bb.266:
	v_or_b32_e32 v41, v61, v36
	v_add_f32_e32 v39, v39, v40
	s_delay_alu instid0(VALU_DEP_2)
	v_mad_i32_i24 v40, 0x90, v41, 0
	ds_store_2addr_b32 v40, v38, v39 offset0:32 offset1:33
.LBB0_267:
	s_wait_alu 0xfffe
	s_or_b32 exec_lo, exec_lo, s1
	v_and_b32_e32 v38, 3, v65
	s_wait_loadcnt_dscnt 0x0
	s_barrier_signal -1
	s_barrier_wait -1
	global_inv scope:SCOPE_SE
	v_cmp_ne_u32_e64 s1, 0, v38
	v_cmp_eq_u32_e32 vcc_lo, 0, v38
	s_and_saveexec_b32 s2, s1
	s_wait_alu 0xfffe
	s_xor_b32 s1, exec_lo, s2
	s_cbranch_execz .LBB0_269
; %bb.268:
	s_wait_loadcnt 0x0
	s_barrier_signal -1
	s_barrier_wait -1
	global_inv scope:SCOPE_SE
                                        ; implicit-def: $vgpr37
                                        ; implicit-def: $vgpr66
.LBB0_269:
	s_wait_alu 0xfffe
	s_or_saveexec_b32 s2, s1
	v_wmma_f16_16x16x16_f16 v[0:3], v[24:27], v[32:35], v[0:3]
	v_wmma_f16_16x16x16_f16 v[12:15], v[16:19], v[32:35], v[12:15]
	;; [unrolled: 1-line block ×4, first 2 shown]
	s_wait_alu 0xfffe
	s_xor_b32 exec_lo, exec_lo, s2
	s_cbranch_execz .LBB0_273
; %bb.270:
	v_add_nc_u32_e32 v16, v61, v36
	s_delay_alu instid0(VALU_DEP_1) | instskip(NEXT) | instid1(VALU_DEP_1)
	v_mad_i32_i24 v16, 0x90, v16, 0
	v_add_nc_u32_e32 v21, 0x80, v16
	ds_load_2addr_stride64_b64 v[17:20], v21 offset1:9
	s_wait_loadcnt_dscnt 0x0
	s_barrier_signal -1
	s_barrier_wait -1
	global_inv scope:SCOPE_SE
	v_max_num_f32_e32 v16, v19, v19
	v_max_num_f32_e32 v22, v17, v17
	s_delay_alu instid0(VALU_DEP_1) | instskip(SKIP_3) | instid1(VALU_DEP_1)
	v_max_num_f32_e32 v16, v22, v16
	ds_bpermute_b32 v22, v37, v16
	s_wait_dscnt 0x0
	v_max_num_f32_e32 v22, v22, v22
	v_max_num_f32_e32 v16, v16, v22
	s_delay_alu instid0(VALU_DEP_1) | instskip(SKIP_1) | instid1(VALU_DEP_2)
	v_sub_f32_e32 v17, v17, v16
	v_sub_f32_e32 v19, v19, v16
	v_mul_f32_e32 v23, 0x3fb8aa3b, v17
	s_delay_alu instid0(VALU_DEP_2) | instskip(NEXT) | instid1(VALU_DEP_2)
	v_cmp_ngt_f32_e64 s1, 0xc2ce8ed0, v19
	v_fma_f32 v26, 0x3fb8aa3b, v17, -v23
	v_rndne_f32_e32 v27, v23
	s_delay_alu instid0(VALU_DEP_1) | instskip(NEXT) | instid1(VALU_DEP_1)
	v_dual_fmac_f32 v26, 0x32a5705f, v17 :: v_dual_sub_f32 v23, v23, v27
	v_dual_mul_f32 v22, 0x3fb8aa3b, v19 :: v_dual_add_f32 v23, v23, v26
	s_delay_alu instid0(VALU_DEP_1) | instskip(SKIP_1) | instid1(VALU_DEP_3)
	v_fma_f32 v24, 0x3fb8aa3b, v19, -v22
	v_rndne_f32_e32 v25, v22
	v_exp_f32_e32 v23, v23
	s_delay_alu instid0(VALU_DEP_2) | instskip(NEXT) | instid1(VALU_DEP_2)
	v_fmac_f32_e32 v24, 0x32a5705f, v19
	v_sub_f32_e32 v22, v22, v25
	s_delay_alu instid0(VALU_DEP_1) | instskip(SKIP_2) | instid1(VALU_DEP_3)
	v_add_f32_e32 v22, v22, v24
	v_cvt_i32_f32_e32 v24, v25
	v_cvt_i32_f32_e32 v25, v27
	v_exp_f32_e32 v22, v22
	s_delay_alu instid0(TRANS32_DEP_2) | instid1(VALU_DEP_1)
	v_ldexp_f32 v23, v23, v25
	s_delay_alu instid0(TRANS32_DEP_1) | instskip(SKIP_1) | instid1(VALU_DEP_1)
	v_ldexp_f32 v22, v22, v24
	s_wait_alu 0xf1ff
	v_cndmask_b32_e64 v22, 0, v22, s1
	v_cmp_ngt_f32_e64 s1, 0xc2ce8ed0, v17
	s_wait_alu 0xf1ff
	s_delay_alu instid0(VALU_DEP_1) | instskip(SKIP_2) | instid1(VALU_DEP_1)
	v_cndmask_b32_e64 v23, 0, v23, s1
	v_cmp_nlt_f32_e64 s1, 0x42b17218, v19
	s_wait_alu 0xf1ff
	v_cndmask_b32_e64 v19, 0x7f800000, v22, s1
	v_cmp_nlt_f32_e64 s1, 0x42b17218, v17
	s_delay_alu instid0(VALU_DEP_2) | instskip(SKIP_1) | instid1(VALU_DEP_2)
	v_mul_f32_e32 v20, v20, v19
	s_wait_alu 0xf1ff
	v_cndmask_b32_e64 v17, 0x7f800000, v23, s1
	s_mov_b32 s1, 0
	s_delay_alu instid0(VALU_DEP_1) | instskip(SKIP_3) | instid1(VALU_DEP_1)
	v_fmac_f32_e32 v20, v18, v17
	ds_bpermute_b32 v18, v37, v20
	s_wait_dscnt 0x0
	v_add_f32_e32 v18, v20, v18
	v_mov_b32_e32 v20, v18
	ds_store_2addr_stride64_b64 v21, v[17:18], v[19:20] offset1:9
	s_and_saveexec_b32 s3, s0
	s_cbranch_execz .LBB0_272
; %bb.271:
	v_or_b32_e32 v17, v66, v36
	s_add_co_i32 s0, s50, ttmp9
	s_wait_alu 0xfffe
	s_lshl_b32 s0, s0, 4
	s_wait_alu 0xfffe
	s_lshl_b64 s[0:1], s[0:1], 3
	v_lshlrev_b32_e32 v19, 3, v17
	v_mov_b32_e32 v17, v18
	s_wait_alu 0xfffe
	s_add_nc_u64 s[0:1], s[22:23], s[0:1]
	global_store_b64 v19, v[16:17], s[0:1]
.LBB0_272:
	s_wait_alu 0xfffe
	s_or_b32 exec_lo, exec_lo, s3
.LBB0_273:
	s_delay_alu instid0(SALU_CYCLE_1)
	s_or_b32 exec_lo, exec_lo, s2
	v_or_b32_e32 v16, v61, v60
	v_lshlrev_b32_e32 v17, 2, v62
	v_perm_b32 v18, v12, v0, 0x5040100
	v_perm_b32 v0, v12, v0, 0x7060302
	s_mov_b32 s1, 0
	v_mul_i32_i24_e32 v12, 0x90, v16
	v_perm_b32 v16, v13, v1, 0x5040100
	v_perm_b32 v1, v13, v1, 0x7060302
	;; [unrolled: 1-line block ×4, first 2 shown]
	v_add3_u32 v12, 0, v17, v12
	v_perm_b32 v14, v15, v3, 0x5040100
	v_perm_b32 v3, v15, v3, 0x7060302
	;; [unrolled: 1-line block ×10, first 2 shown]
	ds_store_2addr_b32 v12, v18, v0 offset1:1
	ds_store_2addr_b32 v12, v16, v1 offset0:2 offset1:3
	ds_store_2addr_b32 v12, v13, v2 offset0:4 offset1:5
	;; [unrolled: 1-line block ×7, first 2 shown]
	s_wait_storecnt 0x0
	s_wait_loadcnt_dscnt 0x0
	s_barrier_signal -1
	s_barrier_wait -1
	global_inv scope:SCOPE_SE
	s_and_saveexec_b32 s2, vcc_lo
	s_cbranch_execz .LBB0_275
; %bb.274:
	v_lshrrev_b32_e32 v0, 2, v65
	v_bfe_u32 v1, v65, 2, 4
	v_lshlrev_b32_e32 v2, 3, v65
	s_lshl_b32 s0, ttmp9, 9
	s_wait_alu 0xfffe
	s_lshl_b64 s[4:5], s[0:1], 3
	v_add_nc_u32_e32 v13, 1, v0
	v_and_or_b32 v1, 0x3c0, v65, v1
	v_add_lshl_u32 v21, v2, v36, 3
	v_add_nc_u32_e32 v22, 2, v0
	v_add_nc_u32_e32 v23, 3, v0
	v_lshlrev_b32_e32 v3, 2, v13
	v_and_b32_e32 v4, 15, v13
	v_mad_u32_u24 v5, 0x90, v1, 0
	v_mad_u32_u24 v9, 0x90, v1, v59
	v_lshlrev_b32_e32 v12, 2, v22
	v_and_b32_e32 v16, 15, v22
	v_and_or_b32 v6, 0x7c0, v3, v4
	v_add_nc_u32_e32 v11, 0x80, v5
	ds_load_2addr_stride64_b32 v[1:2], v9 offset1:9
	ds_load_2addr_stride64_b32 v[3:4], v11 offset1:9
	v_mad_u32_u24 v5, 0x90, v6, 0
	v_mad_u32_u24 v14, 0x90, v6, v59
	v_and_or_b32 v17, 0x7c0, v12, v16
	v_lshlrev_b32_e32 v25, 5, v13
	v_lshlrev_b32_e32 v18, 2, v23
	v_add_nc_u32_e32 v15, 0x80, v5
	ds_load_2addr_stride64_b32 v[5:6], v14 offset1:9
	ds_load_2addr_stride64_b32 v[7:8], v15 offset1:9
	ds_load_2addr_stride64_b32 v[9:10], v9 offset0:18 offset1:27
	ds_load_2addr_stride64_b32 v[11:12], v11 offset0:18 offset1:27
	v_mad_u32_u24 v20, 0x90, v17, 0
	v_and_b32_e32 v19, 15, v23
	ds_load_2addr_stride64_b32 v[13:14], v14 offset0:18 offset1:27
	ds_load_2addr_stride64_b32 v[15:16], v15 offset0:18 offset1:27
	v_mad_u32_u24 v27, 0x90, v17, v59
	v_add_nc_u32_e32 v24, 4, v0
	v_add_nc_u32_e32 v28, 0x80, v20
	v_and_or_b32 v30, 0x7c0, v18, v19
	ds_load_2addr_stride64_b32 v[17:18], v27 offset1:9
	ds_load_2addr_stride64_b32 v[19:20], v28 offset1:9
	s_wait_dscnt 0x8
	v_fma_mix_f32 v29, v3, v1, 0 op_sel_hi:[0,1,0]
	v_fma_mix_f32 v1, v3, v1, 0 op_sel:[0,1,0] op_sel_hi:[0,1,0]
	v_lshlrev_b32_e32 v26, 2, v24
	s_lshl_b32 s0, s50, 5
	s_wait_alu 0xfffe
	s_add_nc_u64 s[4:5], s[22:23], s[4:5]
	v_fma_mix_f32 v3, v4, v2, v29 op_sel_hi:[0,1,0]
	v_fma_mix_f32 v4, v4, v2, v1 op_sel:[0,1,0] op_sel_hi:[0,1,0]
	s_wait_dscnt 0x6
	v_fma_mix_f32 v29, v7, v5, 0 op_sel_hi:[0,1,0]
	v_fma_mix_f32 v5, v7, v5, 0 op_sel:[0,1,0] op_sel_hi:[0,1,0]
	ds_load_2addr_stride64_b32 v[1:2], v27 offset0:18 offset1:27
	s_wait_dscnt 0x5
	v_fma_mix_f32 v7, v11, v9, v3 op_sel_hi:[0,1,0]
	v_fma_mix_f32 v9, v11, v9, v4 op_sel:[0,1,0] op_sel_hi:[0,1,0]
	v_fma_mix_f32 v11, v8, v6, v29 op_sel_hi:[0,1,0]
	v_fma_mix_f32 v8, v8, v6, v5 op_sel:[0,1,0] op_sel_hi:[0,1,0]
	ds_load_2addr_stride64_b32 v[3:4], v28 offset0:18 offset1:27
	v_fma_mix_f32 v5, v12, v10, v7 op_sel_hi:[0,1,0]
	v_fma_mix_f32 v6, v12, v10, v9 op_sel:[0,1,0] op_sel_hi:[0,1,0]
	v_and_b32_e32 v9, 15, v24
	s_wait_dscnt 0x4
	v_fma_mix_f32 v7, v15, v13, v11 op_sel_hi:[0,1,0]
	v_mad_u32_u24 v10, 0x90, v30, 0
	s_lshl_b64 s[0:1], s[0:1], 3
	v_fma_mix_f32 v8, v15, v13, v8 op_sel:[0,1,0] op_sel_hi:[0,1,0]
	v_and_or_b32 v11, 0x7c0, v26, v9
	s_wait_alu 0xfffe
	s_add_nc_u64 s[0:1], s[4:5], s[0:1]
	v_add_nc_u32_e32 v15, 0x80, v10
	s_wait_dscnt 0x2
	v_fma_mix_f32 v12, v19, v17, 0 op_sel_hi:[0,1,0]
	global_store_b64 v21, v[5:6], s[0:1]
	v_mad_u32_u24 v13, 0x90, v11, 0
	v_mad_u32_u24 v21, 0x90, v30, v59
	v_fma_mix_f32 v5, v16, v14, v7 op_sel_hi:[0,1,0]
	v_fma_mix_f32 v6, v16, v14, v8 op_sel:[0,1,0] op_sel_hi:[0,1,0]
	ds_load_2addr_stride64_b32 v[7:8], v15 offset1:9
	ds_load_2addr_stride64_b32 v[9:10], v21 offset1:9
	v_fma_mix_f32 v14, v19, v17, 0 op_sel:[0,1,0] op_sel_hi:[0,1,0]
	v_fma_mix_f32 v12, v20, v18, v12 op_sel_hi:[0,1,0]
	v_add_nc_u32_e32 v19, 0x80, v13
	v_mad_u32_u24 v26, 0x90, v11, v59
	v_add_nc_u32_e32 v27, 5, v0
	v_fma_mix_f32 v16, v20, v18, v14 op_sel:[0,1,0] op_sel_hi:[0,1,0]
	s_wait_dscnt 0x2
	v_fma_mix_f32 v20, v3, v1, v12 op_sel_hi:[0,1,0]
	ds_load_2addr_stride64_b32 v[11:12], v19 offset1:9
	ds_load_2addr_stride64_b32 v[13:14], v26 offset1:9
	v_add_nc_u32_e32 v31, 6, v0
	v_lshlrev_b32_e32 v28, 2, v27
	v_and_b32_e32 v29, 15, v27
	v_fma_mix_f32 v3, v3, v1, v16 op_sel:[0,1,0] op_sel_hi:[0,1,0]
	ds_load_2addr_stride64_b32 v[15:16], v15 offset0:18 offset1:27
	ds_load_2addr_stride64_b32 v[17:18], v21 offset0:18 offset1:27
	v_add_lshl_u32 v21, v25, v36, 3
	v_fma_mix_f32 v1, v4, v2, v20 op_sel_hi:[0,1,0]
	v_and_or_b32 v25, 0x7c0, v28, v29
	v_fma_mix_f32 v2, v4, v2, v3 op_sel:[0,1,0] op_sel_hi:[0,1,0]
	ds_load_2addr_stride64_b32 v[3:4], v19 offset0:18 offset1:27
	ds_load_2addr_stride64_b32 v[19:20], v26 offset0:18 offset1:27
	v_lshlrev_b32_e32 v22, 5, v22
	s_wait_dscnt 0x6
	v_fma_mix_f32 v28, v7, v9, 0 op_sel_hi:[0,1,0]
	v_mad_u32_u24 v29, 0x90, v25, 0
	v_fma_mix_f32 v7, v7, v9, 0 op_sel:[0,1,0] op_sel_hi:[0,1,0]
	v_mad_u32_u24 v25, 0x90, v25, v59
	v_lshlrev_b32_e32 v23, 5, v23
	v_fma_mix_f32 v28, v8, v10, v28 op_sel_hi:[0,1,0]
	v_add_nc_u32_e32 v26, 0x80, v29
	v_fma_mix_f32 v29, v8, v10, v7 op_sel:[0,1,0] op_sel_hi:[0,1,0]
	s_wait_dscnt 0x4
	v_fma_mix_f32 v30, v11, v13, 0 op_sel_hi:[0,1,0]
	v_fma_mix_f32 v11, v11, v13, 0 op_sel:[0,1,0] op_sel_hi:[0,1,0]
	ds_load_2addr_stride64_b32 v[7:8], v26 offset1:9
	ds_load_2addr_stride64_b32 v[9:10], v25 offset1:9
	v_add_lshl_u32 v22, v22, v36, 3
	s_wait_dscnt 0x4
	v_fma_mix_f32 v28, v15, v17, v28 op_sel_hi:[0,1,0]
	v_fma_mix_f32 v13, v15, v17, v29 op_sel:[0,1,0] op_sel_hi:[0,1,0]
	v_fma_mix_f32 v15, v12, v14, v30 op_sel_hi:[0,1,0]
	v_lshlrev_b32_e32 v17, 2, v31
	v_and_b32_e32 v29, 15, v31
	v_fma_mix_f32 v14, v12, v14, v11 op_sel:[0,1,0] op_sel_hi:[0,1,0]
	v_fma_mix_f32 v12, v16, v18, v13 op_sel:[0,1,0] op_sel_hi:[0,1,0]
	s_wait_dscnt 0x2
	v_fma_mix_f32 v13, v3, v19, v15 op_sel_hi:[0,1,0]
	v_fma_mix_f32 v11, v16, v18, v28 op_sel_hi:[0,1,0]
	v_and_or_b32 v15, 0x7c0, v17, v29
	v_fma_mix_f32 v14, v3, v19, v14 op_sel:[0,1,0] op_sel_hi:[0,1,0]
	v_lshlrev_b32_e32 v16, 5, v24
	v_fma_mix_f32 v3, v4, v20, v13 op_sel_hi:[0,1,0]
	v_add_nc_u32_e32 v24, 7, v0
	v_mad_u32_u24 v13, 0x90, v15, 0
	v_mad_u32_u24 v32, 0x90, v15, v59
	v_fma_mix_f32 v4, v4, v20, v14 op_sel:[0,1,0] op_sel_hi:[0,1,0]
	v_add_lshl_u32 v28, v16, v36, 3
	v_lshlrev_b32_e32 v33, 2, v24
	v_add_nc_u32_e32 v30, 0x80, v13
	v_and_b32_e32 v34, 15, v24
	ds_load_2addr_stride64_b32 v[13:14], v26 offset0:18 offset1:27
	ds_load_2addr_stride64_b32 v[15:16], v25 offset0:18 offset1:27
	ds_load_2addr_stride64_b32 v[17:18], v30 offset1:9
	ds_load_2addr_stride64_b32 v[19:20], v32 offset1:9
	v_add_lshl_u32 v23, v23, v36, 3
	s_wait_dscnt 0x4
	v_fma_mix_f32 v29, v7, v9, 0 op_sel_hi:[0,1,0]
	v_and_or_b32 v25, 0x7c0, v33, v34
	s_clause 0x3
	global_store_b64 v21, v[5:6], s[0:1]
	global_store_b64 v22, v[1:2], s[0:1]
	;; [unrolled: 1-line block ×4, first 2 shown]
	v_add_nc_u32_e32 v22, 8, v0
	v_fma_mix_f32 v5, v7, v9, 0 op_sel:[0,1,0] op_sel_hi:[0,1,0]
	v_fma_mix_f32 v7, v8, v10, v29 op_sel_hi:[0,1,0]
	v_mad_u32_u24 v6, 0x90, v25, 0
	ds_load_2addr_stride64_b32 v[1:2], v30 offset0:18 offset1:27
	ds_load_2addr_stride64_b32 v[3:4], v32 offset0:18 offset1:27
	v_lshlrev_b32_e32 v9, 2, v22
	v_and_b32_e32 v12, 15, v22
	v_mad_u32_u24 v23, 0x90, v25, v59
	v_add_nc_u32_e32 v11, 0x80, v6
	v_fma_mix_f32 v10, v8, v10, v5 op_sel:[0,1,0] op_sel_hi:[0,1,0]
	v_lshlrev_b32_e32 v21, 5, v27
	v_and_or_b32 v26, 0x7c0, v9, v12
	v_lshlrev_b32_e32 v22, 5, v22
	s_wait_dscnt 0x4
	v_fma_mix_f32 v25, v13, v15, v7 op_sel_hi:[0,1,0]
	ds_load_2addr_stride64_b32 v[5:6], v11 offset1:9
	ds_load_2addr_stride64_b32 v[7:8], v23 offset1:9
	s_wait_dscnt 0x4
	v_fma_mix_f32 v12, v17, v19, 0 op_sel_hi:[0,1,0]
	v_fma_mix_f32 v17, v17, v19, 0 op_sel:[0,1,0] op_sel_hi:[0,1,0]
	v_fma_mix_f32 v10, v13, v15, v10 op_sel:[0,1,0] op_sel_hi:[0,1,0]
	v_mad_u32_u24 v13, 0x90, v26, 0
	v_fma_mix_f32 v9, v14, v16, v25 op_sel_hi:[0,1,0]
	v_fma_mix_f32 v15, v18, v20, v12 op_sel_hi:[0,1,0]
	v_fma_mix_f32 v19, v18, v20, v17 op_sel:[0,1,0] op_sel_hi:[0,1,0]
	ds_load_2addr_stride64_b32 v[11:12], v11 offset0:18 offset1:27
	ds_load_2addr_stride64_b32 v[17:18], v23 offset0:18 offset1:27
	v_add_nc_u32_e32 v20, 0x80, v13
	v_mad_u32_u24 v23, 0x90, v26, v59
	v_fma_mix_f32 v10, v14, v16, v10 op_sel:[0,1,0] op_sel_hi:[0,1,0]
	s_wait_dscnt 0x4
	v_fma_mix_f32 v25, v1, v3, v15 op_sel_hi:[0,1,0]
	ds_load_2addr_stride64_b32 v[13:14], v20 offset1:9
	ds_load_2addr_stride64_b32 v[15:16], v23 offset1:9
	v_fma_mix_f32 v3, v1, v3, v19 op_sel:[0,1,0] op_sel_hi:[0,1,0]
	v_lshlrev_b32_e32 v26, 5, v31
	v_fma_mix_f32 v1, v2, v4, v25 op_sel_hi:[0,1,0]
	v_add_nc_u32_e32 v25, 9, v0
	v_add_lshl_u32 v21, v21, v36, 3
	s_wait_dscnt 0x4
	v_fma_mix_f32 v19, v5, v7, 0 op_sel_hi:[0,1,0]
	v_fma_mix_f32 v2, v2, v4, v3 op_sel:[0,1,0] op_sel_hi:[0,1,0]
	v_fma_mix_f32 v5, v5, v7, 0 op_sel:[0,1,0] op_sel_hi:[0,1,0]
	v_and_b32_e32 v27, 15, v25
	v_add_lshl_u32 v26, v26, v36, 3
	v_fma_mix_f32 v7, v6, v8, v19 op_sel_hi:[0,1,0]
	ds_load_2addr_stride64_b32 v[3:4], v20 offset0:18 offset1:27
	ds_load_2addr_stride64_b32 v[19:20], v23 offset0:18 offset1:27
	v_lshlrev_b32_e32 v23, 2, v25
	v_fma_mix_f32 v5, v6, v8, v5 op_sel:[0,1,0] op_sel_hi:[0,1,0]
	v_add_lshl_u32 v22, v22, v36, 3
	s_wait_dscnt 0x4
	v_fma_mix_f32 v6, v11, v17, v7 op_sel_hi:[0,1,0]
	v_lshlrev_b32_e32 v7, 5, v24
	v_and_or_b32 v8, 0x7c0, v23, v27
	v_fma_mix_f32 v11, v11, v17, v5 op_sel:[0,1,0] op_sel_hi:[0,1,0]
	s_wait_dscnt 0x2
	v_fma_mix_f32 v17, v13, v15, 0 op_sel_hi:[0,1,0]
	v_fma_mix_f32 v13, v13, v15, 0 op_sel:[0,1,0] op_sel_hi:[0,1,0]
	v_fma_mix_f32 v5, v12, v18, v6 op_sel_hi:[0,1,0]
	v_mad_u32_u24 v15, 0x90, v8, 0
	v_fma_mix_f32 v6, v12, v18, v11 op_sel:[0,1,0] op_sel_hi:[0,1,0]
	v_add_lshl_u32 v18, v7, v36, 3
	v_fma_mix_f32 v7, v14, v16, v17 op_sel_hi:[0,1,0]
	v_fma_mix_f32 v11, v14, v16, v13 op_sel:[0,1,0] op_sel_hi:[0,1,0]
	v_add_nc_u32_e32 v13, 0x80, v15
	v_add_nc_u32_e32 v23, 10, v0
	v_mad_u32_u24 v15, 0x90, v8, v59
	v_add_nc_u32_e32 v24, 11, v0
	s_wait_dscnt 0x0
	v_fma_mix_f32 v14, v3, v19, v7 op_sel_hi:[0,1,0]
	v_fma_mix_f32 v16, v3, v19, v11 op_sel:[0,1,0] op_sel_hi:[0,1,0]
	ds_load_2addr_stride64_b32 v[7:8], v13 offset1:9
	ds_load_2addr_stride64_b32 v[11:12], v15 offset1:9
	v_lshlrev_b32_e32 v17, 2, v23
	v_and_b32_e32 v19, 15, v23
	v_fma_mix_f32 v3, v4, v20, v14 op_sel_hi:[0,1,0]
	v_fma_mix_f32 v4, v4, v20, v16 op_sel:[0,1,0] op_sel_hi:[0,1,0]
	v_and_b32_e32 v20, 15, v24
	ds_load_2addr_stride64_b32 v[13:14], v13 offset0:18 offset1:27
	ds_load_2addr_stride64_b32 v[15:16], v15 offset0:18 offset1:27
	v_and_or_b32 v17, 0x7c0, v17, v19
	v_lshlrev_b32_e32 v19, 2, v24
	s_clause 0x3
	global_store_b64 v21, v[9:10], s[0:1]
	global_store_b64 v26, v[1:2], s[0:1]
	;; [unrolled: 1-line block ×4, first 2 shown]
	v_add_nc_u32_e32 v26, 12, v0
	v_add_nc_u32_e32 v32, 13, v0
	v_mad_u32_u24 v27, 0x90, v17, 0
	v_and_or_b32 v19, 0x7c0, v19, v20
	v_mad_u32_u24 v17, 0x90, v17, v59
	v_lshlrev_b32_e32 v20, 2, v26
	v_and_b32_e32 v21, 15, v26
	v_add_nc_u32_e32 v9, 0x80, v27
	v_mad_u32_u24 v5, 0x90, v19, 0
	ds_load_2addr_stride64_b32 v[1:2], v9 offset1:9
	ds_load_2addr_stride64_b32 v[3:4], v17 offset1:9
	s_wait_dscnt 0x4
	v_fma_mix_f32 v6, v7, v11, 0 op_sel_hi:[0,1,0]
	v_fma_mix_f32 v7, v7, v11, 0 op_sel:[0,1,0] op_sel_hi:[0,1,0]
	v_add_nc_u32_e32 v18, 0x80, v5
	v_mad_u32_u24 v19, 0x90, v19, v59
	v_and_or_b32 v20, 0x7c0, v20, v21
	v_fma_mix_f32 v10, v8, v12, v6 op_sel_hi:[0,1,0]
	v_fma_mix_f32 v11, v8, v12, v7 op_sel:[0,1,0] op_sel_hi:[0,1,0]
	ds_load_2addr_stride64_b32 v[5:6], v18 offset1:9
	ds_load_2addr_stride64_b32 v[7:8], v19 offset1:9
	v_lshlrev_b32_e32 v21, 5, v25
	v_add_nc_u32_e32 v34, 14, v0
	s_wait_dscnt 0x4
	v_fma_mix_f32 v22, v13, v15, v10 op_sel_hi:[0,1,0]
	v_fma_mix_f32 v15, v13, v15, v11 op_sel:[0,1,0] op_sel_hi:[0,1,0]
	ds_load_2addr_stride64_b32 v[9:10], v9 offset0:18 offset1:27
	ds_load_2addr_stride64_b32 v[11:12], v17 offset0:18 offset1:27
	v_add_lshl_u32 v31, v21, v36, 3
	v_add_nc_u32_e32 v35, 15, v0
	v_fma_mix_f32 v13, v14, v16, v22 op_sel_hi:[0,1,0]
	v_fma_mix_f32 v14, v14, v16, v15 op_sel:[0,1,0] op_sel_hi:[0,1,0]
	ds_load_2addr_stride64_b32 v[15:16], v18 offset0:18 offset1:27
	ds_load_2addr_stride64_b32 v[17:18], v19 offset0:18 offset1:27
	v_mad_u32_u24 v22, 0x90, v20, 0
	s_wait_dscnt 0x6
	v_fma_mix_f32 v19, v1, v3, 0 op_sel_hi:[0,1,0]
	v_fma_mix_f32 v1, v1, v3, 0 op_sel:[0,1,0] op_sel_hi:[0,1,0]
	v_mad_u32_u24 v20, 0x90, v20, v59
	v_lshlrev_b32_e32 v40, 5, v26
	v_add_nc_u32_e32 v21, 0x80, v22
	v_fma_mix_f32 v19, v2, v4, v19 op_sel_hi:[0,1,0]
	v_fma_mix_f32 v22, v2, v4, v1 op_sel:[0,1,0] op_sel_hi:[0,1,0]
	s_wait_dscnt 0x4
	v_fma_mix_f32 v25, v5, v7, 0 op_sel_hi:[0,1,0]
	ds_load_2addr_stride64_b32 v[1:2], v21 offset1:9
	ds_load_2addr_stride64_b32 v[3:4], v20 offset1:9
	v_fma_mix_f32 v5, v5, v7, 0 op_sel:[0,1,0] op_sel_hi:[0,1,0]
	v_lshlrev_b32_e32 v7, 5, v23
	s_wait_dscnt 0x4
	v_fma_mix_f32 v19, v9, v11, v19 op_sel_hi:[0,1,0]
	v_fma_mix_f32 v9, v9, v11, v22 op_sel:[0,1,0] op_sel_hi:[0,1,0]
	v_fma_mix_f32 v11, v6, v8, v25 op_sel_hi:[0,1,0]
	v_fma_mix_f32 v8, v6, v8, v5 op_sel:[0,1,0] op_sel_hi:[0,1,0]
	v_add_lshl_u32 v33, v7, v36, 3
	v_fma_mix_f32 v5, v10, v12, v19 op_sel_hi:[0,1,0]
	v_fma_mix_f32 v6, v10, v12, v9 op_sel:[0,1,0] op_sel_hi:[0,1,0]
	s_wait_dscnt 0x2
	v_fma_mix_f32 v9, v15, v17, v11 op_sel_hi:[0,1,0]
	v_lshlrev_b32_e32 v10, 2, v32
	v_and_b32_e32 v11, 15, v32
	v_fma_mix_f32 v8, v15, v17, v8 op_sel:[0,1,0] op_sel_hi:[0,1,0]
	v_lshlrev_b32_e32 v15, 2, v34
	v_fma_mix_f32 v7, v16, v18, v9 op_sel_hi:[0,1,0]
	v_lshlrev_b32_e32 v22, 2, v35
	v_and_or_b32 v11, 0x7c0, v10, v11
	v_fma_mix_f32 v8, v16, v18, v8 op_sel:[0,1,0] op_sel_hi:[0,1,0]
	v_and_b32_e32 v16, 15, v34
	s_wait_dscnt 0x0
	v_fma_mix_f32 v18, v1, v3, 0 op_sel_hi:[0,1,0]
	v_fma_mix_f32 v3, v1, v3, 0 op_sel:[0,1,0] op_sel_hi:[0,1,0]
	v_mad_u32_u24 v12, 0x90, v11, 0
	ds_load_2addr_stride64_b32 v[9:10], v21 offset0:18 offset1:27
	ds_load_2addr_stride64_b32 v[0:1], v20 offset0:18 offset1:27
	v_and_or_b32 v21, 0x7c0, v15, v16
	v_and_b32_e32 v23, 15, v35
	v_add_nc_u32_e32 v19, 0x80, v12
	v_mad_u32_u24 v20, 0x90, v11, v59
	v_lshlrev_b32_e32 v17, 5, v24
	ds_load_2addr_stride64_b32 v[11:12], v19 offset1:9
	ds_load_2addr_stride64_b32 v[15:16], v20 offset1:9
	v_mad_u32_u24 v24, 0x90, v21, 0
	v_and_or_b32 v23, 0x7c0, v22, v23
	v_mad_u32_u24 v29, 0x90, v21, v59
	v_add_lshl_u32 v37, v17, v36, 3
	v_fma_mix_f32 v25, v2, v4, v18 op_sel_hi:[0,1,0]
	v_add_nc_u32_e32 v27, 0x80, v24
	v_mad_u32_u24 v24, 0x90, v23, 0
	v_fma_mix_f32 v4, v2, v4, v3 op_sel:[0,1,0] op_sel_hi:[0,1,0]
	ds_load_2addr_stride64_b32 v[2:3], v19 offset0:18 offset1:27
	ds_load_2addr_stride64_b32 v[17:18], v20 offset0:18 offset1:27
	ds_load_2addr_stride64_b32 v[19:20], v27 offset1:9
	ds_load_2addr_stride64_b32 v[21:22], v29 offset1:9
	v_mad_u32_u24 v39, 0x90, v23, v59
	v_lshlrev_b32_e32 v32, 5, v32
	v_add_nc_u32_e32 v38, 0x80, v24
	s_wait_dscnt 0x6
	v_fma_mix_f32 v41, v9, v0, v25 op_sel_hi:[0,1,0]
	ds_load_2addr_stride64_b32 v[23:24], v38 offset1:9
	ds_load_2addr_stride64_b32 v[25:26], v39 offset1:9
	v_fma_mix_f32 v4, v9, v0, v4 op_sel:[0,1,0] op_sel_hi:[0,1,0]
	ds_load_2addr_stride64_b32 v[27:28], v27 offset0:18 offset1:27
	ds_load_2addr_stride64_b32 v[29:30], v29 offset0:18 offset1:27
	s_wait_dscnt 0x8
	v_fma_mix_f32 v9, v11, v15, 0 op_sel_hi:[0,1,0]
	v_fma_mix_f32 v11, v11, v15, 0 op_sel:[0,1,0] op_sel_hi:[0,1,0]
	v_fma_mix_f32 v0, v10, v1, v41 op_sel_hi:[0,1,0]
	v_fma_mix_f32 v1, v10, v1, v4 op_sel:[0,1,0] op_sel_hi:[0,1,0]
	s_delay_alu instid0(VALU_DEP_4) | instskip(NEXT) | instid1(VALU_DEP_4)
	v_fma_mix_f32 v15, v12, v16, v9 op_sel_hi:[0,1,0]
	v_fma_mix_f32 v16, v12, v16, v11 op_sel:[0,1,0] op_sel_hi:[0,1,0]
	ds_load_2addr_stride64_b32 v[9:10], v38 offset0:18 offset1:27
	ds_load_2addr_stride64_b32 v[11:12], v39 offset0:18 offset1:27
	s_wait_dscnt 0x8
	v_fma_mix_f32 v4, v2, v17, v15 op_sel_hi:[0,1,0]
	v_fma_mix_f32 v15, v2, v17, v16 op_sel:[0,1,0] op_sel_hi:[0,1,0]
	s_wait_dscnt 0x6
	v_fma_mix_f32 v16, v19, v21, 0 op_sel_hi:[0,1,0]
	v_add_lshl_u32 v17, v40, v36, 3
	v_fma_mix_f32 v2, v3, v18, v4 op_sel_hi:[0,1,0]
	v_fma_mix_f32 v3, v3, v18, v15 op_sel:[0,1,0] op_sel_hi:[0,1,0]
	v_fma_mix_f32 v4, v19, v21, 0 op_sel:[0,1,0] op_sel_hi:[0,1,0]
	v_fma_mix_f32 v15, v20, v22, v16 op_sel_hi:[0,1,0]
	s_wait_dscnt 0x4
	v_fma_mix_f32 v16, v23, v25, 0 op_sel_hi:[0,1,0]
	v_fma_mix_f32 v18, v23, v25, 0 op_sel:[0,1,0] op_sel_hi:[0,1,0]
	v_add_lshl_u32 v19, v32, v36, 3
	v_fma_mix_f32 v4, v20, v22, v4 op_sel:[0,1,0] op_sel_hi:[0,1,0]
	s_wait_dscnt 0x2
	v_fma_mix_f32 v15, v27, v29, v15 op_sel_hi:[0,1,0]
	v_fma_mix_f32 v16, v24, v26, v16 op_sel_hi:[0,1,0]
	v_fma_mix_f32 v18, v24, v26, v18 op_sel:[0,1,0] op_sel_hi:[0,1,0]
	v_lshlrev_b32_e32 v20, 5, v34
	v_fma_mix_f32 v4, v27, v29, v4 op_sel:[0,1,0] op_sel_hi:[0,1,0]
	v_fma_mix_f32 v15, v28, v30, v15 op_sel_hi:[0,1,0]
	s_wait_dscnt 0x0
	v_fma_mix_f32 v21, v9, v11, v16 op_sel_hi:[0,1,0]
	v_fma_mix_f32 v11, v9, v11, v18 op_sel:[0,1,0] op_sel_hi:[0,1,0]
	v_lshlrev_b32_e32 v18, 5, v35
	v_fma_mix_f32 v16, v28, v30, v4 op_sel:[0,1,0] op_sel_hi:[0,1,0]
	v_add_lshl_u32 v4, v20, v36, 3
	v_fma_mix_f32 v9, v10, v12, v21 op_sel_hi:[0,1,0]
	v_fma_mix_f32 v10, v10, v12, v11 op_sel:[0,1,0] op_sel_hi:[0,1,0]
	v_add_lshl_u32 v11, v18, v36, 3
	s_clause 0x6
	global_store_b64 v31, v[13:14], s[0:1]
	global_store_b64 v33, v[5:6], s[0:1]
	;; [unrolled: 1-line block ×7, first 2 shown]
.LBB0_275:
	s_wait_alu 0xfffe
	s_or_b32 exec_lo, exec_lo, s2
	s_wait_loadcnt 0x0
	s_wait_storecnt 0x0
	s_barrier_signal -1
	s_barrier_wait -1
	global_inv scope:SCOPE_SE
	s_endpgm
	.section	.rodata,"a",@progbits
	.p2align	6, 0x0
	.amdhsa_kernel _ZL18flash_attn_ext_f16ILi64ELi64ELi8ELi2ELb0ELb0EEvPKcS1_S1_S1_S1_PKiPfP15HIP_vector_typeIfLj2EEffffjfiS5_IjLj3EEiiiiiiiiiiiliiliiiiil
		.amdhsa_group_segment_fixed_size 0
		.amdhsa_private_segment_fixed_size 0
		.amdhsa_kernarg_size 464
		.amdhsa_user_sgpr_count 2
		.amdhsa_user_sgpr_dispatch_ptr 0
		.amdhsa_user_sgpr_queue_ptr 0
		.amdhsa_user_sgpr_kernarg_segment_ptr 1
		.amdhsa_user_sgpr_dispatch_id 0
		.amdhsa_user_sgpr_private_segment_size 0
		.amdhsa_wavefront_size32 1
		.amdhsa_uses_dynamic_stack 0
		.amdhsa_enable_private_segment 0
		.amdhsa_system_sgpr_workgroup_id_x 1
		.amdhsa_system_sgpr_workgroup_id_y 0
		.amdhsa_system_sgpr_workgroup_id_z 0
		.amdhsa_system_sgpr_workgroup_info 0
		.amdhsa_system_vgpr_workitem_id 1
		.amdhsa_next_free_vgpr 208
		.amdhsa_next_free_sgpr 105
		.amdhsa_reserve_vcc 1
		.amdhsa_float_round_mode_32 0
		.amdhsa_float_round_mode_16_64 0
		.amdhsa_float_denorm_mode_32 3
		.amdhsa_float_denorm_mode_16_64 3
		.amdhsa_fp16_overflow 0
		.amdhsa_workgroup_processor_mode 1
		.amdhsa_memory_ordered 1
		.amdhsa_forward_progress 1
		.amdhsa_inst_pref_size 255
		.amdhsa_round_robin_scheduling 0
		.amdhsa_exception_fp_ieee_invalid_op 0
		.amdhsa_exception_fp_denorm_src 0
		.amdhsa_exception_fp_ieee_div_zero 0
		.amdhsa_exception_fp_ieee_overflow 0
		.amdhsa_exception_fp_ieee_underflow 0
		.amdhsa_exception_fp_ieee_inexact 0
		.amdhsa_exception_int_div_zero 0
	.end_amdhsa_kernel
	.section	.text._ZL18flash_attn_ext_f16ILi64ELi64ELi8ELi2ELb0ELb0EEvPKcS1_S1_S1_S1_PKiPfP15HIP_vector_typeIfLj2EEffffjfiS5_IjLj3EEiiiiiiiiiiiliiliiiiil,"axG",@progbits,_ZL18flash_attn_ext_f16ILi64ELi64ELi8ELi2ELb0ELb0EEvPKcS1_S1_S1_S1_PKiPfP15HIP_vector_typeIfLj2EEffffjfiS5_IjLj3EEiiiiiiiiiiiliiliiiiil,comdat
.Lfunc_end0:
	.size	_ZL18flash_attn_ext_f16ILi64ELi64ELi8ELi2ELb0ELb0EEvPKcS1_S1_S1_S1_PKiPfP15HIP_vector_typeIfLj2EEffffjfiS5_IjLj3EEiiiiiiiiiiiliiliiiiil, .Lfunc_end0-_ZL18flash_attn_ext_f16ILi64ELi64ELi8ELi2ELb0ELb0EEvPKcS1_S1_S1_S1_PKiPfP15HIP_vector_typeIfLj2EEffffjfiS5_IjLj3EEiiiiiiiiiiiliiliiiiil
                                        ; -- End function
	.set _ZL18flash_attn_ext_f16ILi64ELi64ELi8ELi2ELb0ELb0EEvPKcS1_S1_S1_S1_PKiPfP15HIP_vector_typeIfLj2EEffffjfiS5_IjLj3EEiiiiiiiiiiiliiliiiiil.num_vgpr, 208
	.set _ZL18flash_attn_ext_f16ILi64ELi64ELi8ELi2ELb0ELb0EEvPKcS1_S1_S1_S1_PKiPfP15HIP_vector_typeIfLj2EEffffjfiS5_IjLj3EEiiiiiiiiiiiliiliiiiil.num_agpr, 0
	.set _ZL18flash_attn_ext_f16ILi64ELi64ELi8ELi2ELb0ELb0EEvPKcS1_S1_S1_S1_PKiPfP15HIP_vector_typeIfLj2EEffffjfiS5_IjLj3EEiiiiiiiiiiiliiliiiiil.numbered_sgpr, 105
	.set _ZL18flash_attn_ext_f16ILi64ELi64ELi8ELi2ELb0ELb0EEvPKcS1_S1_S1_S1_PKiPfP15HIP_vector_typeIfLj2EEffffjfiS5_IjLj3EEiiiiiiiiiiiliiliiiiil.num_named_barrier, 0
	.set _ZL18flash_attn_ext_f16ILi64ELi64ELi8ELi2ELb0ELb0EEvPKcS1_S1_S1_S1_PKiPfP15HIP_vector_typeIfLj2EEffffjfiS5_IjLj3EEiiiiiiiiiiiliiliiiiil.private_seg_size, 0
	.set _ZL18flash_attn_ext_f16ILi64ELi64ELi8ELi2ELb0ELb0EEvPKcS1_S1_S1_S1_PKiPfP15HIP_vector_typeIfLj2EEffffjfiS5_IjLj3EEiiiiiiiiiiiliiliiiiil.uses_vcc, 1
	.set _ZL18flash_attn_ext_f16ILi64ELi64ELi8ELi2ELb0ELb0EEvPKcS1_S1_S1_S1_PKiPfP15HIP_vector_typeIfLj2EEffffjfiS5_IjLj3EEiiiiiiiiiiiliiliiiiil.uses_flat_scratch, 0
	.set _ZL18flash_attn_ext_f16ILi64ELi64ELi8ELi2ELb0ELb0EEvPKcS1_S1_S1_S1_PKiPfP15HIP_vector_typeIfLj2EEffffjfiS5_IjLj3EEiiiiiiiiiiiliiliiiiil.has_dyn_sized_stack, 0
	.set _ZL18flash_attn_ext_f16ILi64ELi64ELi8ELi2ELb0ELb0EEvPKcS1_S1_S1_S1_PKiPfP15HIP_vector_typeIfLj2EEffffjfiS5_IjLj3EEiiiiiiiiiiiliiliiiiil.has_recursion, 0
	.set _ZL18flash_attn_ext_f16ILi64ELi64ELi8ELi2ELb0ELb0EEvPKcS1_S1_S1_S1_PKiPfP15HIP_vector_typeIfLj2EEffffjfiS5_IjLj3EEiiiiiiiiiiiliiliiiiil.has_indirect_call, 0
	.section	.AMDGPU.csdata,"",@progbits
; Kernel info:
; codeLenInByte = 47216
; TotalNumSgprs: 107
; NumVgprs: 208
; ScratchSize: 0
; MemoryBound: 0
; FloatMode: 240
; IeeeMode: 1
; LDSByteSize: 0 bytes/workgroup (compile time only)
; SGPRBlocks: 0
; VGPRBlocks: 25
; NumSGPRsForWavesPerEU: 107
; NumVGPRsForWavesPerEU: 208
; Occupancy: 7
; WaveLimiterHint : 0
; COMPUTE_PGM_RSRC2:SCRATCH_EN: 0
; COMPUTE_PGM_RSRC2:USER_SGPR: 2
; COMPUTE_PGM_RSRC2:TRAP_HANDLER: 0
; COMPUTE_PGM_RSRC2:TGID_X_EN: 1
; COMPUTE_PGM_RSRC2:TGID_Y_EN: 0
; COMPUTE_PGM_RSRC2:TGID_Z_EN: 0
; COMPUTE_PGM_RSRC2:TIDIG_COMP_CNT: 1
	.text
	.p2align	2                               ; -- Begin function __ockl_printf_append_string_n
	.type	__ockl_printf_append_string_n,@function
__ockl_printf_append_string_n:          ; @__ockl_printf_append_string_n
; %bb.0:
	s_wait_loadcnt_dscnt 0x0
	s_wait_expcnt 0x0
	s_wait_samplecnt 0x0
	s_wait_bvhcnt 0x0
	s_wait_kmcnt 0x0
	v_mov_b32_e32 v3, v0
	v_mbcnt_lo_u32_b32 v38, -1, 0
	s_getpc_b64 s[0:1]
	s_wait_alu 0xfffe
	s_sext_i32_i16 s1, s1
	s_add_co_u32 s0, s0, __FUNCTION__._ZL18flash_attn_ext_f16ILi64ELi64ELi8ELi2ELb1ELb0EEvPKcS1_S1_S1_S1_PKiPfP15HIP_vector_typeIfLj2EEffffjfiS5_IjLj3EEiiiiiiiiiiiliiliiiiil@rel32@lo+12
	s_wait_alu 0xfffe
	s_add_co_ci_u32 s1, s1, __FUNCTION__._ZL18flash_attn_ext_f16ILi64ELi64ELi8ELi2ELb1ELb0EEvPKcS1_S1_S1_S1_PKiPfP15HIP_vector_typeIfLj2EEffffjfiS5_IjLj3EEiiiiiiiiiiiliiliiiiil@rel32@hi+24
	s_wait_alu 0xfffe
	s_cmp_lg_u64 s[0:1], 0
	s_cbranch_scc0 .LBB1_87
; %bb.1:
	s_load_b64 s[2:3], s[8:9], 0x50
	s_getpc_b64 s[0:1]
	s_wait_alu 0xfffe
	s_sext_i32_i16 s1, s1
	s_add_co_u32 s0, s0, __FUNCTION__._ZL18flash_attn_ext_f16ILi64ELi64ELi8ELi2ELb1ELb0EEvPKcS1_S1_S1_S1_PKiPfP15HIP_vector_typeIfLj2EEffffjfiS5_IjLj3EEiiiiiiiiiiiliiliiiiil@rel32@lo+12
	s_wait_alu 0xfffe
	s_add_co_ci_u32 s1, s1, __FUNCTION__._ZL18flash_attn_ext_f16ILi64ELi64ELi8ELi2ELb1ELb0EEvPKcS1_S1_S1_S1_PKiPfP15HIP_vector_typeIfLj2EEffffjfiS5_IjLj3EEiiiiiiiiiiiliiliiiiil@rel32@hi+24
	s_wait_alu 0xfffe
	v_dual_mov_b32 v31, s1 :: v_dual_and_b32 v0, -3, v3
	v_dual_mov_b32 v12, 2 :: v_dual_mov_b32 v7, v1
	v_dual_mov_b32 v11, 0 :: v_dual_and_b32 v2, 2, v3
	v_dual_mov_b32 v30, s0 :: v_dual_mov_b32 v13, 1
	s_delay_alu instid0(VALU_DEP_4)
	v_mov_b32_e32 v6, v0
	s_mov_b32 s7, 0
	s_mov_b32 s6, 0
	s_branch .LBB1_3
.LBB1_2:                                ;   in Loop: Header=BB1_3 Depth=1
	s_wait_alu 0xfffe
	s_or_b32 exec_lo, exec_lo, s10
	v_sub_co_u32 v4, vcc_lo, v4, v32
	s_wait_alu 0xfffd
	v_sub_co_ci_u32_e64 v5, null, v5, v33, vcc_lo
	v_add_co_u32 v30, s0, v30, v32
	s_wait_alu 0xf1ff
	v_add_co_ci_u32_e64 v31, null, v31, v33, s0
	s_delay_alu instid0(VALU_DEP_3)
	v_cmp_eq_u64_e32 vcc_lo, 0, v[4:5]
	s_or_b32 s6, vcc_lo, s6
	s_wait_alu 0xfffe
	s_and_not1_b32 exec_lo, exec_lo, s6
	s_cbranch_execz .LBB1_85
.LBB1_3:                                ; =>This Loop Header: Depth=1
                                        ;     Child Loop BB1_6 Depth 2
                                        ;     Child Loop BB1_14 Depth 2
	;; [unrolled: 1-line block ×11, first 2 shown]
	v_cmp_gt_u64_e32 vcc_lo, 56, v[4:5]
	s_mov_b32 s1, exec_lo
	s_wait_alu 0xfffd
	v_dual_cndmask_b32 v33, 0, v5 :: v_dual_cndmask_b32 v32, 56, v4
	v_add_co_u32 v16, vcc_lo, v30, 8
	s_wait_alu 0xfffd
	v_add_co_ci_u32_e64 v17, null, 0, v31, vcc_lo
	v_cmpx_gt_u64_e32 8, v[4:5]
	s_wait_alu 0xfffe
	s_xor_b32 s1, exec_lo, s1
	s_cbranch_execz .LBB1_9
; %bb.4:                                ;   in Loop: Header=BB1_3 Depth=1
	v_mov_b32_e32 v8, 0
	v_mov_b32_e32 v9, 0
	s_mov_b32 s10, exec_lo
	v_cmpx_ne_u64_e32 0, v[4:5]
	s_cbranch_execz .LBB1_8
; %bb.5:                                ;   in Loop: Header=BB1_3 Depth=1
	v_lshlrev_b64_e32 v[14:15], 3, v[32:33]
	v_dual_mov_b32 v8, 0 :: v_dual_mov_b32 v15, v30
	v_dual_mov_b32 v9, 0 :: v_dual_mov_b32 v16, v31
	s_mov_b64 s[4:5], 0
	s_mov_b32 s11, 0
.LBB1_6:                                ;   Parent Loop BB1_3 Depth=1
                                        ; =>  This Inner Loop Header: Depth=2
	global_load_u8 v0, v[15:16], off
	v_mov_b32_e32 v18, s7
	v_add_co_u32 v15, vcc_lo, v15, 1
	s_wait_alu 0xfffd
	v_add_co_ci_u32_e64 v16, null, 0, v16, vcc_lo
	s_wait_loadcnt 0x0
	v_and_b32_e32 v17, 0xffff, v0
	s_wait_alu 0xfffe
	s_delay_alu instid0(VALU_DEP_1) | instskip(SKIP_3) | instid1(VALU_DEP_2)
	v_lshlrev_b64_e32 v[17:18], s4, v[17:18]
	s_add_nc_u64 s[4:5], s[4:5], 8
	s_wait_alu 0xfffe
	v_cmp_eq_u32_e64 s0, s4, v14
	v_or_b32_e32 v9, v18, v9
	s_delay_alu instid0(VALU_DEP_3)
	v_or_b32_e32 v8, v17, v8
	s_or_b32 s11, s0, s11
	s_wait_alu 0xfffe
	s_and_not1_b32 exec_lo, exec_lo, s11
	s_cbranch_execnz .LBB1_6
; %bb.7:                                ;   in Loop: Header=BB1_3 Depth=1
	s_or_b32 exec_lo, exec_lo, s11
.LBB1_8:                                ;   in Loop: Header=BB1_3 Depth=1
	s_wait_alu 0xfffe
	s_or_b32 exec_lo, exec_lo, s10
	v_dual_mov_b32 v16, v30 :: v_dual_mov_b32 v17, v31
.LBB1_9:                                ;   in Loop: Header=BB1_3 Depth=1
	s_wait_alu 0xfffe
	s_or_saveexec_b32 s0, s1
	v_mov_b32_e32 v0, 0
	s_wait_alu 0xfffe
	s_xor_b32 exec_lo, exec_lo, s0
	s_cbranch_execz .LBB1_11
; %bb.10:                               ;   in Loop: Header=BB1_3 Depth=1
	global_load_b64 v[8:9], v[30:31], off
	v_add_nc_u32_e32 v0, -8, v32
.LBB1_11:                               ;   in Loop: Header=BB1_3 Depth=1
	s_or_b32 exec_lo, exec_lo, s0
	v_add_co_u32 v18, s0, v16, 8
	s_wait_alu 0xf1ff
	v_add_co_ci_u32_e64 v19, null, 0, v17, s0
                                        ; implicit-def: $vgpr14_vgpr15
	s_mov_b32 s0, exec_lo
	v_cmpx_gt_u32_e32 8, v0
	s_wait_alu 0xfffe
	s_xor_b32 s10, exec_lo, s0
	s_cbranch_execz .LBB1_17
; %bb.12:                               ;   in Loop: Header=BB1_3 Depth=1
	v_mov_b32_e32 v14, 0
	v_mov_b32_e32 v15, 0
	s_mov_b32 s11, exec_lo
	v_cmpx_ne_u32_e32 0, v0
	s_cbranch_execz .LBB1_16
; %bb.13:                               ;   in Loop: Header=BB1_3 Depth=1
	v_mov_b32_e32 v14, 0
	v_mov_b32_e32 v15, 0
	s_mov_b64 s[0:1], 0
	s_mov_b32 s12, 0
	s_mov_b64 s[4:5], 0
.LBB1_14:                               ;   Parent Loop BB1_3 Depth=1
                                        ; =>  This Inner Loop Header: Depth=2
	s_wait_alu 0xfffe
	v_add_co_u32 v18, vcc_lo, v16, s4
	s_wait_alu 0xfffd
	v_add_co_ci_u32_e64 v19, null, s5, v17, vcc_lo
	s_add_nc_u64 s[4:5], s[4:5], 1
	s_wait_alu 0xfffe
	v_cmp_eq_u32_e32 vcc_lo, s4, v0
	global_load_u8 v10, v[18:19], off
	v_mov_b32_e32 v19, s7
	s_or_b32 s12, vcc_lo, s12
	s_wait_loadcnt 0x0
	v_and_b32_e32 v18, 0xffff, v10
	s_delay_alu instid0(VALU_DEP_1) | instskip(SKIP_1) | instid1(VALU_DEP_1)
	v_lshlrev_b64_e32 v[18:19], s0, v[18:19]
	s_add_nc_u64 s[0:1], s[0:1], 8
	v_or_b32_e32 v15, v19, v15
	s_delay_alu instid0(VALU_DEP_2)
	v_or_b32_e32 v14, v18, v14
	s_wait_alu 0xfffe
	s_and_not1_b32 exec_lo, exec_lo, s12
	s_cbranch_execnz .LBB1_14
; %bb.15:                               ;   in Loop: Header=BB1_3 Depth=1
	s_or_b32 exec_lo, exec_lo, s12
.LBB1_16:                               ;   in Loop: Header=BB1_3 Depth=1
	s_wait_alu 0xfffe
	s_or_b32 exec_lo, exec_lo, s11
	v_dual_mov_b32 v19, v17 :: v_dual_mov_b32 v18, v16
                                        ; implicit-def: $vgpr0
.LBB1_17:                               ;   in Loop: Header=BB1_3 Depth=1
	s_wait_alu 0xfffe
	s_or_saveexec_b32 s0, s10
	v_mov_b32_e32 v10, 0
	s_wait_alu 0xfffe
	s_xor_b32 exec_lo, exec_lo, s0
	s_cbranch_execz .LBB1_19
; %bb.18:                               ;   in Loop: Header=BB1_3 Depth=1
	global_load_b64 v[14:15], v[16:17], off
	v_add_nc_u32_e32 v10, -8, v0
.LBB1_19:                               ;   in Loop: Header=BB1_3 Depth=1
	s_or_b32 exec_lo, exec_lo, s0
	v_add_co_u32 v20, s0, v18, 8
	s_wait_alu 0xf1ff
	v_add_co_ci_u32_e64 v21, null, 0, v19, s0
	s_mov_b32 s0, exec_lo
	v_cmpx_gt_u32_e32 8, v10
	s_wait_alu 0xfffe
	s_xor_b32 s10, exec_lo, s0
	s_cbranch_execz .LBB1_25
; %bb.20:                               ;   in Loop: Header=BB1_3 Depth=1
	v_mov_b32_e32 v16, 0
	v_mov_b32_e32 v17, 0
	s_mov_b32 s11, exec_lo
	v_cmpx_ne_u32_e32 0, v10
	s_cbranch_execz .LBB1_24
; %bb.21:                               ;   in Loop: Header=BB1_3 Depth=1
	v_mov_b32_e32 v16, 0
	v_mov_b32_e32 v17, 0
	s_mov_b64 s[0:1], 0
	s_mov_b32 s12, 0
	s_mov_b64 s[4:5], 0
.LBB1_22:                               ;   Parent Loop BB1_3 Depth=1
                                        ; =>  This Inner Loop Header: Depth=2
	s_wait_alu 0xfffe
	v_add_co_u32 v20, vcc_lo, v18, s4
	s_wait_alu 0xfffd
	v_add_co_ci_u32_e64 v21, null, s5, v19, vcc_lo
	s_add_nc_u64 s[4:5], s[4:5], 1
	s_wait_alu 0xfffe
	v_cmp_eq_u32_e32 vcc_lo, s4, v10
	global_load_u8 v0, v[20:21], off
	v_mov_b32_e32 v21, s7
	s_or_b32 s12, vcc_lo, s12
	s_wait_loadcnt 0x0
	v_and_b32_e32 v20, 0xffff, v0
	s_delay_alu instid0(VALU_DEP_1) | instskip(SKIP_1) | instid1(VALU_DEP_1)
	v_lshlrev_b64_e32 v[20:21], s0, v[20:21]
	s_add_nc_u64 s[0:1], s[0:1], 8
	v_or_b32_e32 v17, v21, v17
	s_delay_alu instid0(VALU_DEP_2)
	v_or_b32_e32 v16, v20, v16
	s_wait_alu 0xfffe
	s_and_not1_b32 exec_lo, exec_lo, s12
	s_cbranch_execnz .LBB1_22
; %bb.23:                               ;   in Loop: Header=BB1_3 Depth=1
	s_or_b32 exec_lo, exec_lo, s12
.LBB1_24:                               ;   in Loop: Header=BB1_3 Depth=1
	s_wait_alu 0xfffe
	s_or_b32 exec_lo, exec_lo, s11
	v_dual_mov_b32 v21, v19 :: v_dual_mov_b32 v20, v18
                                        ; implicit-def: $vgpr10
.LBB1_25:                               ;   in Loop: Header=BB1_3 Depth=1
	s_wait_alu 0xfffe
	s_or_saveexec_b32 s0, s10
	v_mov_b32_e32 v0, 0
	s_wait_alu 0xfffe
	s_xor_b32 exec_lo, exec_lo, s0
	s_cbranch_execz .LBB1_27
; %bb.26:                               ;   in Loop: Header=BB1_3 Depth=1
	global_load_b64 v[16:17], v[18:19], off
	v_add_nc_u32_e32 v0, -8, v10
.LBB1_27:                               ;   in Loop: Header=BB1_3 Depth=1
	s_or_b32 exec_lo, exec_lo, s0
	v_add_co_u32 v22, s0, v20, 8
	s_wait_alu 0xf1ff
	v_add_co_ci_u32_e64 v23, null, 0, v21, s0
                                        ; implicit-def: $vgpr18_vgpr19
	s_mov_b32 s0, exec_lo
	v_cmpx_gt_u32_e32 8, v0
	s_wait_alu 0xfffe
	s_xor_b32 s10, exec_lo, s0
	s_cbranch_execz .LBB1_33
; %bb.28:                               ;   in Loop: Header=BB1_3 Depth=1
	v_mov_b32_e32 v18, 0
	v_mov_b32_e32 v19, 0
	s_mov_b32 s11, exec_lo
	v_cmpx_ne_u32_e32 0, v0
	s_cbranch_execz .LBB1_32
; %bb.29:                               ;   in Loop: Header=BB1_3 Depth=1
	v_mov_b32_e32 v18, 0
	v_mov_b32_e32 v19, 0
	s_mov_b64 s[0:1], 0
	s_mov_b32 s12, 0
	s_mov_b64 s[4:5], 0
.LBB1_30:                               ;   Parent Loop BB1_3 Depth=1
                                        ; =>  This Inner Loop Header: Depth=2
	s_wait_alu 0xfffe
	v_add_co_u32 v22, vcc_lo, v20, s4
	s_wait_alu 0xfffd
	v_add_co_ci_u32_e64 v23, null, s5, v21, vcc_lo
	s_add_nc_u64 s[4:5], s[4:5], 1
	s_wait_alu 0xfffe
	v_cmp_eq_u32_e32 vcc_lo, s4, v0
	global_load_u8 v10, v[22:23], off
	v_mov_b32_e32 v23, s7
	s_or_b32 s12, vcc_lo, s12
	s_wait_loadcnt 0x0
	v_and_b32_e32 v22, 0xffff, v10
	s_delay_alu instid0(VALU_DEP_1) | instskip(SKIP_1) | instid1(VALU_DEP_1)
	v_lshlrev_b64_e32 v[22:23], s0, v[22:23]
	s_add_nc_u64 s[0:1], s[0:1], 8
	v_or_b32_e32 v19, v23, v19
	s_delay_alu instid0(VALU_DEP_2)
	v_or_b32_e32 v18, v22, v18
	s_wait_alu 0xfffe
	s_and_not1_b32 exec_lo, exec_lo, s12
	s_cbranch_execnz .LBB1_30
; %bb.31:                               ;   in Loop: Header=BB1_3 Depth=1
	s_or_b32 exec_lo, exec_lo, s12
.LBB1_32:                               ;   in Loop: Header=BB1_3 Depth=1
	s_wait_alu 0xfffe
	s_or_b32 exec_lo, exec_lo, s11
	v_dual_mov_b32 v23, v21 :: v_dual_mov_b32 v22, v20
                                        ; implicit-def: $vgpr0
.LBB1_33:                               ;   in Loop: Header=BB1_3 Depth=1
	s_wait_alu 0xfffe
	s_or_saveexec_b32 s0, s10
	v_mov_b32_e32 v10, 0
	s_wait_alu 0xfffe
	s_xor_b32 exec_lo, exec_lo, s0
	s_cbranch_execz .LBB1_35
; %bb.34:                               ;   in Loop: Header=BB1_3 Depth=1
	global_load_b64 v[18:19], v[20:21], off
	v_add_nc_u32_e32 v10, -8, v0
.LBB1_35:                               ;   in Loop: Header=BB1_3 Depth=1
	s_or_b32 exec_lo, exec_lo, s0
	v_add_co_u32 v24, s0, v22, 8
	s_wait_alu 0xf1ff
	v_add_co_ci_u32_e64 v25, null, 0, v23, s0
	s_mov_b32 s0, exec_lo
	v_cmpx_gt_u32_e32 8, v10
	s_wait_alu 0xfffe
	s_xor_b32 s10, exec_lo, s0
	s_cbranch_execz .LBB1_41
; %bb.36:                               ;   in Loop: Header=BB1_3 Depth=1
	v_mov_b32_e32 v20, 0
	v_mov_b32_e32 v21, 0
	s_mov_b32 s11, exec_lo
	v_cmpx_ne_u32_e32 0, v10
	s_cbranch_execz .LBB1_40
; %bb.37:                               ;   in Loop: Header=BB1_3 Depth=1
	v_mov_b32_e32 v20, 0
	v_mov_b32_e32 v21, 0
	s_mov_b64 s[0:1], 0
	s_mov_b32 s12, 0
	s_mov_b64 s[4:5], 0
.LBB1_38:                               ;   Parent Loop BB1_3 Depth=1
                                        ; =>  This Inner Loop Header: Depth=2
	s_wait_alu 0xfffe
	v_add_co_u32 v24, vcc_lo, v22, s4
	s_wait_alu 0xfffd
	v_add_co_ci_u32_e64 v25, null, s5, v23, vcc_lo
	s_add_nc_u64 s[4:5], s[4:5], 1
	s_wait_alu 0xfffe
	v_cmp_eq_u32_e32 vcc_lo, s4, v10
	global_load_u8 v0, v[24:25], off
	v_mov_b32_e32 v25, s7
	s_or_b32 s12, vcc_lo, s12
	s_wait_loadcnt 0x0
	v_and_b32_e32 v24, 0xffff, v0
	s_delay_alu instid0(VALU_DEP_1) | instskip(SKIP_1) | instid1(VALU_DEP_1)
	v_lshlrev_b64_e32 v[24:25], s0, v[24:25]
	s_add_nc_u64 s[0:1], s[0:1], 8
	v_or_b32_e32 v21, v25, v21
	s_delay_alu instid0(VALU_DEP_2)
	v_or_b32_e32 v20, v24, v20
	s_wait_alu 0xfffe
	s_and_not1_b32 exec_lo, exec_lo, s12
	s_cbranch_execnz .LBB1_38
; %bb.39:                               ;   in Loop: Header=BB1_3 Depth=1
	s_or_b32 exec_lo, exec_lo, s12
.LBB1_40:                               ;   in Loop: Header=BB1_3 Depth=1
	s_wait_alu 0xfffe
	s_or_b32 exec_lo, exec_lo, s11
	v_dual_mov_b32 v25, v23 :: v_dual_mov_b32 v24, v22
                                        ; implicit-def: $vgpr10
.LBB1_41:                               ;   in Loop: Header=BB1_3 Depth=1
	s_wait_alu 0xfffe
	s_or_saveexec_b32 s0, s10
	v_mov_b32_e32 v0, 0
	s_wait_alu 0xfffe
	s_xor_b32 exec_lo, exec_lo, s0
	s_cbranch_execz .LBB1_43
; %bb.42:                               ;   in Loop: Header=BB1_3 Depth=1
	global_load_b64 v[20:21], v[22:23], off
	v_add_nc_u32_e32 v0, -8, v10
.LBB1_43:                               ;   in Loop: Header=BB1_3 Depth=1
	s_or_b32 exec_lo, exec_lo, s0
	v_add_co_u32 v26, s0, v24, 8
	s_wait_alu 0xf1ff
	v_add_co_ci_u32_e64 v27, null, 0, v25, s0
                                        ; implicit-def: $vgpr22_vgpr23
	s_mov_b32 s0, exec_lo
	v_cmpx_gt_u32_e32 8, v0
	s_wait_alu 0xfffe
	s_xor_b32 s10, exec_lo, s0
	s_cbranch_execz .LBB1_49
; %bb.44:                               ;   in Loop: Header=BB1_3 Depth=1
	v_mov_b32_e32 v22, 0
	v_mov_b32_e32 v23, 0
	s_mov_b32 s11, exec_lo
	v_cmpx_ne_u32_e32 0, v0
	s_cbranch_execz .LBB1_48
; %bb.45:                               ;   in Loop: Header=BB1_3 Depth=1
	v_mov_b32_e32 v22, 0
	v_mov_b32_e32 v23, 0
	s_mov_b64 s[0:1], 0
	s_mov_b32 s12, 0
	s_mov_b64 s[4:5], 0
.LBB1_46:                               ;   Parent Loop BB1_3 Depth=1
                                        ; =>  This Inner Loop Header: Depth=2
	s_wait_alu 0xfffe
	v_add_co_u32 v26, vcc_lo, v24, s4
	s_wait_alu 0xfffd
	v_add_co_ci_u32_e64 v27, null, s5, v25, vcc_lo
	s_add_nc_u64 s[4:5], s[4:5], 1
	s_wait_alu 0xfffe
	v_cmp_eq_u32_e32 vcc_lo, s4, v0
	global_load_u8 v10, v[26:27], off
	v_mov_b32_e32 v27, s7
	s_or_b32 s12, vcc_lo, s12
	s_wait_loadcnt 0x0
	v_and_b32_e32 v26, 0xffff, v10
	s_delay_alu instid0(VALU_DEP_1) | instskip(SKIP_1) | instid1(VALU_DEP_1)
	v_lshlrev_b64_e32 v[26:27], s0, v[26:27]
	s_add_nc_u64 s[0:1], s[0:1], 8
	v_or_b32_e32 v23, v27, v23
	s_delay_alu instid0(VALU_DEP_2)
	v_or_b32_e32 v22, v26, v22
	s_wait_alu 0xfffe
	s_and_not1_b32 exec_lo, exec_lo, s12
	s_cbranch_execnz .LBB1_46
; %bb.47:                               ;   in Loop: Header=BB1_3 Depth=1
	s_or_b32 exec_lo, exec_lo, s12
.LBB1_48:                               ;   in Loop: Header=BB1_3 Depth=1
	s_wait_alu 0xfffe
	s_or_b32 exec_lo, exec_lo, s11
	v_dual_mov_b32 v27, v25 :: v_dual_mov_b32 v26, v24
                                        ; implicit-def: $vgpr0
.LBB1_49:                               ;   in Loop: Header=BB1_3 Depth=1
	s_wait_alu 0xfffe
	s_or_saveexec_b32 s0, s10
	v_mov_b32_e32 v10, 0
	s_wait_alu 0xfffe
	s_xor_b32 exec_lo, exec_lo, s0
	s_cbranch_execz .LBB1_51
; %bb.50:                               ;   in Loop: Header=BB1_3 Depth=1
	global_load_b64 v[22:23], v[24:25], off
	v_add_nc_u32_e32 v10, -8, v0
.LBB1_51:                               ;   in Loop: Header=BB1_3 Depth=1
	s_or_b32 exec_lo, exec_lo, s0
	s_delay_alu instid0(SALU_CYCLE_1) | instskip(NEXT) | instid1(VALU_DEP_1)
	s_mov_b32 s0, exec_lo
	v_cmpx_gt_u32_e32 8, v10
	s_wait_alu 0xfffe
	s_xor_b32 s1, exec_lo, s0
	s_cbranch_execz .LBB1_57
; %bb.52:                               ;   in Loop: Header=BB1_3 Depth=1
	v_mov_b32_e32 v24, 0
	v_mov_b32_e32 v25, 0
	s_mov_b32 s10, exec_lo
	v_cmpx_ne_u32_e32 0, v10
	s_cbranch_execz .LBB1_56
; %bb.53:                               ;   in Loop: Header=BB1_3 Depth=1
	v_mov_b32_e32 v24, 0
	v_mov_b32_e32 v25, 0
	s_mov_b64 s[4:5], 0
	s_mov_b32 s11, 0
.LBB1_54:                               ;   Parent Loop BB1_3 Depth=1
                                        ; =>  This Inner Loop Header: Depth=2
	global_load_u8 v0, v[26:27], off
	v_dual_mov_b32 v29, s7 :: v_dual_add_nc_u32 v10, -1, v10
	v_add_co_u32 v26, vcc_lo, v26, 1
	s_wait_alu 0xfffd
	v_add_co_ci_u32_e64 v27, null, 0, v27, vcc_lo
	s_delay_alu instid0(VALU_DEP_3) | instskip(SKIP_4) | instid1(VALU_DEP_1)
	v_cmp_eq_u32_e64 s0, 0, v10
	s_wait_alu 0xfffe
	s_or_b32 s11, s0, s11
	s_wait_loadcnt 0x0
	v_and_b32_e32 v28, 0xffff, v0
	v_lshlrev_b64_e32 v[28:29], s4, v[28:29]
	s_add_nc_u64 s[4:5], s[4:5], 8
	s_delay_alu instid0(VALU_DEP_1) | instskip(NEXT) | instid1(VALU_DEP_2)
	v_or_b32_e32 v25, v29, v25
	v_or_b32_e32 v24, v28, v24
	s_wait_alu 0xfffe
	s_and_not1_b32 exec_lo, exec_lo, s11
	s_cbranch_execnz .LBB1_54
; %bb.55:                               ;   in Loop: Header=BB1_3 Depth=1
	s_or_b32 exec_lo, exec_lo, s11
.LBB1_56:                               ;   in Loop: Header=BB1_3 Depth=1
	s_wait_alu 0xfffe
	s_or_b32 exec_lo, exec_lo, s10
                                        ; implicit-def: $vgpr26_vgpr27
.LBB1_57:                               ;   in Loop: Header=BB1_3 Depth=1
	s_wait_alu 0xfffe
	s_and_not1_saveexec_b32 s0, s1
	s_cbranch_execz .LBB1_59
; %bb.58:                               ;   in Loop: Header=BB1_3 Depth=1
	global_load_b64 v[24:25], v[26:27], off
.LBB1_59:                               ;   in Loop: Header=BB1_3 Depth=1
	s_wait_alu 0xfffe
	s_or_b32 exec_lo, exec_lo, s0
	v_readfirstlane_b32 s0, v38
	v_mov_b32_e32 v34, 0
	v_mov_b32_e32 v35, 0
	s_wait_alu 0xf1ff
	s_delay_alu instid0(VALU_DEP_3)
	v_cmp_eq_u32_e64 s0, s0, v38
	s_and_saveexec_b32 s1, s0
	s_cbranch_execz .LBB1_65
; %bb.60:                               ;   in Loop: Header=BB1_3 Depth=1
	s_wait_kmcnt 0x0
	global_load_b64 v[28:29], v11, s[2:3] offset:24 scope:SCOPE_SYS
	s_wait_loadcnt 0x0
	global_inv scope:SCOPE_SYS
	s_clause 0x1
	global_load_b64 v[26:27], v11, s[2:3] offset:40
	global_load_b64 v[34:35], v11, s[2:3]
	s_mov_b32 s4, exec_lo
	s_wait_loadcnt 0x1
	v_and_b32_e32 v0, v27, v29
	v_and_b32_e32 v10, v26, v28
	s_delay_alu instid0(VALU_DEP_2) | instskip(NEXT) | instid1(VALU_DEP_2)
	v_mul_lo_u32 v0, 24, v0
	v_mul_lo_u32 v26, 0, v10
	v_mul_hi_u32 v27, 24, v10
	v_mul_lo_u32 v10, 24, v10
	s_delay_alu instid0(VALU_DEP_3) | instskip(SKIP_1) | instid1(VALU_DEP_2)
	v_add_nc_u32_e32 v0, v0, v26
	s_wait_loadcnt 0x0
	v_add_co_u32 v26, vcc_lo, v34, v10
	s_delay_alu instid0(VALU_DEP_2) | instskip(SKIP_1) | instid1(VALU_DEP_1)
	v_add_nc_u32_e32 v0, v0, v27
	s_wait_alu 0xfffd
	v_add_co_ci_u32_e64 v27, null, v35, v0, vcc_lo
	global_load_b64 v[26:27], v[26:27], off scope:SCOPE_SYS
	s_wait_loadcnt 0x0
	global_atomic_cmpswap_b64 v[34:35], v11, v[26:29], s[2:3] offset:24 th:TH_ATOMIC_RETURN scope:SCOPE_SYS
	s_wait_loadcnt 0x0
	global_inv scope:SCOPE_SYS
	v_cmpx_ne_u64_e64 v[34:35], v[28:29]
	s_cbranch_execz .LBB1_64
; %bb.61:                               ;   in Loop: Header=BB1_3 Depth=1
	s_mov_b32 s5, 0
.LBB1_62:                               ;   Parent Loop BB1_3 Depth=1
                                        ; =>  This Inner Loop Header: Depth=2
	s_sleep 1
	s_clause 0x1
	global_load_b64 v[26:27], v11, s[2:3] offset:40
	global_load_b64 v[36:37], v11, s[2:3]
	v_dual_mov_b32 v28, v34 :: v_dual_mov_b32 v29, v35
	s_wait_loadcnt 0x1
	s_delay_alu instid0(VALU_DEP_1) | instskip(NEXT) | instid1(VALU_DEP_2)
	v_and_b32_e32 v0, v26, v28
	v_and_b32_e32 v10, v27, v29
	s_wait_loadcnt 0x0
	s_delay_alu instid0(VALU_DEP_2) | instskip(NEXT) | instid1(VALU_DEP_1)
	v_mad_co_u64_u32 v[34:35], null, v0, 24, v[36:37]
	v_mov_b32_e32 v0, v35
	s_delay_alu instid0(VALU_DEP_1) | instskip(NEXT) | instid1(VALU_DEP_1)
	v_mad_co_u64_u32 v[26:27], null, v10, 24, v[0:1]
	v_mov_b32_e32 v35, v26
	global_load_b64 v[26:27], v[34:35], off scope:SCOPE_SYS
	s_wait_loadcnt 0x0
	global_atomic_cmpswap_b64 v[34:35], v11, v[26:29], s[2:3] offset:24 th:TH_ATOMIC_RETURN scope:SCOPE_SYS
	s_wait_loadcnt 0x0
	global_inv scope:SCOPE_SYS
	v_cmp_eq_u64_e32 vcc_lo, v[34:35], v[28:29]
	s_wait_alu 0xfffe
	s_or_b32 s5, vcc_lo, s5
	s_wait_alu 0xfffe
	s_and_not1_b32 exec_lo, exec_lo, s5
	s_cbranch_execnz .LBB1_62
; %bb.63:                               ;   in Loop: Header=BB1_3 Depth=1
	s_or_b32 exec_lo, exec_lo, s5
.LBB1_64:                               ;   in Loop: Header=BB1_3 Depth=1
	s_wait_alu 0xfffe
	s_or_b32 exec_lo, exec_lo, s4
.LBB1_65:                               ;   in Loop: Header=BB1_3 Depth=1
	s_wait_alu 0xfffe
	s_or_b32 exec_lo, exec_lo, s1
	s_wait_kmcnt 0x0
	s_clause 0x1
	global_load_b64 v[36:37], v11, s[2:3] offset:40
	global_load_b128 v[26:29], v11, s[2:3]
	v_readfirstlane_b32 s5, v35
	v_readfirstlane_b32 s4, v34
	s_mov_b32 s1, exec_lo
	s_wait_loadcnt 0x1
	s_wait_alu 0xf1ff
	v_and_b32_e32 v37, s5, v37
	v_and_b32_e32 v36, s4, v36
	s_delay_alu instid0(VALU_DEP_2) | instskip(NEXT) | instid1(VALU_DEP_2)
	v_mul_lo_u32 v0, 24, v37
	v_mul_lo_u32 v10, 0, v36
	v_mul_hi_u32 v34, 24, v36
	v_mul_lo_u32 v35, 24, v36
	s_delay_alu instid0(VALU_DEP_3) | instskip(NEXT) | instid1(VALU_DEP_1)
	v_add_nc_u32_e32 v0, v0, v10
	v_add_nc_u32_e32 v0, v0, v34
	s_wait_loadcnt 0x0
	s_delay_alu instid0(VALU_DEP_3) | instskip(SKIP_1) | instid1(VALU_DEP_2)
	v_add_co_u32 v34, vcc_lo, v26, v35
	s_wait_alu 0xfffd
	v_add_co_ci_u32_e64 v35, null, v27, v0, vcc_lo
	s_and_saveexec_b32 s10, s0
	s_cbranch_execz .LBB1_67
; %bb.66:                               ;   in Loop: Header=BB1_3 Depth=1
	s_wait_alu 0xfffe
	v_mov_b32_e32 v10, s1
	global_store_b128 v[34:35], v[10:13], off offset:8
.LBB1_67:                               ;   in Loop: Header=BB1_3 Depth=1
	s_wait_alu 0xfffe
	s_or_b32 exec_lo, exec_lo, s10
	v_cmp_gt_u64_e32 vcc_lo, 57, v[4:5]
	v_lshlrev_b64_e32 v[36:37], 12, v[36:37]
	v_and_b32_e32 v6, 0xffffff1f, v6
	v_lshl_add_u32 v10, v32, 2, 28
	s_wait_alu 0xfffd
	v_cndmask_b32_e32 v0, 0, v2, vcc_lo
	s_delay_alu instid0(VALU_DEP_1) | instskip(SKIP_3) | instid1(VALU_DEP_3)
	v_or_b32_e32 v6, v6, v0
	v_add_co_u32 v0, vcc_lo, v28, v36
	s_wait_alu 0xfffd
	v_add_co_ci_u32_e64 v28, null, v29, v37, vcc_lo
	v_and_or_b32 v6, 0x1e0, v10, v6
	v_lshlrev_b32_e32 v29, 6, v38
	v_readfirstlane_b32 s10, v0
	s_delay_alu instid0(VALU_DEP_4)
	v_readfirstlane_b32 s11, v28
	s_clause 0x3
	global_store_b128 v29, v[6:9], s[10:11]
	global_store_b128 v29, v[14:17], s[10:11] offset:16
	global_store_b128 v29, v[18:21], s[10:11] offset:32
	;; [unrolled: 1-line block ×3, first 2 shown]
	s_and_saveexec_b32 s1, s0
	s_cbranch_execz .LBB1_75
; %bb.68:                               ;   in Loop: Header=BB1_3 Depth=1
	s_clause 0x1
	global_load_b64 v[18:19], v11, s[2:3] offset:32 scope:SCOPE_SYS
	global_load_b64 v[6:7], v11, s[2:3] offset:40
	s_mov_b32 s10, exec_lo
	v_dual_mov_b32 v16, s4 :: v_dual_mov_b32 v17, s5
	s_wait_loadcnt 0x0
	v_and_b32_e32 v6, s4, v6
	v_and_b32_e32 v7, s5, v7
	s_delay_alu instid0(VALU_DEP_2) | instskip(NEXT) | instid1(VALU_DEP_2)
	v_mul_lo_u32 v8, 0, v6
	v_mul_lo_u32 v7, 24, v7
	v_mul_hi_u32 v9, 24, v6
	v_mul_lo_u32 v6, 24, v6
	s_delay_alu instid0(VALU_DEP_3) | instskip(NEXT) | instid1(VALU_DEP_2)
	v_add_nc_u32_e32 v7, v7, v8
	v_add_co_u32 v14, vcc_lo, v26, v6
	s_delay_alu instid0(VALU_DEP_2) | instskip(SKIP_1) | instid1(VALU_DEP_1)
	v_add_nc_u32_e32 v7, v7, v9
	s_wait_alu 0xfffd
	v_add_co_ci_u32_e64 v15, null, v27, v7, vcc_lo
	global_store_b64 v[14:15], v[18:19], off
	global_wb scope:SCOPE_SYS
	s_wait_storecnt 0x0
	global_atomic_cmpswap_b64 v[8:9], v11, v[16:19], s[2:3] offset:32 th:TH_ATOMIC_RETURN scope:SCOPE_SYS
	s_wait_loadcnt 0x0
	v_cmpx_ne_u64_e64 v[8:9], v[18:19]
	s_cbranch_execz .LBB1_71
; %bb.69:                               ;   in Loop: Header=BB1_3 Depth=1
	s_mov_b32 s11, 0
.LBB1_70:                               ;   Parent Loop BB1_3 Depth=1
                                        ; =>  This Inner Loop Header: Depth=2
	v_dual_mov_b32 v6, s4 :: v_dual_mov_b32 v7, s5
	s_sleep 1
	global_store_b64 v[14:15], v[8:9], off
	global_wb scope:SCOPE_SYS
	s_wait_storecnt 0x0
	global_atomic_cmpswap_b64 v[6:7], v11, v[6:9], s[2:3] offset:32 th:TH_ATOMIC_RETURN scope:SCOPE_SYS
	s_wait_loadcnt 0x0
	v_cmp_eq_u64_e32 vcc_lo, v[6:7], v[8:9]
	v_dual_mov_b32 v9, v7 :: v_dual_mov_b32 v8, v6
	s_wait_alu 0xfffe
	s_or_b32 s11, vcc_lo, s11
	s_wait_alu 0xfffe
	s_and_not1_b32 exec_lo, exec_lo, s11
	s_cbranch_execnz .LBB1_70
.LBB1_71:                               ;   in Loop: Header=BB1_3 Depth=1
	s_wait_alu 0xfffe
	s_or_b32 exec_lo, exec_lo, s10
	global_load_b64 v[6:7], v11, s[2:3] offset:16
	s_mov_b32 s11, exec_lo
	s_mov_b32 s10, exec_lo
	s_wait_alu 0xfffe
	v_mbcnt_lo_u32_b32 v8, s11, 0
	s_delay_alu instid0(VALU_DEP_1)
	v_cmpx_eq_u32_e32 0, v8
	s_cbranch_execz .LBB1_73
; %bb.72:                               ;   in Loop: Header=BB1_3 Depth=1
	s_bcnt1_i32_b32 s11, s11
	s_wait_alu 0xfffe
	v_mov_b32_e32 v10, s11
	global_wb scope:SCOPE_SYS
	s_wait_loadcnt 0x0
	s_wait_storecnt 0x0
	global_atomic_add_u64 v[6:7], v[10:11], off offset:8 scope:SCOPE_SYS
.LBB1_73:                               ;   in Loop: Header=BB1_3 Depth=1
	s_or_b32 exec_lo, exec_lo, s10
	s_wait_loadcnt 0x0
	global_load_b64 v[8:9], v[6:7], off offset:16
	s_wait_loadcnt 0x0
	v_cmp_eq_u64_e32 vcc_lo, 0, v[8:9]
	s_cbranch_vccnz .LBB1_75
; %bb.74:                               ;   in Loop: Header=BB1_3 Depth=1
	global_load_b32 v10, v[6:7], off offset:24
	s_wait_loadcnt 0x0
	v_readfirstlane_b32 s10, v10
	global_wb scope:SCOPE_SYS
	s_wait_storecnt 0x0
	global_store_b64 v[8:9], v[10:11], off scope:SCOPE_SYS
	s_and_b32 m0, s10, 0xffffff
	s_sendmsg sendmsg(MSG_INTERRUPT)
.LBB1_75:                               ;   in Loop: Header=BB1_3 Depth=1
	s_wait_alu 0xfffe
	s_or_b32 exec_lo, exec_lo, s1
	v_add_co_u32 v6, vcc_lo, v0, v29
	s_wait_alu 0xfffd
	v_add_co_ci_u32_e64 v7, null, 0, v28, vcc_lo
	s_branch .LBB1_79
.LBB1_76:                               ;   in Loop: Header=BB1_79 Depth=2
	s_wait_alu 0xfffe
	s_or_b32 exec_lo, exec_lo, s1
	s_delay_alu instid0(VALU_DEP_1)
	v_readfirstlane_b32 s1, v0
	s_cmp_eq_u32 s1, 0
	s_cbranch_scc1 .LBB1_78
; %bb.77:                               ;   in Loop: Header=BB1_79 Depth=2
	s_sleep 1
	s_cbranch_execnz .LBB1_79
	s_branch .LBB1_81
.LBB1_78:                               ;   in Loop: Header=BB1_3 Depth=1
	s_branch .LBB1_81
.LBB1_79:                               ;   Parent Loop BB1_3 Depth=1
                                        ; =>  This Inner Loop Header: Depth=2
	v_mov_b32_e32 v0, 1
	s_and_saveexec_b32 s1, s0
	s_cbranch_execz .LBB1_76
; %bb.80:                               ;   in Loop: Header=BB1_79 Depth=2
	global_load_b32 v0, v[34:35], off offset:20 scope:SCOPE_SYS
	s_wait_loadcnt 0x0
	global_inv scope:SCOPE_SYS
	v_and_b32_e32 v0, 1, v0
	s_branch .LBB1_76
.LBB1_81:                               ;   in Loop: Header=BB1_3 Depth=1
	global_load_b64 v[6:7], v[6:7], off
	s_and_saveexec_b32 s10, s0
	s_cbranch_execz .LBB1_2
; %bb.82:                               ;   in Loop: Header=BB1_3 Depth=1
	s_clause 0x2
	global_load_b64 v[8:9], v11, s[2:3] offset:40
	global_load_b64 v[18:19], v11, s[2:3] offset:24 scope:SCOPE_SYS
	global_load_b64 v[14:15], v11, s[2:3]
	s_wait_loadcnt 0x2
	v_readfirstlane_b32 s12, v8
	v_readfirstlane_b32 s13, v9
	s_add_nc_u64 s[0:1], s[12:13], 1
	s_wait_alu 0xfffe
	s_add_nc_u64 s[4:5], s[0:1], s[4:5]
	s_wait_alu 0xfffe
	s_cmp_eq_u64 s[4:5], 0
	s_cselect_b32 s1, s1, s5
	s_cselect_b32 s0, s0, s4
	s_wait_alu 0xfffe
	v_dual_mov_b32 v17, s1 :: v_dual_mov_b32 v16, s0
	s_and_b64 s[4:5], s[0:1], s[12:13]
	s_wait_alu 0xfffe
	s_mul_u64 s[4:5], s[4:5], 24
	s_wait_loadcnt 0x0
	s_wait_alu 0xfffe
	v_add_co_u32 v8, vcc_lo, v14, s4
	s_wait_alu 0xfffd
	v_add_co_ci_u32_e64 v9, null, s5, v15, vcc_lo
	global_store_b64 v[8:9], v[18:19], off
	global_wb scope:SCOPE_SYS
	s_wait_storecnt 0x0
	global_atomic_cmpswap_b64 v[16:17], v11, v[16:19], s[2:3] offset:24 th:TH_ATOMIC_RETURN scope:SCOPE_SYS
	s_wait_loadcnt 0x0
	v_cmp_ne_u64_e32 vcc_lo, v[16:17], v[18:19]
	s_and_b32 exec_lo, exec_lo, vcc_lo
	s_cbranch_execz .LBB1_2
; %bb.83:                               ;   in Loop: Header=BB1_3 Depth=1
	s_mov_b32 s4, 0
.LBB1_84:                               ;   Parent Loop BB1_3 Depth=1
                                        ; =>  This Inner Loop Header: Depth=2
	v_dual_mov_b32 v14, s0 :: v_dual_mov_b32 v15, s1
	s_sleep 1
	global_store_b64 v[8:9], v[16:17], off
	global_wb scope:SCOPE_SYS
	s_wait_storecnt 0x0
	global_atomic_cmpswap_b64 v[14:15], v11, v[14:17], s[2:3] offset:24 th:TH_ATOMIC_RETURN scope:SCOPE_SYS
	s_wait_loadcnt 0x0
	v_cmp_eq_u64_e32 vcc_lo, v[14:15], v[16:17]
	v_dual_mov_b32 v17, v15 :: v_dual_mov_b32 v16, v14
	s_wait_alu 0xfffe
	s_or_b32 s4, vcc_lo, s4
	s_wait_alu 0xfffe
	s_and_not1_b32 exec_lo, exec_lo, s4
	s_cbranch_execnz .LBB1_84
	s_branch .LBB1_2
.LBB1_85:
	s_or_b32 exec_lo, exec_lo, s6
.LBB1_86:
	s_wait_loadcnt 0x0
	v_dual_mov_b32 v0, v6 :: v_dual_mov_b32 v1, v7
	s_wait_kmcnt 0x0
	s_setpc_b64 s[30:31]
.LBB1_87:
                                        ; implicit-def: $vgpr6_vgpr7
	s_cbranch_execz .LBB1_86
; %bb.88:
	s_load_b64 s[2:3], s[8:9], 0x50
	v_readfirstlane_b32 s0, v38
	v_mov_b32_e32 v8, 0
	v_mov_b32_e32 v9, 0
	s_wait_alu 0xf1ff
	s_delay_alu instid0(VALU_DEP_3)
	v_cmp_eq_u32_e64 s0, s0, v38
	s_and_saveexec_b32 s1, s0
	s_cbranch_execz .LBB1_94
; %bb.89:
	v_mov_b32_e32 v0, 0
	s_mov_b32 s4, exec_lo
	s_wait_loadcnt 0x0
	s_wait_kmcnt 0x0
	global_load_b64 v[6:7], v0, s[2:3] offset:24 scope:SCOPE_SYS
	s_wait_loadcnt 0x0
	global_inv scope:SCOPE_SYS
	s_clause 0x1
	global_load_b64 v[4:5], v0, s[2:3] offset:40
	global_load_b64 v[8:9], v0, s[2:3]
	s_wait_loadcnt 0x1
	v_and_b32_e32 v2, v5, v7
	v_and_b32_e32 v4, v4, v6
	s_delay_alu instid0(VALU_DEP_2) | instskip(NEXT) | instid1(VALU_DEP_2)
	v_mul_lo_u32 v2, 24, v2
	v_mul_lo_u32 v5, 0, v4
	v_mul_hi_u32 v10, 24, v4
	v_mul_lo_u32 v4, 24, v4
	s_delay_alu instid0(VALU_DEP_3) | instskip(SKIP_1) | instid1(VALU_DEP_2)
	v_add_nc_u32_e32 v2, v2, v5
	s_wait_loadcnt 0x0
	v_add_co_u32 v4, vcc_lo, v8, v4
	s_delay_alu instid0(VALU_DEP_2) | instskip(SKIP_1) | instid1(VALU_DEP_1)
	v_add_nc_u32_e32 v2, v2, v10
	s_wait_alu 0xfffd
	v_add_co_ci_u32_e64 v5, null, v9, v2, vcc_lo
	global_load_b64 v[4:5], v[4:5], off scope:SCOPE_SYS
	s_wait_loadcnt 0x0
	global_atomic_cmpswap_b64 v[8:9], v0, v[4:7], s[2:3] offset:24 th:TH_ATOMIC_RETURN scope:SCOPE_SYS
	s_wait_loadcnt 0x0
	global_inv scope:SCOPE_SYS
	v_cmpx_ne_u64_e64 v[8:9], v[6:7]
	s_cbranch_execz .LBB1_93
; %bb.90:
	s_mov_b32 s5, 0
.LBB1_91:                               ; =>This Inner Loop Header: Depth=1
	s_sleep 1
	s_clause 0x1
	global_load_b64 v[4:5], v0, s[2:3] offset:40
	global_load_b64 v[10:11], v0, s[2:3]
	v_dual_mov_b32 v6, v8 :: v_dual_mov_b32 v7, v9
	s_wait_loadcnt 0x1
	s_delay_alu instid0(VALU_DEP_1) | instskip(NEXT) | instid1(VALU_DEP_2)
	v_and_b32_e32 v2, v4, v6
	v_and_b32_e32 v4, v5, v7
	s_wait_loadcnt 0x0
	s_delay_alu instid0(VALU_DEP_2) | instskip(NEXT) | instid1(VALU_DEP_1)
	v_mad_co_u64_u32 v[8:9], null, v2, 24, v[10:11]
	v_mov_b32_e32 v2, v9
	s_delay_alu instid0(VALU_DEP_1) | instskip(NEXT) | instid1(VALU_DEP_1)
	v_mad_co_u64_u32 v[4:5], null, v4, 24, v[2:3]
	v_mov_b32_e32 v9, v4
	global_load_b64 v[4:5], v[8:9], off scope:SCOPE_SYS
	s_wait_loadcnt 0x0
	global_atomic_cmpswap_b64 v[8:9], v0, v[4:7], s[2:3] offset:24 th:TH_ATOMIC_RETURN scope:SCOPE_SYS
	s_wait_loadcnt 0x0
	global_inv scope:SCOPE_SYS
	v_cmp_eq_u64_e32 vcc_lo, v[8:9], v[6:7]
	s_wait_alu 0xfffe
	s_or_b32 s5, vcc_lo, s5
	s_wait_alu 0xfffe
	s_and_not1_b32 exec_lo, exec_lo, s5
	s_cbranch_execnz .LBB1_91
; %bb.92:
	s_or_b32 exec_lo, exec_lo, s5
.LBB1_93:
	s_wait_alu 0xfffe
	s_or_b32 exec_lo, exec_lo, s4
.LBB1_94:
	s_wait_alu 0xfffe
	s_or_b32 exec_lo, exec_lo, s1
	v_readfirstlane_b32 s5, v9
	v_mov_b32_e32 v2, 0
	v_readfirstlane_b32 s4, v8
	s_mov_b32 s1, exec_lo
	s_wait_kmcnt 0x0
	global_load_b64 v[10:11], v2, s[2:3] offset:40
	s_wait_loadcnt 0x1
	global_load_b128 v[4:7], v2, s[2:3]
	s_wait_loadcnt 0x1
	s_wait_alu 0xf1ff
	v_and_b32_e32 v11, s5, v11
	v_and_b32_e32 v10, s4, v10
	s_delay_alu instid0(VALU_DEP_2) | instskip(NEXT) | instid1(VALU_DEP_2)
	v_mul_lo_u32 v0, 24, v11
	v_mul_lo_u32 v8, 0, v10
	v_mul_hi_u32 v9, 24, v10
	v_mul_lo_u32 v12, 24, v10
	s_delay_alu instid0(VALU_DEP_3) | instskip(SKIP_1) | instid1(VALU_DEP_2)
	v_add_nc_u32_e32 v0, v0, v8
	s_wait_loadcnt 0x0
	v_add_co_u32 v8, vcc_lo, v4, v12
	s_delay_alu instid0(VALU_DEP_2) | instskip(SKIP_1) | instid1(VALU_DEP_1)
	v_add_nc_u32_e32 v0, v0, v9
	s_wait_alu 0xfffd
	v_add_co_ci_u32_e64 v9, null, v5, v0, vcc_lo
	s_and_saveexec_b32 s6, s0
	s_cbranch_execz .LBB1_96
; %bb.95:
	s_wait_alu 0xfffe
	v_dual_mov_b32 v12, s1 :: v_dual_mov_b32 v13, v2
	v_dual_mov_b32 v14, 2 :: v_dual_mov_b32 v15, 1
	global_store_b128 v[8:9], v[12:15], off offset:8
.LBB1_96:
	s_wait_alu 0xfffe
	s_or_b32 exec_lo, exec_lo, s6
	v_lshlrev_b64_e32 v[10:11], 12, v[10:11]
	v_lshlrev_b32_e32 v14, 6, v38
	s_mov_b32 s8, 0
	v_and_or_b32 v0, 0xffffff1f, v3, 32
	v_mov_b32_e32 v3, v2
	s_wait_alu 0xfffe
	s_mov_b32 s11, s8
	v_add_co_u32 v6, vcc_lo, v6, v10
	s_wait_alu 0xfffd
	v_add_co_ci_u32_e64 v7, null, v7, v11, vcc_lo
	s_mov_b32 s9, s8
	v_readfirstlane_b32 s6, v6
	v_add_co_u32 v6, vcc_lo, v6, v14
	s_mov_b32 s10, s8
	v_readfirstlane_b32 s7, v7
	s_wait_alu 0xfffe
	v_dual_mov_b32 v13, s11 :: v_dual_mov_b32 v12, s10
	s_wait_alu 0xfffd
	v_add_co_ci_u32_e64 v7, null, 0, v7, vcc_lo
	v_dual_mov_b32 v11, s9 :: v_dual_mov_b32 v10, s8
	s_clause 0x3
	global_store_b128 v14, v[0:3], s[6:7]
	global_store_b128 v14, v[10:13], s[6:7] offset:16
	global_store_b128 v14, v[10:13], s[6:7] offset:32
	global_store_b128 v14, v[10:13], s[6:7] offset:48
	s_and_saveexec_b32 s1, s0
	s_cbranch_execz .LBB1_104
; %bb.97:
	v_mov_b32_e32 v10, 0
	s_mov_b32 s6, exec_lo
	s_clause 0x1
	global_load_b64 v[13:14], v10, s[2:3] offset:32 scope:SCOPE_SYS
	global_load_b64 v[0:1], v10, s[2:3] offset:40
	v_dual_mov_b32 v11, s4 :: v_dual_mov_b32 v12, s5
	s_wait_loadcnt 0x0
	v_and_b32_e32 v1, s5, v1
	v_and_b32_e32 v0, s4, v0
	s_delay_alu instid0(VALU_DEP_2) | instskip(NEXT) | instid1(VALU_DEP_2)
	v_mul_lo_u32 v1, 24, v1
	v_mul_lo_u32 v2, 0, v0
	v_mul_hi_u32 v3, 24, v0
	v_mul_lo_u32 v0, 24, v0
	s_delay_alu instid0(VALU_DEP_3) | instskip(NEXT) | instid1(VALU_DEP_2)
	v_add_nc_u32_e32 v1, v1, v2
	v_add_co_u32 v4, vcc_lo, v4, v0
	s_delay_alu instid0(VALU_DEP_2) | instskip(SKIP_1) | instid1(VALU_DEP_1)
	v_add_nc_u32_e32 v1, v1, v3
	s_wait_alu 0xfffd
	v_add_co_ci_u32_e64 v5, null, v5, v1, vcc_lo
	global_store_b64 v[4:5], v[13:14], off
	global_wb scope:SCOPE_SYS
	s_wait_storecnt 0x0
	global_atomic_cmpswap_b64 v[2:3], v10, v[11:14], s[2:3] offset:32 th:TH_ATOMIC_RETURN scope:SCOPE_SYS
	s_wait_loadcnt 0x0
	v_cmpx_ne_u64_e64 v[2:3], v[13:14]
	s_cbranch_execz .LBB1_100
; %bb.98:
	s_mov_b32 s7, 0
.LBB1_99:                               ; =>This Inner Loop Header: Depth=1
	v_dual_mov_b32 v0, s4 :: v_dual_mov_b32 v1, s5
	s_sleep 1
	global_store_b64 v[4:5], v[2:3], off
	global_wb scope:SCOPE_SYS
	s_wait_storecnt 0x0
	global_atomic_cmpswap_b64 v[0:1], v10, v[0:3], s[2:3] offset:32 th:TH_ATOMIC_RETURN scope:SCOPE_SYS
	s_wait_loadcnt 0x0
	v_cmp_eq_u64_e32 vcc_lo, v[0:1], v[2:3]
	v_dual_mov_b32 v3, v1 :: v_dual_mov_b32 v2, v0
	s_wait_alu 0xfffe
	s_or_b32 s7, vcc_lo, s7
	s_wait_alu 0xfffe
	s_and_not1_b32 exec_lo, exec_lo, s7
	s_cbranch_execnz .LBB1_99
.LBB1_100:
	s_wait_alu 0xfffe
	s_or_b32 exec_lo, exec_lo, s6
	v_mov_b32_e32 v3, 0
	s_mov_b32 s7, exec_lo
	s_mov_b32 s6, exec_lo
	s_wait_alu 0xfffe
	v_mbcnt_lo_u32_b32 v2, s7, 0
	global_load_b64 v[0:1], v3, s[2:3] offset:16
	v_cmpx_eq_u32_e32 0, v2
	s_cbranch_execz .LBB1_102
; %bb.101:
	s_bcnt1_i32_b32 s7, s7
	s_wait_alu 0xfffe
	v_mov_b32_e32 v2, s7
	global_wb scope:SCOPE_SYS
	s_wait_loadcnt 0x0
	s_wait_storecnt 0x0
	global_atomic_add_u64 v[0:1], v[2:3], off offset:8 scope:SCOPE_SYS
.LBB1_102:
	s_or_b32 exec_lo, exec_lo, s6
	s_wait_loadcnt 0x0
	global_load_b64 v[2:3], v[0:1], off offset:16
	s_wait_loadcnt 0x0
	v_cmp_eq_u64_e32 vcc_lo, 0, v[2:3]
	s_cbranch_vccnz .LBB1_104
; %bb.103:
	global_load_b32 v0, v[0:1], off offset:24
	v_mov_b32_e32 v1, 0
	s_wait_loadcnt 0x0
	v_readfirstlane_b32 s6, v0
	global_wb scope:SCOPE_SYS
	s_wait_storecnt 0x0
	global_store_b64 v[2:3], v[0:1], off scope:SCOPE_SYS
	s_and_b32 m0, s6, 0xffffff
	s_sendmsg sendmsg(MSG_INTERRUPT)
.LBB1_104:
	s_wait_alu 0xfffe
	s_or_b32 exec_lo, exec_lo, s1
	s_branch .LBB1_108
.LBB1_105:                              ;   in Loop: Header=BB1_108 Depth=1
	s_wait_alu 0xfffe
	s_or_b32 exec_lo, exec_lo, s1
	s_delay_alu instid0(VALU_DEP_1)
	v_readfirstlane_b32 s1, v0
	s_cmp_eq_u32 s1, 0
	s_cbranch_scc1 .LBB1_107
; %bb.106:                              ;   in Loop: Header=BB1_108 Depth=1
	s_sleep 1
	s_cbranch_execnz .LBB1_108
	s_branch .LBB1_110
.LBB1_107:
	s_branch .LBB1_110
.LBB1_108:                              ; =>This Inner Loop Header: Depth=1
	v_mov_b32_e32 v0, 1
	s_and_saveexec_b32 s1, s0
	s_cbranch_execz .LBB1_105
; %bb.109:                              ;   in Loop: Header=BB1_108 Depth=1
	global_load_b32 v0, v[8:9], off offset:20 scope:SCOPE_SYS
	s_wait_loadcnt 0x0
	global_inv scope:SCOPE_SYS
	v_and_b32_e32 v0, 1, v0
	s_branch .LBB1_105
.LBB1_110:
	global_load_b64 v[6:7], v[6:7], off
	s_and_saveexec_b32 s6, s0
	s_cbranch_execz .LBB1_114
; %bb.111:
	v_mov_b32_e32 v8, 0
	s_clause 0x2
	global_load_b64 v[0:1], v8, s[2:3] offset:40
	global_load_b64 v[11:12], v8, s[2:3] offset:24 scope:SCOPE_SYS
	global_load_b64 v[2:3], v8, s[2:3]
	s_wait_loadcnt 0x2
	v_readfirstlane_b32 s8, v0
	v_readfirstlane_b32 s9, v1
	s_add_nc_u64 s[0:1], s[8:9], 1
	s_wait_alu 0xfffe
	s_add_nc_u64 s[4:5], s[0:1], s[4:5]
	s_wait_alu 0xfffe
	s_cmp_eq_u64 s[4:5], 0
	s_cselect_b32 s1, s1, s5
	s_cselect_b32 s0, s0, s4
	s_wait_alu 0xfffe
	v_mov_b32_e32 v10, s1
	s_and_b64 s[4:5], s[0:1], s[8:9]
	v_mov_b32_e32 v9, s0
	s_wait_alu 0xfffe
	s_mul_u64 s[4:5], s[4:5], 24
	s_wait_loadcnt 0x0
	s_wait_alu 0xfffe
	v_add_co_u32 v4, vcc_lo, v2, s4
	s_wait_alu 0xfffd
	v_add_co_ci_u32_e64 v5, null, s5, v3, vcc_lo
	global_store_b64 v[4:5], v[11:12], off
	global_wb scope:SCOPE_SYS
	s_wait_storecnt 0x0
	global_atomic_cmpswap_b64 v[2:3], v8, v[9:12], s[2:3] offset:24 th:TH_ATOMIC_RETURN scope:SCOPE_SYS
	s_wait_loadcnt 0x0
	v_cmp_ne_u64_e32 vcc_lo, v[2:3], v[11:12]
	s_and_b32 exec_lo, exec_lo, vcc_lo
	s_cbranch_execz .LBB1_114
; %bb.112:
	s_mov_b32 s4, 0
.LBB1_113:                              ; =>This Inner Loop Header: Depth=1
	v_dual_mov_b32 v0, s0 :: v_dual_mov_b32 v1, s1
	s_sleep 1
	global_store_b64 v[4:5], v[2:3], off
	global_wb scope:SCOPE_SYS
	s_wait_storecnt 0x0
	global_atomic_cmpswap_b64 v[0:1], v8, v[0:3], s[2:3] offset:24 th:TH_ATOMIC_RETURN scope:SCOPE_SYS
	s_wait_loadcnt 0x0
	v_cmp_eq_u64_e32 vcc_lo, v[0:1], v[2:3]
	v_dual_mov_b32 v3, v1 :: v_dual_mov_b32 v2, v0
	s_wait_alu 0xfffe
	s_or_b32 s4, vcc_lo, s4
	s_wait_alu 0xfffe
	s_and_not1_b32 exec_lo, exec_lo, s4
	s_cbranch_execnz .LBB1_113
.LBB1_114:
	s_wait_alu 0xfffe
	s_or_b32 exec_lo, exec_lo, s6
	s_wait_loadcnt 0x0
	v_dual_mov_b32 v0, v6 :: v_dual_mov_b32 v1, v7
	s_wait_kmcnt 0x0
	s_setpc_b64 s[30:31]
.Lfunc_end1:
	.size	__ockl_printf_append_string_n, .Lfunc_end1-__ockl_printf_append_string_n
                                        ; -- End function
	.set .L__ockl_printf_append_string_n.num_vgpr, 39
	.set .L__ockl_printf_append_string_n.num_agpr, 0
	.set .L__ockl_printf_append_string_n.numbered_sgpr, 32
	.set .L__ockl_printf_append_string_n.num_named_barrier, 0
	.set .L__ockl_printf_append_string_n.private_seg_size, 0
	.set .L__ockl_printf_append_string_n.uses_vcc, 1
	.set .L__ockl_printf_append_string_n.uses_flat_scratch, 0
	.set .L__ockl_printf_append_string_n.has_dyn_sized_stack, 0
	.set .L__ockl_printf_append_string_n.has_recursion, 0
	.set .L__ockl_printf_append_string_n.has_indirect_call, 0
	.section	.AMDGPU.csdata,"",@progbits
; Function info:
; codeLenInByte = 5328
; TotalNumSgprs: 34
; NumVgprs: 39
; ScratchSize: 0
; MemoryBound: 0
	.text
	.p2align	2                               ; -- Begin function __ockl_printf_append_args
	.type	__ockl_printf_append_args,@function
__ockl_printf_append_args:              ; @__ockl_printf_append_args
; %bb.0:
	s_wait_loadcnt_dscnt 0x0
	s_wait_expcnt 0x0
	s_wait_samplecnt 0x0
	s_wait_bvhcnt 0x0
	s_wait_kmcnt 0x0
	s_load_b64 s[2:3], s[8:9], 0x50
	v_mbcnt_lo_u32_b32 v17, -1, 0
	v_mov_b32_e32 v11, 0
	v_mov_b32_e32 v12, 0
	s_delay_alu instid0(VALU_DEP_3) | instskip(SKIP_1) | instid1(VALU_DEP_1)
	v_readfirstlane_b32 s0, v17
	s_wait_alu 0xf1ff
	v_cmp_eq_u32_e64 s0, s0, v17
	s_and_saveexec_b32 s1, s0
	s_cbranch_execz .LBB2_6
; %bb.1:
	v_mov_b32_e32 v5, 0
	s_mov_b32 s4, exec_lo
	s_wait_kmcnt 0x0
	global_load_b64 v[8:9], v5, s[2:3] offset:24 scope:SCOPE_SYS
	s_wait_loadcnt 0x0
	global_inv scope:SCOPE_SYS
	s_clause 0x1
	global_load_b64 v[6:7], v5, s[2:3] offset:40
	global_load_b64 v[10:11], v5, s[2:3]
	s_wait_loadcnt 0x1
	v_and_b32_e32 v7, v7, v9
	v_and_b32_e32 v6, v6, v8
	s_delay_alu instid0(VALU_DEP_2) | instskip(NEXT) | instid1(VALU_DEP_2)
	v_mul_lo_u32 v7, 24, v7
	v_mul_lo_u32 v12, 0, v6
	v_mul_hi_u32 v13, 24, v6
	v_mul_lo_u32 v6, 24, v6
	s_delay_alu instid0(VALU_DEP_3) | instskip(SKIP_1) | instid1(VALU_DEP_2)
	v_add_nc_u32_e32 v7, v7, v12
	s_wait_loadcnt 0x0
	v_add_co_u32 v6, vcc_lo, v10, v6
	s_delay_alu instid0(VALU_DEP_2) | instskip(SKIP_1) | instid1(VALU_DEP_1)
	v_add_nc_u32_e32 v7, v7, v13
	s_wait_alu 0xfffd
	v_add_co_ci_u32_e64 v7, null, v11, v7, vcc_lo
	global_load_b64 v[6:7], v[6:7], off scope:SCOPE_SYS
	s_wait_loadcnt 0x0
	global_atomic_cmpswap_b64 v[11:12], v5, v[6:9], s[2:3] offset:24 th:TH_ATOMIC_RETURN scope:SCOPE_SYS
	s_wait_loadcnt 0x0
	global_inv scope:SCOPE_SYS
	v_cmpx_ne_u64_e64 v[11:12], v[8:9]
	s_cbranch_execz .LBB2_5
; %bb.2:
	s_mov_b32 s5, 0
.LBB2_3:                                ; =>This Inner Loop Header: Depth=1
	s_sleep 1
	s_clause 0x1
	global_load_b64 v[6:7], v5, s[2:3] offset:40
	global_load_b64 v[13:14], v5, s[2:3]
	v_dual_mov_b32 v8, v11 :: v_dual_mov_b32 v9, v12
	s_wait_loadcnt 0x1
	s_delay_alu instid0(VALU_DEP_1) | instskip(NEXT) | instid1(VALU_DEP_2)
	v_and_b32_e32 v6, v6, v8
	v_and_b32_e32 v7, v7, v9
	s_wait_loadcnt 0x0
	s_delay_alu instid0(VALU_DEP_2) | instskip(NEXT) | instid1(VALU_DEP_1)
	v_mad_co_u64_u32 v[10:11], null, v6, 24, v[13:14]
	v_mov_b32_e32 v6, v11
	s_delay_alu instid0(VALU_DEP_1) | instskip(NEXT) | instid1(VALU_DEP_1)
	v_mad_co_u64_u32 v[6:7], null, v7, 24, v[6:7]
	v_mov_b32_e32 v11, v6
	global_load_b64 v[6:7], v[10:11], off scope:SCOPE_SYS
	s_wait_loadcnt 0x0
	global_atomic_cmpswap_b64 v[11:12], v5, v[6:9], s[2:3] offset:24 th:TH_ATOMIC_RETURN scope:SCOPE_SYS
	s_wait_loadcnt 0x0
	global_inv scope:SCOPE_SYS
	v_cmp_eq_u64_e32 vcc_lo, v[11:12], v[8:9]
	s_wait_alu 0xfffe
	s_or_b32 s5, vcc_lo, s5
	s_wait_alu 0xfffe
	s_and_not1_b32 exec_lo, exec_lo, s5
	s_cbranch_execnz .LBB2_3
; %bb.4:
	s_or_b32 exec_lo, exec_lo, s5
.LBB2_5:
	s_wait_alu 0xfffe
	s_or_b32 exec_lo, exec_lo, s4
.LBB2_6:
	s_wait_alu 0xfffe
	s_or_b32 exec_lo, exec_lo, s1
	v_readfirstlane_b32 s4, v11
	v_mov_b32_e32 v10, 0
	v_readfirstlane_b32 s5, v12
	s_mov_b32 s1, exec_lo
	s_wait_kmcnt 0x0
	s_clause 0x1
	global_load_b64 v[13:14], v10, s[2:3] offset:40
	global_load_b128 v[5:8], v10, s[2:3]
	s_wait_loadcnt 0x1
	s_wait_alu 0xf1ff
	v_and_b32_e32 v16, s5, v14
	v_and_b32_e32 v15, s4, v13
	s_delay_alu instid0(VALU_DEP_2) | instskip(NEXT) | instid1(VALU_DEP_2)
	v_mul_lo_u32 v9, 24, v16
	v_mul_lo_u32 v11, 0, v15
	v_mul_hi_u32 v12, 24, v15
	v_mul_lo_u32 v13, 24, v15
	s_delay_alu instid0(VALU_DEP_3) | instskip(SKIP_1) | instid1(VALU_DEP_2)
	v_add_nc_u32_e32 v9, v9, v11
	s_wait_loadcnt 0x0
	v_add_co_u32 v13, vcc_lo, v5, v13
	s_delay_alu instid0(VALU_DEP_2) | instskip(SKIP_1) | instid1(VALU_DEP_1)
	v_add_nc_u32_e32 v9, v9, v12
	s_wait_alu 0xfffd
	v_add_co_ci_u32_e64 v14, null, v6, v9, vcc_lo
	s_and_saveexec_b32 s6, s0
	s_cbranch_execz .LBB2_8
; %bb.7:
	s_wait_alu 0xfffe
	v_dual_mov_b32 v9, s1 :: v_dual_mov_b32 v12, 1
	v_mov_b32_e32 v11, 2
	global_store_b128 v[13:14], v[9:12], off offset:8
.LBB2_8:
	s_wait_alu 0xfffe
	s_or_b32 exec_lo, exec_lo, s6
	v_lshlrev_b64_e32 v[9:10], 12, v[15:16]
	v_or_b32_e32 v11, 2, v0
	v_cmp_eq_u32_e32 vcc_lo, 0, v4
	s_mov_b32 s8, 0
	s_wait_alu 0xfffe
	s_mov_b32 s9, s8
	s_mov_b32 s10, s8
	s_wait_alu 0xfffd
	v_dual_cndmask_b32 v0, v11, v0 :: v_dual_lshlrev_b32 v11, 6, v17
	v_add_co_u32 v4, vcc_lo, v7, v9
	s_wait_alu 0xfffd
	v_add_co_ci_u32_e64 v7, null, v8, v10, vcc_lo
	s_mov_b32 s11, s8
	v_and_or_b32 v0, 0xffffff1f, v0, 32
	v_readfirstlane_b32 s6, v4
	v_readfirstlane_b32 s7, v7
	s_wait_alu 0xfffe
	v_dual_mov_b32 v7, s8 :: v_dual_mov_b32 v8, s9
	v_dual_mov_b32 v9, s10 :: v_dual_mov_b32 v10, s11
	s_clause 0x3
	global_store_b128 v11, v[0:3], s[6:7]
	global_store_b128 v11, v[7:10], s[6:7] offset:16
	global_store_b128 v11, v[7:10], s[6:7] offset:32
	global_store_b128 v11, v[7:10], s[6:7] offset:48
	s_and_saveexec_b32 s1, s0
	s_cbranch_execz .LBB2_16
; %bb.9:
	v_mov_b32_e32 v7, 0
	v_mov_b32_e32 v9, s5
	s_mov_b32 s6, exec_lo
	s_clause 0x1
	global_load_b64 v[10:11], v7, s[2:3] offset:32 scope:SCOPE_SYS
	global_load_b64 v[0:1], v7, s[2:3] offset:40
	s_wait_loadcnt 0x0
	v_dual_mov_b32 v8, s4 :: v_dual_and_b32 v1, s5, v1
	v_and_b32_e32 v0, s4, v0
	s_delay_alu instid0(VALU_DEP_2) | instskip(NEXT) | instid1(VALU_DEP_2)
	v_mul_lo_u32 v1, 24, v1
	v_mul_lo_u32 v2, 0, v0
	v_mul_hi_u32 v3, 24, v0
	v_mul_lo_u32 v0, 24, v0
	s_delay_alu instid0(VALU_DEP_3) | instskip(NEXT) | instid1(VALU_DEP_2)
	v_add_nc_u32_e32 v1, v1, v2
	v_add_co_u32 v4, vcc_lo, v5, v0
	s_delay_alu instid0(VALU_DEP_2) | instskip(SKIP_1) | instid1(VALU_DEP_1)
	v_add_nc_u32_e32 v1, v1, v3
	s_wait_alu 0xfffd
	v_add_co_ci_u32_e64 v5, null, v6, v1, vcc_lo
	global_store_b64 v[4:5], v[10:11], off
	global_wb scope:SCOPE_SYS
	s_wait_storecnt 0x0
	global_atomic_cmpswap_b64 v[2:3], v7, v[8:11], s[2:3] offset:32 th:TH_ATOMIC_RETURN scope:SCOPE_SYS
	s_wait_loadcnt 0x0
	v_cmpx_ne_u64_e64 v[2:3], v[10:11]
	s_cbranch_execz .LBB2_12
; %bb.10:
	s_mov_b32 s7, 0
.LBB2_11:                               ; =>This Inner Loop Header: Depth=1
	v_dual_mov_b32 v0, s4 :: v_dual_mov_b32 v1, s5
	s_sleep 1
	global_store_b64 v[4:5], v[2:3], off
	global_wb scope:SCOPE_SYS
	s_wait_storecnt 0x0
	global_atomic_cmpswap_b64 v[0:1], v7, v[0:3], s[2:3] offset:32 th:TH_ATOMIC_RETURN scope:SCOPE_SYS
	s_wait_loadcnt 0x0
	v_cmp_eq_u64_e32 vcc_lo, v[0:1], v[2:3]
	v_dual_mov_b32 v3, v1 :: v_dual_mov_b32 v2, v0
	s_wait_alu 0xfffe
	s_or_b32 s7, vcc_lo, s7
	s_wait_alu 0xfffe
	s_and_not1_b32 exec_lo, exec_lo, s7
	s_cbranch_execnz .LBB2_11
.LBB2_12:
	s_wait_alu 0xfffe
	s_or_b32 exec_lo, exec_lo, s6
	v_mov_b32_e32 v3, 0
	s_mov_b32 s7, exec_lo
	s_mov_b32 s6, exec_lo
	s_wait_alu 0xfffe
	v_mbcnt_lo_u32_b32 v2, s7, 0
	global_load_b64 v[0:1], v3, s[2:3] offset:16
	v_cmpx_eq_u32_e32 0, v2
	s_cbranch_execz .LBB2_14
; %bb.13:
	s_bcnt1_i32_b32 s7, s7
	s_wait_alu 0xfffe
	v_mov_b32_e32 v2, s7
	global_wb scope:SCOPE_SYS
	s_wait_loadcnt 0x0
	s_wait_storecnt 0x0
	global_atomic_add_u64 v[0:1], v[2:3], off offset:8 scope:SCOPE_SYS
.LBB2_14:
	s_or_b32 exec_lo, exec_lo, s6
	s_wait_loadcnt 0x0
	global_load_b64 v[2:3], v[0:1], off offset:16
	s_wait_loadcnt 0x0
	v_cmp_eq_u64_e32 vcc_lo, 0, v[2:3]
	s_cbranch_vccnz .LBB2_16
; %bb.15:
	global_load_b32 v0, v[0:1], off offset:24
	v_mov_b32_e32 v1, 0
	s_wait_loadcnt 0x0
	v_readfirstlane_b32 s6, v0
	global_wb scope:SCOPE_SYS
	s_wait_storecnt 0x0
	global_store_b64 v[2:3], v[0:1], off scope:SCOPE_SYS
	s_and_b32 m0, s6, 0xffffff
	s_sendmsg sendmsg(MSG_INTERRUPT)
.LBB2_16:
	s_wait_alu 0xfffe
	s_or_b32 exec_lo, exec_lo, s1
	s_branch .LBB2_20
.LBB2_17:                               ;   in Loop: Header=BB2_20 Depth=1
	s_wait_alu 0xfffe
	s_or_b32 exec_lo, exec_lo, s1
	s_delay_alu instid0(VALU_DEP_1)
	v_readfirstlane_b32 s1, v0
	s_cmp_eq_u32 s1, 0
	s_cbranch_scc1 .LBB2_19
; %bb.18:                               ;   in Loop: Header=BB2_20 Depth=1
	s_sleep 1
	s_cbranch_execnz .LBB2_20
	s_branch .LBB2_22
.LBB2_19:
	s_branch .LBB2_22
.LBB2_20:                               ; =>This Inner Loop Header: Depth=1
	v_mov_b32_e32 v0, 1
	s_and_saveexec_b32 s1, s0
	s_cbranch_execz .LBB2_17
; %bb.21:                               ;   in Loop: Header=BB2_20 Depth=1
	global_load_b32 v0, v[13:14], off offset:20 scope:SCOPE_SYS
	s_wait_loadcnt 0x0
	global_inv scope:SCOPE_SYS
	v_and_b32_e32 v0, 1, v0
	s_branch .LBB2_17
.LBB2_22:
	s_and_saveexec_b32 s6, s0
	s_cbranch_execz .LBB2_26
; %bb.23:
	v_mov_b32_e32 v6, 0
	s_clause 0x2
	global_load_b64 v[0:1], v6, s[2:3] offset:40
	global_load_b64 v[9:10], v6, s[2:3] offset:24 scope:SCOPE_SYS
	global_load_b64 v[2:3], v6, s[2:3]
	s_wait_loadcnt 0x2
	v_readfirstlane_b32 s8, v0
	v_readfirstlane_b32 s9, v1
	s_add_nc_u64 s[0:1], s[8:9], 1
	s_wait_alu 0xfffe
	s_add_nc_u64 s[4:5], s[0:1], s[4:5]
	s_wait_alu 0xfffe
	s_cmp_eq_u64 s[4:5], 0
	s_cselect_b32 s1, s1, s5
	s_cselect_b32 s0, s0, s4
	s_wait_alu 0xfffe
	v_mov_b32_e32 v8, s1
	s_and_b64 s[4:5], s[0:1], s[8:9]
	v_mov_b32_e32 v7, s0
	s_wait_alu 0xfffe
	s_mul_u64 s[4:5], s[4:5], 24
	s_wait_loadcnt 0x0
	s_wait_alu 0xfffe
	v_add_co_u32 v4, vcc_lo, v2, s4
	s_wait_alu 0xfffd
	v_add_co_ci_u32_e64 v5, null, s5, v3, vcc_lo
	global_store_b64 v[4:5], v[9:10], off
	global_wb scope:SCOPE_SYS
	s_wait_storecnt 0x0
	global_atomic_cmpswap_b64 v[2:3], v6, v[7:10], s[2:3] offset:24 th:TH_ATOMIC_RETURN scope:SCOPE_SYS
	s_wait_loadcnt 0x0
	v_cmp_ne_u64_e32 vcc_lo, v[2:3], v[9:10]
	s_and_b32 exec_lo, exec_lo, vcc_lo
	s_cbranch_execz .LBB2_26
; %bb.24:
	s_mov_b32 s4, 0
.LBB2_25:                               ; =>This Inner Loop Header: Depth=1
	v_dual_mov_b32 v0, s0 :: v_dual_mov_b32 v1, s1
	s_sleep 1
	global_store_b64 v[4:5], v[2:3], off
	global_wb scope:SCOPE_SYS
	s_wait_storecnt 0x0
	global_atomic_cmpswap_b64 v[0:1], v6, v[0:3], s[2:3] offset:24 th:TH_ATOMIC_RETURN scope:SCOPE_SYS
	s_wait_loadcnt 0x0
	v_cmp_eq_u64_e32 vcc_lo, v[0:1], v[2:3]
	v_dual_mov_b32 v3, v1 :: v_dual_mov_b32 v2, v0
	s_wait_alu 0xfffe
	s_or_b32 s4, vcc_lo, s4
	s_wait_alu 0xfffe
	s_and_not1_b32 exec_lo, exec_lo, s4
	s_cbranch_execnz .LBB2_25
.LBB2_26:
	s_wait_alu 0xfffe
	s_or_b32 exec_lo, exec_lo, s6
	s_wait_loadcnt 0x0
	s_wait_kmcnt 0x0
	s_setpc_b64 s[30:31]
.Lfunc_end2:
	.size	__ockl_printf_append_args, .Lfunc_end2-__ockl_printf_append_args
                                        ; -- End function
	.set .L__ockl_printf_append_args.num_vgpr, 18
	.set .L__ockl_printf_append_args.num_agpr, 0
	.set .L__ockl_printf_append_args.numbered_sgpr, 32
	.set .L__ockl_printf_append_args.num_named_barrier, 0
	.set .L__ockl_printf_append_args.private_seg_size, 0
	.set .L__ockl_printf_append_args.uses_vcc, 1
	.set .L__ockl_printf_append_args.uses_flat_scratch, 0
	.set .L__ockl_printf_append_args.has_dyn_sized_stack, 0
	.set .L__ockl_printf_append_args.has_recursion, 0
	.set .L__ockl_printf_append_args.has_indirect_call, 0
	.section	.AMDGPU.csdata,"",@progbits
; Function info:
; codeLenInByte = 1696
; TotalNumSgprs: 34
; NumVgprs: 18
; ScratchSize: 0
; MemoryBound: 0
	.text
	.p2align	2                               ; -- Begin function _ZL14no_device_codePKciS0_iS0_
	.type	_ZL14no_device_codePKciS0_iS0_,@function
_ZL14no_device_codePKciS0_iS0_:         ; @_ZL14no_device_codePKciS0_iS0_
; %bb.0:
	s_wait_loadcnt_dscnt 0x0
	s_wait_expcnt 0x0
	s_wait_samplecnt 0x0
	s_wait_bvhcnt 0x0
	s_wait_kmcnt 0x0
	s_mov_b32 s20, s33
	s_mov_b32 s33, s32
	s_xor_saveexec_b32 s0, -1
	scratch_store_b32 off, v39, s33         ; 4-byte Folded Spill
	s_wait_alu 0xfffe
	s_mov_b32 exec_lo, s0
	v_writelane_b32 v39, s30, 0
	s_add_co_i32 s32, s32, 16
	v_writelane_b32 v39, s31, 1
	s_load_b64 s[2:3], s[8:9], 0x50
	v_mbcnt_lo_u32_b32 v32, -1, 0
	v_mov_b32_e32 v7, 0
	v_mov_b32_e32 v8, 0
	s_delay_alu instid0(VALU_DEP_3) | instskip(SKIP_1) | instid1(VALU_DEP_1)
	v_readfirstlane_b32 s0, v32
	s_wait_alu 0xf1ff
	v_cmp_eq_u32_e64 s0, s0, v32
	s_and_saveexec_b32 s1, s0
	s_cbranch_execz .LBB3_6
; %bb.1:
	v_mov_b32_e32 v1, 0
	s_mov_b32 s4, exec_lo
	s_wait_kmcnt 0x0
	global_load_b64 v[4:5], v1, s[2:3] offset:24 scope:SCOPE_SYS
	s_wait_loadcnt 0x0
	global_inv scope:SCOPE_SYS
	s_clause 0x1
	global_load_b64 v[2:3], v1, s[2:3] offset:40
	global_load_b64 v[6:7], v1, s[2:3]
	s_wait_loadcnt 0x1
	v_and_b32_e32 v3, v3, v5
	v_and_b32_e32 v2, v2, v4
	s_delay_alu instid0(VALU_DEP_2) | instskip(NEXT) | instid1(VALU_DEP_2)
	v_mul_lo_u32 v3, 24, v3
	v_mul_lo_u32 v8, 0, v2
	v_mul_hi_u32 v9, 24, v2
	v_mul_lo_u32 v2, 24, v2
	s_delay_alu instid0(VALU_DEP_3) | instskip(SKIP_1) | instid1(VALU_DEP_2)
	v_add_nc_u32_e32 v3, v3, v8
	s_wait_loadcnt 0x0
	v_add_co_u32 v2, vcc_lo, v6, v2
	s_delay_alu instid0(VALU_DEP_2) | instskip(SKIP_1) | instid1(VALU_DEP_1)
	v_add_nc_u32_e32 v3, v3, v9
	s_wait_alu 0xfffd
	v_add_co_ci_u32_e64 v3, null, v7, v3, vcc_lo
	global_load_b64 v[2:3], v[2:3], off scope:SCOPE_SYS
	s_wait_loadcnt 0x0
	global_atomic_cmpswap_b64 v[7:8], v1, v[2:5], s[2:3] offset:24 th:TH_ATOMIC_RETURN scope:SCOPE_SYS
	s_wait_loadcnt 0x0
	global_inv scope:SCOPE_SYS
	v_cmpx_ne_u64_e64 v[7:8], v[4:5]
	s_cbranch_execz .LBB3_5
; %bb.2:
	s_mov_b32 s5, 0
.LBB3_3:                                ; =>This Inner Loop Header: Depth=1
	s_sleep 1
	s_clause 0x1
	global_load_b64 v[2:3], v1, s[2:3] offset:40
	global_load_b64 v[9:10], v1, s[2:3]
	v_dual_mov_b32 v4, v7 :: v_dual_mov_b32 v5, v8
	s_wait_loadcnt 0x1
	s_delay_alu instid0(VALU_DEP_1) | instskip(NEXT) | instid1(VALU_DEP_2)
	v_and_b32_e32 v2, v2, v4
	v_and_b32_e32 v3, v3, v5
	s_wait_loadcnt 0x0
	s_delay_alu instid0(VALU_DEP_2) | instskip(NEXT) | instid1(VALU_DEP_1)
	v_mad_co_u64_u32 v[6:7], null, v2, 24, v[9:10]
	v_mov_b32_e32 v2, v7
	s_delay_alu instid0(VALU_DEP_1) | instskip(NEXT) | instid1(VALU_DEP_1)
	v_mad_co_u64_u32 v[2:3], null, v3, 24, v[2:3]
	v_mov_b32_e32 v7, v2
	global_load_b64 v[2:3], v[6:7], off scope:SCOPE_SYS
	s_wait_loadcnt 0x0
	global_atomic_cmpswap_b64 v[7:8], v1, v[2:5], s[2:3] offset:24 th:TH_ATOMIC_RETURN scope:SCOPE_SYS
	s_wait_loadcnt 0x0
	global_inv scope:SCOPE_SYS
	v_cmp_eq_u64_e32 vcc_lo, v[7:8], v[4:5]
	s_wait_alu 0xfffe
	s_or_b32 s5, vcc_lo, s5
	s_wait_alu 0xfffe
	s_and_not1_b32 exec_lo, exec_lo, s5
	s_cbranch_execnz .LBB3_3
; %bb.4:
	s_or_b32 exec_lo, exec_lo, s5
.LBB3_5:
	s_wait_alu 0xfffe
	s_or_b32 exec_lo, exec_lo, s4
.LBB3_6:
	s_wait_alu 0xfffe
	s_or_b32 exec_lo, exec_lo, s1
	v_readfirstlane_b32 s4, v7
	v_mov_b32_e32 v6, 0
	v_readfirstlane_b32 s5, v8
	s_mov_b32 s1, exec_lo
	s_wait_kmcnt 0x0
	s_clause 0x1
	global_load_b64 v[9:10], v6, s[2:3] offset:40
	global_load_b128 v[1:4], v6, s[2:3]
	s_wait_loadcnt 0x1
	s_wait_alu 0xf1ff
	v_and_b32_e32 v12, s5, v10
	v_and_b32_e32 v11, s4, v9
	s_delay_alu instid0(VALU_DEP_2) | instskip(NEXT) | instid1(VALU_DEP_2)
	v_mul_lo_u32 v5, 24, v12
	v_mul_lo_u32 v7, 0, v11
	v_mul_hi_u32 v8, 24, v11
	v_mul_lo_u32 v9, 24, v11
	s_delay_alu instid0(VALU_DEP_3) | instskip(SKIP_1) | instid1(VALU_DEP_2)
	v_add_nc_u32_e32 v5, v5, v7
	s_wait_loadcnt 0x0
	v_add_co_u32 v9, vcc_lo, v1, v9
	s_delay_alu instid0(VALU_DEP_2) | instskip(SKIP_1) | instid1(VALU_DEP_1)
	v_add_nc_u32_e32 v5, v5, v8
	s_wait_alu 0xfffd
	v_add_co_ci_u32_e64 v10, null, v2, v5, vcc_lo
	s_and_saveexec_b32 s6, s0
	s_cbranch_execz .LBB3_8
; %bb.7:
	s_wait_alu 0xfffe
	v_dual_mov_b32 v5, s1 :: v_dual_mov_b32 v8, 1
	v_mov_b32_e32 v7, 2
	global_store_b128 v[9:10], v[5:8], off offset:8
.LBB3_8:
	s_wait_alu 0xfffe
	s_or_b32 exec_lo, exec_lo, s6
	v_lshlrev_b64_e32 v[11:12], 12, v[11:12]
	v_dual_mov_b32 v8, v6 :: v_dual_lshlrev_b32 v31, 6, v32
	s_mov_b32 s12, 0
	s_wait_alu 0xfffe
	s_mov_b32 s15, s12
	s_delay_alu instid0(VALU_DEP_2)
	v_add_co_u32 v3, vcc_lo, v3, v11
	s_wait_alu 0xfffd
	v_add_co_ci_u32_e64 v4, null, v4, v12, vcc_lo
	s_mov_b32 s13, s12
	v_add_co_u32 v11, vcc_lo, v3, v31
	s_mov_b32 s14, s12
	s_wait_alu 0xfffe
	v_dual_mov_b32 v5, 33 :: v_dual_mov_b32 v16, s15
	v_dual_mov_b32 v7, v6 :: v_dual_mov_b32 v14, s13
	v_readfirstlane_b32 s6, v3
	v_readfirstlane_b32 s7, v4
	s_wait_alu 0xfffd
	v_add_co_ci_u32_e64 v12, null, 0, v4, vcc_lo
	v_mov_b32_e32 v15, s14
	v_mov_b32_e32 v13, s12
	s_clause 0x3
	global_store_b128 v31, v[5:8], s[6:7]
	global_store_b128 v31, v[13:16], s[6:7] offset:16
	global_store_b128 v31, v[13:16], s[6:7] offset:32
	global_store_b128 v31, v[13:16], s[6:7] offset:48
	s_and_saveexec_b32 s1, s0
	s_cbranch_execz .LBB3_16
; %bb.9:
	v_mov_b32_e32 v7, 0
	s_mov_b32 s6, exec_lo
	s_clause 0x1
	global_load_b64 v[15:16], v7, s[2:3] offset:32 scope:SCOPE_SYS
	global_load_b64 v[3:4], v7, s[2:3] offset:40
	v_dual_mov_b32 v14, s5 :: v_dual_mov_b32 v13, s4
	s_wait_loadcnt 0x0
	v_and_b32_e32 v4, s5, v4
	v_and_b32_e32 v3, s4, v3
	s_delay_alu instid0(VALU_DEP_2) | instskip(NEXT) | instid1(VALU_DEP_2)
	v_mul_lo_u32 v4, 24, v4
	v_mul_lo_u32 v5, 0, v3
	v_mul_hi_u32 v6, 24, v3
	v_mul_lo_u32 v3, 24, v3
	s_delay_alu instid0(VALU_DEP_3) | instskip(NEXT) | instid1(VALU_DEP_2)
	v_add_nc_u32_e32 v4, v4, v5
	v_add_co_u32 v5, vcc_lo, v1, v3
	s_delay_alu instid0(VALU_DEP_2) | instskip(SKIP_1) | instid1(VALU_DEP_1)
	v_add_nc_u32_e32 v4, v4, v6
	s_wait_alu 0xfffd
	v_add_co_ci_u32_e64 v6, null, v2, v4, vcc_lo
	global_store_b64 v[5:6], v[15:16], off
	global_wb scope:SCOPE_SYS
	s_wait_storecnt 0x0
	global_atomic_cmpswap_b64 v[3:4], v7, v[13:16], s[2:3] offset:32 th:TH_ATOMIC_RETURN scope:SCOPE_SYS
	s_wait_loadcnt 0x0
	v_cmpx_ne_u64_e64 v[3:4], v[15:16]
	s_cbranch_execz .LBB3_12
; %bb.10:
	s_mov_b32 s7, 0
.LBB3_11:                               ; =>This Inner Loop Header: Depth=1
	v_dual_mov_b32 v1, s4 :: v_dual_mov_b32 v2, s5
	s_sleep 1
	global_store_b64 v[5:6], v[3:4], off
	global_wb scope:SCOPE_SYS
	s_wait_storecnt 0x0
	global_atomic_cmpswap_b64 v[1:2], v7, v[1:4], s[2:3] offset:32 th:TH_ATOMIC_RETURN scope:SCOPE_SYS
	s_wait_loadcnt 0x0
	v_cmp_eq_u64_e32 vcc_lo, v[1:2], v[3:4]
	v_dual_mov_b32 v4, v2 :: v_dual_mov_b32 v3, v1
	s_wait_alu 0xfffe
	s_or_b32 s7, vcc_lo, s7
	s_wait_alu 0xfffe
	s_and_not1_b32 exec_lo, exec_lo, s7
	s_cbranch_execnz .LBB3_11
.LBB3_12:
	s_wait_alu 0xfffe
	s_or_b32 exec_lo, exec_lo, s6
	v_mov_b32_e32 v4, 0
	s_mov_b32 s7, exec_lo
	s_mov_b32 s6, exec_lo
	s_wait_alu 0xfffe
	v_mbcnt_lo_u32_b32 v3, s7, 0
	global_load_b64 v[1:2], v4, s[2:3] offset:16
	v_cmpx_eq_u32_e32 0, v3
	s_cbranch_execz .LBB3_14
; %bb.13:
	s_bcnt1_i32_b32 s7, s7
	s_wait_alu 0xfffe
	v_mov_b32_e32 v3, s7
	global_wb scope:SCOPE_SYS
	s_wait_loadcnt 0x0
	s_wait_storecnt 0x0
	global_atomic_add_u64 v[1:2], v[3:4], off offset:8 scope:SCOPE_SYS
.LBB3_14:
	s_or_b32 exec_lo, exec_lo, s6
	s_wait_loadcnt 0x0
	global_load_b64 v[3:4], v[1:2], off offset:16
	s_wait_loadcnt 0x0
	v_cmp_eq_u64_e32 vcc_lo, 0, v[3:4]
	s_cbranch_vccnz .LBB3_16
; %bb.15:
	global_load_b32 v1, v[1:2], off offset:24
	v_mov_b32_e32 v2, 0
	s_wait_loadcnt 0x0
	v_readfirstlane_b32 s6, v1
	global_wb scope:SCOPE_SYS
	s_wait_storecnt 0x0
	global_store_b64 v[3:4], v[1:2], off scope:SCOPE_SYS
	s_and_b32 m0, s6, 0xffffff
	s_sendmsg sendmsg(MSG_INTERRUPT)
.LBB3_16:
	s_wait_alu 0xfffe
	s_or_b32 exec_lo, exec_lo, s1
	s_branch .LBB3_20
.LBB3_17:                               ;   in Loop: Header=BB3_20 Depth=1
	s_wait_alu 0xfffe
	s_or_b32 exec_lo, exec_lo, s1
	s_delay_alu instid0(VALU_DEP_1)
	v_readfirstlane_b32 s1, v1
	s_cmp_eq_u32 s1, 0
	s_cbranch_scc1 .LBB3_19
; %bb.18:                               ;   in Loop: Header=BB3_20 Depth=1
	s_sleep 1
	s_cbranch_execnz .LBB3_20
	s_branch .LBB3_22
.LBB3_19:
	s_branch .LBB3_22
.LBB3_20:                               ; =>This Inner Loop Header: Depth=1
	v_mov_b32_e32 v1, 1
	s_and_saveexec_b32 s1, s0
	s_cbranch_execz .LBB3_17
; %bb.21:                               ;   in Loop: Header=BB3_20 Depth=1
	global_load_b32 v1, v[9:10], off offset:20 scope:SCOPE_SYS
	s_wait_loadcnt 0x0
	global_inv scope:SCOPE_SYS
	v_and_b32_e32 v1, 1, v1
	s_branch .LBB3_17
.LBB3_22:
	global_load_b64 v[5:6], v[11:12], off
	s_and_saveexec_b32 s6, s0
	s_cbranch_execz .LBB3_26
; %bb.23:
	v_mov_b32_e32 v9, 0
	s_clause 0x2
	global_load_b64 v[1:2], v9, s[2:3] offset:40
	global_load_b64 v[12:13], v9, s[2:3] offset:24 scope:SCOPE_SYS
	global_load_b64 v[3:4], v9, s[2:3]
	s_wait_loadcnt 0x2
	v_readfirstlane_b32 s10, v1
	v_readfirstlane_b32 s11, v2
	s_add_nc_u64 s[0:1], s[10:11], 1
	s_wait_alu 0xfffe
	s_add_nc_u64 s[4:5], s[0:1], s[4:5]
	s_wait_alu 0xfffe
	s_cmp_eq_u64 s[4:5], 0
	s_cselect_b32 s1, s1, s5
	s_cselect_b32 s0, s0, s4
	s_wait_alu 0xfffe
	v_mov_b32_e32 v11, s1
	s_and_b64 s[4:5], s[0:1], s[10:11]
	v_mov_b32_e32 v10, s0
	s_wait_alu 0xfffe
	s_mul_u64 s[4:5], s[4:5], 24
	s_wait_loadcnt 0x0
	s_wait_alu 0xfffe
	v_add_co_u32 v7, vcc_lo, v3, s4
	s_wait_alu 0xfffd
	v_add_co_ci_u32_e64 v8, null, s5, v4, vcc_lo
	global_store_b64 v[7:8], v[12:13], off
	global_wb scope:SCOPE_SYS
	s_wait_storecnt 0x0
	global_atomic_cmpswap_b64 v[3:4], v9, v[10:13], s[2:3] offset:24 th:TH_ATOMIC_RETURN scope:SCOPE_SYS
	s_wait_loadcnt 0x0
	v_cmp_ne_u64_e32 vcc_lo, v[3:4], v[12:13]
	s_and_b32 exec_lo, exec_lo, vcc_lo
	s_cbranch_execz .LBB3_26
; %bb.24:
	s_mov_b32 s4, 0
.LBB3_25:                               ; =>This Inner Loop Header: Depth=1
	v_dual_mov_b32 v1, s0 :: v_dual_mov_b32 v2, s1
	s_sleep 1
	global_store_b64 v[7:8], v[3:4], off
	global_wb scope:SCOPE_SYS
	s_wait_storecnt 0x0
	global_atomic_cmpswap_b64 v[1:2], v9, v[1:4], s[2:3] offset:24 th:TH_ATOMIC_RETURN scope:SCOPE_SYS
	s_wait_loadcnt 0x0
	v_cmp_eq_u64_e32 vcc_lo, v[1:2], v[3:4]
	v_dual_mov_b32 v4, v2 :: v_dual_mov_b32 v3, v1
	s_wait_alu 0xfffe
	s_or_b32 s4, vcc_lo, s4
	s_wait_alu 0xfffe
	s_and_not1_b32 exec_lo, exec_lo, s4
	s_cbranch_execnz .LBB3_25
.LBB3_26:
	s_wait_alu 0xfffe
	s_or_b32 exec_lo, exec_lo, s6
	s_getpc_b64 s[4:5]
	s_wait_alu 0xfffe
	s_sext_i32_i16 s5, s5
	s_add_co_u32 s4, s4, .str.5@rel32@lo+12
	s_wait_alu 0xfffe
	s_add_co_ci_u32 s5, s5, .str.5@rel32@hi+24
	s_wait_alu 0xfffe
	s_cmp_lg_u64 s[4:5], 0
	s_cbranch_scc0 .LBB3_104
; %bb.27:
	s_wait_loadcnt 0x0
	v_dual_mov_b32 v8, 0 :: v_dual_and_b32 v33, 2, v5
	v_dual_mov_b32 v2, v6 :: v_dual_and_b32 v1, -3, v5
	v_dual_mov_b32 v9, 2 :: v_dual_mov_b32 v10, 1
	s_mov_b64 s[6:7], 0x4d
	s_branch .LBB3_29
.LBB3_28:                               ;   in Loop: Header=BB3_29 Depth=1
	s_wait_alu 0xfffe
	s_or_b32 exec_lo, exec_lo, s14
	s_sub_nc_u64 s[6:7], s[6:7], s[10:11]
	s_add_nc_u64 s[4:5], s[4:5], s[10:11]
	s_wait_alu 0xfffe
	s_cmp_lg_u64 s[6:7], 0
	s_cbranch_scc0 .LBB3_105
.LBB3_29:                               ; =>This Loop Header: Depth=1
                                        ;     Child Loop BB3_32 Depth 2
                                        ;     Child Loop BB3_39 Depth 2
	;; [unrolled: 1-line block ×11, first 2 shown]
	s_wait_alu 0xfffe
	v_cmp_lt_u64_e64 s0, s[6:7], 56
	v_cmp_gt_u64_e64 s1, s[6:7], 7
	s_and_b32 s0, s0, exec_lo
	s_cselect_b32 s11, s7, 0
	s_cselect_b32 s10, s6, 56
	s_and_b32 vcc_lo, exec_lo, s1
	s_wait_alu 0xfffe
	s_cbranch_vccnz .LBB3_34
; %bb.30:                               ;   in Loop: Header=BB3_29 Depth=1
	v_mov_b32_e32 v3, 0
	v_mov_b32_e32 v4, 0
	s_cmp_eq_u64 s[6:7], 0
	s_cbranch_scc1 .LBB3_33
; %bb.31:                               ;   in Loop: Header=BB3_29 Depth=1
	s_mov_b64 s[0:1], 0
	s_mov_b64 s[12:13], 0
.LBB3_32:                               ;   Parent Loop BB3_29 Depth=1
                                        ; =>  This Inner Loop Header: Depth=2
	s_wait_alu 0xfffe
	s_add_nc_u64 s[14:15], s[4:5], s[12:13]
	s_add_nc_u64 s[12:13], s[12:13], 1
	global_load_u8 v7, v8, s[14:15]
	s_wait_alu 0xfffe
	s_cmp_lg_u32 s10, s12
	s_wait_loadcnt 0x0
	v_and_b32_e32 v7, 0xffff, v7
	s_delay_alu instid0(VALU_DEP_1) | instskip(SKIP_1) | instid1(VALU_DEP_1)
	v_lshlrev_b64_e32 v[11:12], s0, v[7:8]
	s_add_nc_u64 s[0:1], s[0:1], 8
	v_or_b32_e32 v3, v11, v3
	s_delay_alu instid0(VALU_DEP_2)
	v_or_b32_e32 v4, v12, v4
	s_cbranch_scc1 .LBB3_32
.LBB3_33:                               ;   in Loop: Header=BB3_29 Depth=1
	s_mov_b64 s[12:13], s[4:5]
	s_mov_b32 s16, 0
	s_cbranch_execz .LBB3_35
	s_branch .LBB3_36
.LBB3_34:                               ;   in Loop: Header=BB3_29 Depth=1
	s_add_nc_u64 s[12:13], s[4:5], 8
	s_mov_b32 s16, 0
.LBB3_35:                               ;   in Loop: Header=BB3_29 Depth=1
	global_load_b64 v[3:4], v8, s[4:5]
	s_add_co_i32 s16, s10, -8
.LBB3_36:                               ;   in Loop: Header=BB3_29 Depth=1
	s_wait_alu 0xfffe
	s_cmp_gt_u32 s16, 7
	s_cbranch_scc1 .LBB3_41
; %bb.37:                               ;   in Loop: Header=BB3_29 Depth=1
	v_mov_b32_e32 v11, 0
	v_mov_b32_e32 v12, 0
	s_cmp_eq_u32 s16, 0
	s_cbranch_scc1 .LBB3_40
; %bb.38:                               ;   in Loop: Header=BB3_29 Depth=1
	s_mov_b64 s[0:1], 0
	s_mov_b64 s[14:15], 0
.LBB3_39:                               ;   Parent Loop BB3_29 Depth=1
                                        ; =>  This Inner Loop Header: Depth=2
	s_wait_alu 0xfffe
	s_add_nc_u64 s[18:19], s[12:13], s[14:15]
	s_add_nc_u64 s[14:15], s[14:15], 1
	global_load_u8 v7, v8, s[18:19]
	s_wait_alu 0xfffe
	s_cmp_lg_u32 s16, s14
	s_wait_loadcnt 0x0
	v_and_b32_e32 v7, 0xffff, v7
	s_delay_alu instid0(VALU_DEP_1) | instskip(SKIP_1) | instid1(VALU_DEP_1)
	v_lshlrev_b64_e32 v[13:14], s0, v[7:8]
	s_add_nc_u64 s[0:1], s[0:1], 8
	v_or_b32_e32 v11, v13, v11
	s_delay_alu instid0(VALU_DEP_2)
	v_or_b32_e32 v12, v14, v12
	s_cbranch_scc1 .LBB3_39
.LBB3_40:                               ;   in Loop: Header=BB3_29 Depth=1
	s_mov_b64 s[0:1], s[12:13]
	s_mov_b32 s17, 0
	s_cbranch_execz .LBB3_42
	s_branch .LBB3_43
.LBB3_41:                               ;   in Loop: Header=BB3_29 Depth=1
	s_add_nc_u64 s[0:1], s[12:13], 8
                                        ; implicit-def: $vgpr11_vgpr12
	s_mov_b32 s17, 0
.LBB3_42:                               ;   in Loop: Header=BB3_29 Depth=1
	global_load_b64 v[11:12], v8, s[12:13]
	s_add_co_i32 s17, s16, -8
.LBB3_43:                               ;   in Loop: Header=BB3_29 Depth=1
	s_wait_alu 0xfffe
	s_cmp_gt_u32 s17, 7
	s_cbranch_scc1 .LBB3_48
; %bb.44:                               ;   in Loop: Header=BB3_29 Depth=1
	v_mov_b32_e32 v13, 0
	v_mov_b32_e32 v14, 0
	s_cmp_eq_u32 s17, 0
	s_cbranch_scc1 .LBB3_47
; %bb.45:                               ;   in Loop: Header=BB3_29 Depth=1
	s_mov_b64 s[12:13], 0
	s_mov_b64 s[14:15], 0
.LBB3_46:                               ;   Parent Loop BB3_29 Depth=1
                                        ; =>  This Inner Loop Header: Depth=2
	s_wait_alu 0xfffe
	s_add_nc_u64 s[18:19], s[0:1], s[14:15]
	s_add_nc_u64 s[14:15], s[14:15], 1
	global_load_u8 v7, v8, s[18:19]
	s_wait_alu 0xfffe
	s_cmp_lg_u32 s17, s14
	s_wait_loadcnt 0x0
	v_and_b32_e32 v7, 0xffff, v7
	s_delay_alu instid0(VALU_DEP_1) | instskip(SKIP_1) | instid1(VALU_DEP_1)
	v_lshlrev_b64_e32 v[15:16], s12, v[7:8]
	s_add_nc_u64 s[12:13], s[12:13], 8
	v_or_b32_e32 v13, v15, v13
	s_delay_alu instid0(VALU_DEP_2)
	v_or_b32_e32 v14, v16, v14
	s_cbranch_scc1 .LBB3_46
.LBB3_47:                               ;   in Loop: Header=BB3_29 Depth=1
	s_mov_b64 s[12:13], s[0:1]
	s_mov_b32 s16, 0
	s_cbranch_execz .LBB3_49
	s_branch .LBB3_50
.LBB3_48:                               ;   in Loop: Header=BB3_29 Depth=1
	s_add_nc_u64 s[12:13], s[0:1], 8
	s_mov_b32 s16, 0
.LBB3_49:                               ;   in Loop: Header=BB3_29 Depth=1
	global_load_b64 v[13:14], v8, s[0:1]
	s_add_co_i32 s16, s17, -8
.LBB3_50:                               ;   in Loop: Header=BB3_29 Depth=1
	s_wait_alu 0xfffe
	s_cmp_gt_u32 s16, 7
	s_cbranch_scc1 .LBB3_55
; %bb.51:                               ;   in Loop: Header=BB3_29 Depth=1
	v_mov_b32_e32 v15, 0
	v_mov_b32_e32 v16, 0
	s_cmp_eq_u32 s16, 0
	s_cbranch_scc1 .LBB3_54
; %bb.52:                               ;   in Loop: Header=BB3_29 Depth=1
	s_mov_b64 s[0:1], 0
	s_mov_b64 s[14:15], 0
.LBB3_53:                               ;   Parent Loop BB3_29 Depth=1
                                        ; =>  This Inner Loop Header: Depth=2
	s_wait_alu 0xfffe
	s_add_nc_u64 s[18:19], s[12:13], s[14:15]
	s_add_nc_u64 s[14:15], s[14:15], 1
	global_load_u8 v7, v8, s[18:19]
	s_wait_alu 0xfffe
	s_cmp_lg_u32 s16, s14
	s_wait_loadcnt 0x0
	v_and_b32_e32 v7, 0xffff, v7
	s_delay_alu instid0(VALU_DEP_1) | instskip(SKIP_1) | instid1(VALU_DEP_1)
	v_lshlrev_b64_e32 v[17:18], s0, v[7:8]
	s_add_nc_u64 s[0:1], s[0:1], 8
	v_or_b32_e32 v15, v17, v15
	s_delay_alu instid0(VALU_DEP_2)
	v_or_b32_e32 v16, v18, v16
	s_cbranch_scc1 .LBB3_53
.LBB3_54:                               ;   in Loop: Header=BB3_29 Depth=1
	s_mov_b64 s[0:1], s[12:13]
	s_mov_b32 s17, 0
	s_cbranch_execz .LBB3_56
	s_branch .LBB3_57
.LBB3_55:                               ;   in Loop: Header=BB3_29 Depth=1
	s_add_nc_u64 s[0:1], s[12:13], 8
                                        ; implicit-def: $vgpr15_vgpr16
	s_mov_b32 s17, 0
.LBB3_56:                               ;   in Loop: Header=BB3_29 Depth=1
	global_load_b64 v[15:16], v8, s[12:13]
	s_add_co_i32 s17, s16, -8
.LBB3_57:                               ;   in Loop: Header=BB3_29 Depth=1
	s_wait_alu 0xfffe
	s_cmp_gt_u32 s17, 7
	s_cbranch_scc1 .LBB3_62
; %bb.58:                               ;   in Loop: Header=BB3_29 Depth=1
	v_mov_b32_e32 v17, 0
	v_mov_b32_e32 v18, 0
	s_cmp_eq_u32 s17, 0
	s_cbranch_scc1 .LBB3_61
; %bb.59:                               ;   in Loop: Header=BB3_29 Depth=1
	s_mov_b64 s[12:13], 0
	s_mov_b64 s[14:15], 0
.LBB3_60:                               ;   Parent Loop BB3_29 Depth=1
                                        ; =>  This Inner Loop Header: Depth=2
	s_wait_alu 0xfffe
	s_add_nc_u64 s[18:19], s[0:1], s[14:15]
	s_add_nc_u64 s[14:15], s[14:15], 1
	global_load_u8 v7, v8, s[18:19]
	s_wait_alu 0xfffe
	s_cmp_lg_u32 s17, s14
	s_wait_loadcnt 0x0
	v_and_b32_e32 v7, 0xffff, v7
	s_delay_alu instid0(VALU_DEP_1) | instskip(SKIP_1) | instid1(VALU_DEP_1)
	v_lshlrev_b64_e32 v[19:20], s12, v[7:8]
	s_add_nc_u64 s[12:13], s[12:13], 8
	v_or_b32_e32 v17, v19, v17
	s_delay_alu instid0(VALU_DEP_2)
	v_or_b32_e32 v18, v20, v18
	s_cbranch_scc1 .LBB3_60
.LBB3_61:                               ;   in Loop: Header=BB3_29 Depth=1
	s_mov_b64 s[12:13], s[0:1]
	s_mov_b32 s16, 0
	s_cbranch_execz .LBB3_63
	s_branch .LBB3_64
.LBB3_62:                               ;   in Loop: Header=BB3_29 Depth=1
	s_add_nc_u64 s[12:13], s[0:1], 8
	s_mov_b32 s16, 0
.LBB3_63:                               ;   in Loop: Header=BB3_29 Depth=1
	global_load_b64 v[17:18], v8, s[0:1]
	s_add_co_i32 s16, s17, -8
.LBB3_64:                               ;   in Loop: Header=BB3_29 Depth=1
	s_wait_alu 0xfffe
	s_cmp_gt_u32 s16, 7
	s_cbranch_scc1 .LBB3_69
; %bb.65:                               ;   in Loop: Header=BB3_29 Depth=1
	v_mov_b32_e32 v19, 0
	v_mov_b32_e32 v20, 0
	s_cmp_eq_u32 s16, 0
	s_cbranch_scc1 .LBB3_68
; %bb.66:                               ;   in Loop: Header=BB3_29 Depth=1
	s_mov_b64 s[0:1], 0
	s_mov_b64 s[14:15], 0
.LBB3_67:                               ;   Parent Loop BB3_29 Depth=1
                                        ; =>  This Inner Loop Header: Depth=2
	s_wait_alu 0xfffe
	s_add_nc_u64 s[18:19], s[12:13], s[14:15]
	s_add_nc_u64 s[14:15], s[14:15], 1
	global_load_u8 v7, v8, s[18:19]
	s_wait_alu 0xfffe
	s_cmp_lg_u32 s16, s14
	s_wait_loadcnt 0x0
	v_and_b32_e32 v7, 0xffff, v7
	s_delay_alu instid0(VALU_DEP_1) | instskip(SKIP_1) | instid1(VALU_DEP_1)
	v_lshlrev_b64_e32 v[21:22], s0, v[7:8]
	s_add_nc_u64 s[0:1], s[0:1], 8
	v_or_b32_e32 v19, v21, v19
	s_delay_alu instid0(VALU_DEP_2)
	v_or_b32_e32 v20, v22, v20
	s_cbranch_scc1 .LBB3_67
.LBB3_68:                               ;   in Loop: Header=BB3_29 Depth=1
	s_mov_b64 s[0:1], s[12:13]
	s_mov_b32 s17, 0
	s_cbranch_execz .LBB3_70
	s_branch .LBB3_71
.LBB3_69:                               ;   in Loop: Header=BB3_29 Depth=1
	s_add_nc_u64 s[0:1], s[12:13], 8
                                        ; implicit-def: $vgpr19_vgpr20
	s_mov_b32 s17, 0
.LBB3_70:                               ;   in Loop: Header=BB3_29 Depth=1
	global_load_b64 v[19:20], v8, s[12:13]
	s_add_co_i32 s17, s16, -8
.LBB3_71:                               ;   in Loop: Header=BB3_29 Depth=1
	s_wait_alu 0xfffe
	s_cmp_gt_u32 s17, 7
	s_cbranch_scc1 .LBB3_76
; %bb.72:                               ;   in Loop: Header=BB3_29 Depth=1
	v_mov_b32_e32 v21, 0
	v_mov_b32_e32 v22, 0
	s_cmp_eq_u32 s17, 0
	s_cbranch_scc1 .LBB3_75
; %bb.73:                               ;   in Loop: Header=BB3_29 Depth=1
	s_mov_b64 s[12:13], 0
	s_mov_b64 s[14:15], s[0:1]
.LBB3_74:                               ;   Parent Loop BB3_29 Depth=1
                                        ; =>  This Inner Loop Header: Depth=2
	global_load_u8 v7, v8, s[14:15]
	s_add_co_i32 s17, s17, -1
	s_wait_alu 0xfffe
	s_add_nc_u64 s[14:15], s[14:15], 1
	s_cmp_lg_u32 s17, 0
	s_wait_loadcnt 0x0
	v_and_b32_e32 v7, 0xffff, v7
	s_delay_alu instid0(VALU_DEP_1) | instskip(SKIP_1) | instid1(VALU_DEP_1)
	v_lshlrev_b64_e32 v[23:24], s12, v[7:8]
	s_add_nc_u64 s[12:13], s[12:13], 8
	v_or_b32_e32 v21, v23, v21
	s_delay_alu instid0(VALU_DEP_2)
	v_or_b32_e32 v22, v24, v22
	s_cbranch_scc1 .LBB3_74
.LBB3_75:                               ;   in Loop: Header=BB3_29 Depth=1
	s_cbranch_execz .LBB3_77
	s_branch .LBB3_78
.LBB3_76:                               ;   in Loop: Header=BB3_29 Depth=1
.LBB3_77:                               ;   in Loop: Header=BB3_29 Depth=1
	global_load_b64 v[21:22], v8, s[0:1]
.LBB3_78:                               ;   in Loop: Header=BB3_29 Depth=1
	v_readfirstlane_b32 s0, v32
	v_mov_b32_e32 v27, 0
	v_mov_b32_e32 v28, 0
	s_wait_alu 0xf1ff
	s_delay_alu instid0(VALU_DEP_3)
	v_cmp_eq_u32_e64 s0, s0, v32
	s_and_saveexec_b32 s1, s0
	s_cbranch_execz .LBB3_84
; %bb.79:                               ;   in Loop: Header=BB3_29 Depth=1
	global_load_b64 v[25:26], v8, s[2:3] offset:24 scope:SCOPE_SYS
	s_wait_loadcnt 0x0
	global_inv scope:SCOPE_SYS
	s_clause 0x1
	global_load_b64 v[23:24], v8, s[2:3] offset:40
	global_load_b64 v[27:28], v8, s[2:3]
	s_mov_b32 s12, exec_lo
	s_wait_loadcnt 0x1
	v_and_b32_e32 v7, v24, v26
	v_and_b32_e32 v23, v23, v25
	s_delay_alu instid0(VALU_DEP_2) | instskip(NEXT) | instid1(VALU_DEP_2)
	v_mul_lo_u32 v7, 24, v7
	v_mul_lo_u32 v24, 0, v23
	v_mul_hi_u32 v29, 24, v23
	v_mul_lo_u32 v23, 24, v23
	s_delay_alu instid0(VALU_DEP_3) | instskip(SKIP_1) | instid1(VALU_DEP_2)
	v_add_nc_u32_e32 v7, v7, v24
	s_wait_loadcnt 0x0
	v_add_co_u32 v23, vcc_lo, v27, v23
	s_delay_alu instid0(VALU_DEP_2) | instskip(SKIP_1) | instid1(VALU_DEP_1)
	v_add_nc_u32_e32 v7, v7, v29
	s_wait_alu 0xfffd
	v_add_co_ci_u32_e64 v24, null, v28, v7, vcc_lo
	global_load_b64 v[23:24], v[23:24], off scope:SCOPE_SYS
	s_wait_loadcnt 0x0
	global_atomic_cmpswap_b64 v[27:28], v8, v[23:26], s[2:3] offset:24 th:TH_ATOMIC_RETURN scope:SCOPE_SYS
	s_wait_loadcnt 0x0
	global_inv scope:SCOPE_SYS
	v_cmpx_ne_u64_e64 v[27:28], v[25:26]
	s_cbranch_execz .LBB3_83
; %bb.80:                               ;   in Loop: Header=BB3_29 Depth=1
	s_mov_b32 s13, 0
.LBB3_81:                               ;   Parent Loop BB3_29 Depth=1
                                        ; =>  This Inner Loop Header: Depth=2
	s_sleep 1
	s_clause 0x1
	global_load_b64 v[23:24], v8, s[2:3] offset:40
	global_load_b64 v[29:30], v8, s[2:3]
	v_dual_mov_b32 v25, v27 :: v_dual_mov_b32 v26, v28
	s_wait_loadcnt 0x1
	s_delay_alu instid0(VALU_DEP_1) | instskip(NEXT) | instid1(VALU_DEP_2)
	v_and_b32_e32 v7, v23, v25
	v_and_b32_e32 v23, v24, v26
	s_wait_loadcnt 0x0
	s_delay_alu instid0(VALU_DEP_2) | instskip(NEXT) | instid1(VALU_DEP_1)
	v_mad_co_u64_u32 v[27:28], null, v7, 24, v[29:30]
	v_mov_b32_e32 v7, v28
	s_delay_alu instid0(VALU_DEP_1) | instskip(NEXT) | instid1(VALU_DEP_1)
	v_mad_co_u64_u32 v[23:24], null, v23, 24, v[7:8]
	v_mov_b32_e32 v28, v23
	global_load_b64 v[23:24], v[27:28], off scope:SCOPE_SYS
	s_wait_loadcnt 0x0
	global_atomic_cmpswap_b64 v[27:28], v8, v[23:26], s[2:3] offset:24 th:TH_ATOMIC_RETURN scope:SCOPE_SYS
	s_wait_loadcnt 0x0
	global_inv scope:SCOPE_SYS
	v_cmp_eq_u64_e32 vcc_lo, v[27:28], v[25:26]
	s_wait_alu 0xfffe
	s_or_b32 s13, vcc_lo, s13
	s_wait_alu 0xfffe
	s_and_not1_b32 exec_lo, exec_lo, s13
	s_cbranch_execnz .LBB3_81
; %bb.82:                               ;   in Loop: Header=BB3_29 Depth=1
	s_or_b32 exec_lo, exec_lo, s13
.LBB3_83:                               ;   in Loop: Header=BB3_29 Depth=1
	s_wait_alu 0xfffe
	s_or_b32 exec_lo, exec_lo, s12
.LBB3_84:                               ;   in Loop: Header=BB3_29 Depth=1
	s_wait_alu 0xfffe
	s_or_b32 exec_lo, exec_lo, s1
	s_clause 0x1
	global_load_b64 v[29:30], v8, s[2:3] offset:40
	global_load_b128 v[23:26], v8, s[2:3]
	v_readfirstlane_b32 s13, v28
	v_readfirstlane_b32 s12, v27
	s_mov_b32 s1, exec_lo
	s_wait_loadcnt 0x1
	s_wait_alu 0xf1ff
	v_and_b32_e32 v30, s13, v30
	v_and_b32_e32 v29, s12, v29
	s_delay_alu instid0(VALU_DEP_2) | instskip(NEXT) | instid1(VALU_DEP_2)
	v_mul_lo_u32 v7, 24, v30
	v_mul_lo_u32 v27, 0, v29
	v_mul_hi_u32 v28, 24, v29
	v_mul_lo_u32 v34, 24, v29
	s_delay_alu instid0(VALU_DEP_3) | instskip(SKIP_1) | instid1(VALU_DEP_2)
	v_add_nc_u32_e32 v7, v7, v27
	s_wait_loadcnt 0x0
	v_add_co_u32 v27, vcc_lo, v23, v34
	s_delay_alu instid0(VALU_DEP_2) | instskip(SKIP_1) | instid1(VALU_DEP_1)
	v_add_nc_u32_e32 v7, v7, v28
	s_wait_alu 0xfffd
	v_add_co_ci_u32_e64 v28, null, v24, v7, vcc_lo
	s_and_saveexec_b32 s14, s0
	s_cbranch_execz .LBB3_86
; %bb.85:                               ;   in Loop: Header=BB3_29 Depth=1
	s_wait_alu 0xfffe
	v_mov_b32_e32 v7, s1
	global_store_b128 v[27:28], v[7:10], off offset:8
.LBB3_86:                               ;   in Loop: Header=BB3_29 Depth=1
	s_wait_alu 0xfffe
	s_or_b32 exec_lo, exec_lo, s14
	v_cmp_lt_u64_e64 vcc_lo, s[6:7], 57
	v_lshlrev_b64_e32 v[29:30], 12, v[29:30]
	v_and_b32_e32 v1, 0xffffff1f, v1
	s_lshl_b32 s1, s10, 2
	s_wait_alu 0xfffe
	s_add_co_i32 s1, s1, 28
	s_wait_alu 0xfffd
	v_cndmask_b32_e32 v7, 0, v33, vcc_lo
	v_add_co_u32 v25, vcc_lo, v25, v29
	s_wait_alu 0xfffd
	v_add_co_ci_u32_e64 v26, null, v26, v30, vcc_lo
	s_delay_alu instid0(VALU_DEP_3) | instskip(NEXT) | instid1(VALU_DEP_3)
	v_or_b32_e32 v1, v1, v7
	v_readfirstlane_b32 s14, v25
	s_delay_alu instid0(VALU_DEP_3) | instskip(SKIP_1) | instid1(VALU_DEP_3)
	v_readfirstlane_b32 s15, v26
	s_wait_alu 0xfffe
	v_and_or_b32 v1, 0x1e0, s1, v1
	s_clause 0x3
	global_store_b128 v31, v[1:4], s[14:15]
	global_store_b128 v31, v[11:14], s[14:15] offset:16
	global_store_b128 v31, v[15:18], s[14:15] offset:32
	;; [unrolled: 1-line block ×3, first 2 shown]
	s_and_saveexec_b32 s1, s0
	s_cbranch_execz .LBB3_94
; %bb.87:                               ;   in Loop: Header=BB3_29 Depth=1
	s_clause 0x1
	global_load_b64 v[15:16], v8, s[2:3] offset:32 scope:SCOPE_SYS
	global_load_b64 v[1:2], v8, s[2:3] offset:40
	s_mov_b32 s14, exec_lo
	v_dual_mov_b32 v13, s12 :: v_dual_mov_b32 v14, s13
	s_wait_loadcnt 0x0
	v_and_b32_e32 v1, s12, v1
	v_and_b32_e32 v2, s13, v2
	s_delay_alu instid0(VALU_DEP_2) | instskip(NEXT) | instid1(VALU_DEP_2)
	v_mul_lo_u32 v3, 0, v1
	v_mul_lo_u32 v2, 24, v2
	v_mul_hi_u32 v4, 24, v1
	v_mul_lo_u32 v1, 24, v1
	s_delay_alu instid0(VALU_DEP_3) | instskip(NEXT) | instid1(VALU_DEP_2)
	v_add_nc_u32_e32 v2, v2, v3
	v_add_co_u32 v11, vcc_lo, v23, v1
	s_delay_alu instid0(VALU_DEP_2) | instskip(SKIP_1) | instid1(VALU_DEP_1)
	v_add_nc_u32_e32 v2, v2, v4
	s_wait_alu 0xfffd
	v_add_co_ci_u32_e64 v12, null, v24, v2, vcc_lo
	global_store_b64 v[11:12], v[15:16], off
	global_wb scope:SCOPE_SYS
	s_wait_storecnt 0x0
	global_atomic_cmpswap_b64 v[3:4], v8, v[13:16], s[2:3] offset:32 th:TH_ATOMIC_RETURN scope:SCOPE_SYS
	s_wait_loadcnt 0x0
	v_cmpx_ne_u64_e64 v[3:4], v[15:16]
	s_cbranch_execz .LBB3_90
; %bb.88:                               ;   in Loop: Header=BB3_29 Depth=1
	s_mov_b32 s15, 0
.LBB3_89:                               ;   Parent Loop BB3_29 Depth=1
                                        ; =>  This Inner Loop Header: Depth=2
	v_dual_mov_b32 v1, s12 :: v_dual_mov_b32 v2, s13
	s_sleep 1
	global_store_b64 v[11:12], v[3:4], off
	global_wb scope:SCOPE_SYS
	s_wait_storecnt 0x0
	global_atomic_cmpswap_b64 v[1:2], v8, v[1:4], s[2:3] offset:32 th:TH_ATOMIC_RETURN scope:SCOPE_SYS
	s_wait_loadcnt 0x0
	v_cmp_eq_u64_e32 vcc_lo, v[1:2], v[3:4]
	v_dual_mov_b32 v4, v2 :: v_dual_mov_b32 v3, v1
	s_wait_alu 0xfffe
	s_or_b32 s15, vcc_lo, s15
	s_wait_alu 0xfffe
	s_and_not1_b32 exec_lo, exec_lo, s15
	s_cbranch_execnz .LBB3_89
.LBB3_90:                               ;   in Loop: Header=BB3_29 Depth=1
	s_wait_alu 0xfffe
	s_or_b32 exec_lo, exec_lo, s14
	global_load_b64 v[1:2], v8, s[2:3] offset:16
	s_mov_b32 s15, exec_lo
	s_mov_b32 s14, exec_lo
	s_wait_alu 0xfffe
	v_mbcnt_lo_u32_b32 v3, s15, 0
	s_delay_alu instid0(VALU_DEP_1)
	v_cmpx_eq_u32_e32 0, v3
	s_cbranch_execz .LBB3_92
; %bb.91:                               ;   in Loop: Header=BB3_29 Depth=1
	s_bcnt1_i32_b32 s15, s15
	s_wait_alu 0xfffe
	v_mov_b32_e32 v7, s15
	global_wb scope:SCOPE_SYS
	s_wait_loadcnt 0x0
	s_wait_storecnt 0x0
	global_atomic_add_u64 v[1:2], v[7:8], off offset:8 scope:SCOPE_SYS
.LBB3_92:                               ;   in Loop: Header=BB3_29 Depth=1
	s_or_b32 exec_lo, exec_lo, s14
	s_wait_loadcnt 0x0
	global_load_b64 v[3:4], v[1:2], off offset:16
	s_wait_loadcnt 0x0
	v_cmp_eq_u64_e32 vcc_lo, 0, v[3:4]
	s_cbranch_vccnz .LBB3_94
; %bb.93:                               ;   in Loop: Header=BB3_29 Depth=1
	global_load_b32 v7, v[1:2], off offset:24
	s_wait_loadcnt 0x0
	v_readfirstlane_b32 s14, v7
	global_wb scope:SCOPE_SYS
	s_wait_storecnt 0x0
	global_store_b64 v[3:4], v[7:8], off scope:SCOPE_SYS
	s_and_b32 m0, s14, 0xffffff
	s_sendmsg sendmsg(MSG_INTERRUPT)
.LBB3_94:                               ;   in Loop: Header=BB3_29 Depth=1
	s_wait_alu 0xfffe
	s_or_b32 exec_lo, exec_lo, s1
	v_add_co_u32 v1, vcc_lo, v25, v31
	s_wait_alu 0xfffd
	v_add_co_ci_u32_e64 v2, null, 0, v26, vcc_lo
	s_branch .LBB3_98
.LBB3_95:                               ;   in Loop: Header=BB3_98 Depth=2
	s_wait_alu 0xfffe
	s_or_b32 exec_lo, exec_lo, s1
	s_delay_alu instid0(VALU_DEP_1)
	v_readfirstlane_b32 s1, v3
	s_cmp_eq_u32 s1, 0
	s_cbranch_scc1 .LBB3_97
; %bb.96:                               ;   in Loop: Header=BB3_98 Depth=2
	s_sleep 1
	s_cbranch_execnz .LBB3_98
	s_branch .LBB3_100
.LBB3_97:                               ;   in Loop: Header=BB3_29 Depth=1
	s_branch .LBB3_100
.LBB3_98:                               ;   Parent Loop BB3_29 Depth=1
                                        ; =>  This Inner Loop Header: Depth=2
	v_mov_b32_e32 v3, 1
	s_and_saveexec_b32 s1, s0
	s_cbranch_execz .LBB3_95
; %bb.99:                               ;   in Loop: Header=BB3_98 Depth=2
	global_load_b32 v3, v[27:28], off offset:20 scope:SCOPE_SYS
	s_wait_loadcnt 0x0
	global_inv scope:SCOPE_SYS
	v_and_b32_e32 v3, 1, v3
	s_branch .LBB3_95
.LBB3_100:                              ;   in Loop: Header=BB3_29 Depth=1
	global_load_b64 v[1:2], v[1:2], off
	s_and_saveexec_b32 s14, s0
	s_cbranch_execz .LBB3_28
; %bb.101:                              ;   in Loop: Header=BB3_29 Depth=1
	s_clause 0x2
	global_load_b64 v[3:4], v8, s[2:3] offset:40
	global_load_b64 v[15:16], v8, s[2:3] offset:24 scope:SCOPE_SYS
	global_load_b64 v[11:12], v8, s[2:3]
	s_wait_loadcnt 0x2
	v_readfirstlane_b32 s16, v3
	v_readfirstlane_b32 s17, v4
	s_add_nc_u64 s[0:1], s[16:17], 1
	s_wait_alu 0xfffe
	s_add_nc_u64 s[12:13], s[0:1], s[12:13]
	s_wait_alu 0xfffe
	s_cmp_eq_u64 s[12:13], 0
	s_cselect_b32 s1, s1, s13
	s_cselect_b32 s0, s0, s12
	s_wait_alu 0xfffe
	v_dual_mov_b32 v14, s1 :: v_dual_mov_b32 v13, s0
	s_and_b64 s[12:13], s[0:1], s[16:17]
	s_wait_alu 0xfffe
	s_mul_u64 s[12:13], s[12:13], 24
	s_wait_loadcnt 0x0
	s_wait_alu 0xfffe
	v_add_co_u32 v3, vcc_lo, v11, s12
	s_wait_alu 0xfffd
	v_add_co_ci_u32_e64 v4, null, s13, v12, vcc_lo
	global_store_b64 v[3:4], v[15:16], off
	global_wb scope:SCOPE_SYS
	s_wait_storecnt 0x0
	global_atomic_cmpswap_b64 v[13:14], v8, v[13:16], s[2:3] offset:24 th:TH_ATOMIC_RETURN scope:SCOPE_SYS
	s_wait_loadcnt 0x0
	v_cmp_ne_u64_e32 vcc_lo, v[13:14], v[15:16]
	s_and_b32 exec_lo, exec_lo, vcc_lo
	s_cbranch_execz .LBB3_28
; %bb.102:                              ;   in Loop: Header=BB3_29 Depth=1
	s_mov_b32 s12, 0
.LBB3_103:                              ;   Parent Loop BB3_29 Depth=1
                                        ; =>  This Inner Loop Header: Depth=2
	v_dual_mov_b32 v11, s0 :: v_dual_mov_b32 v12, s1
	s_sleep 1
	global_store_b64 v[3:4], v[13:14], off
	global_wb scope:SCOPE_SYS
	s_wait_storecnt 0x0
	global_atomic_cmpswap_b64 v[11:12], v8, v[11:14], s[2:3] offset:24 th:TH_ATOMIC_RETURN scope:SCOPE_SYS
	s_wait_loadcnt 0x0
	v_cmp_eq_u64_e32 vcc_lo, v[11:12], v[13:14]
	v_dual_mov_b32 v14, v12 :: v_dual_mov_b32 v13, v11
	s_wait_alu 0xfffe
	s_or_b32 s12, vcc_lo, s12
	s_wait_alu 0xfffe
	s_and_not1_b32 exec_lo, exec_lo, s12
	s_cbranch_execnz .LBB3_103
	s_branch .LBB3_28
.LBB3_104:
                                        ; implicit-def: $vgpr1_vgpr2
	s_cbranch_execnz .LBB3_106
	s_branch .LBB3_133
.LBB3_105:
	s_branch .LBB3_133
.LBB3_106:
	v_readfirstlane_b32 s0, v32
	v_mov_b32_e32 v8, 0
	v_mov_b32_e32 v9, 0
	s_wait_alu 0xf1ff
	s_delay_alu instid0(VALU_DEP_3)
	v_cmp_eq_u32_e64 s0, s0, v32
	s_and_saveexec_b32 s1, s0
	s_cbranch_execz .LBB3_112
; %bb.107:
	s_wait_loadcnt 0x0
	v_mov_b32_e32 v1, 0
	s_mov_b32 s4, exec_lo
	global_load_b64 v[10:11], v1, s[2:3] offset:24 scope:SCOPE_SYS
	s_wait_loadcnt 0x0
	global_inv scope:SCOPE_SYS
	s_clause 0x1
	global_load_b64 v[2:3], v1, s[2:3] offset:40
	global_load_b64 v[7:8], v1, s[2:3]
	s_wait_loadcnt 0x1
	v_and_b32_e32 v3, v3, v11
	v_and_b32_e32 v2, v2, v10
	s_delay_alu instid0(VALU_DEP_2) | instskip(NEXT) | instid1(VALU_DEP_2)
	v_mul_lo_u32 v3, 24, v3
	v_mul_lo_u32 v4, 0, v2
	v_mul_hi_u32 v9, 24, v2
	v_mul_lo_u32 v2, 24, v2
	s_delay_alu instid0(VALU_DEP_3) | instskip(SKIP_1) | instid1(VALU_DEP_2)
	v_add_nc_u32_e32 v3, v3, v4
	s_wait_loadcnt 0x0
	v_add_co_u32 v2, vcc_lo, v7, v2
	s_delay_alu instid0(VALU_DEP_2) | instskip(SKIP_1) | instid1(VALU_DEP_1)
	v_add_nc_u32_e32 v3, v3, v9
	s_wait_alu 0xfffd
	v_add_co_ci_u32_e64 v3, null, v8, v3, vcc_lo
	global_load_b64 v[8:9], v[2:3], off scope:SCOPE_SYS
	s_wait_loadcnt 0x0
	global_atomic_cmpswap_b64 v[8:9], v1, v[8:11], s[2:3] offset:24 th:TH_ATOMIC_RETURN scope:SCOPE_SYS
	s_wait_loadcnt 0x0
	global_inv scope:SCOPE_SYS
	v_cmpx_ne_u64_e64 v[8:9], v[10:11]
	s_cbranch_execz .LBB3_111
; %bb.108:
	s_mov_b32 s5, 0
.LBB3_109:                              ; =>This Inner Loop Header: Depth=1
	s_sleep 1
	s_clause 0x1
	global_load_b64 v[2:3], v1, s[2:3] offset:40
	global_load_b64 v[12:13], v1, s[2:3]
	v_dual_mov_b32 v11, v9 :: v_dual_mov_b32 v10, v8
	s_wait_loadcnt 0x1
	s_delay_alu instid0(VALU_DEP_1) | instskip(SKIP_1) | instid1(VALU_DEP_1)
	v_and_b32_e32 v2, v2, v10
	s_wait_loadcnt 0x0
	v_mad_co_u64_u32 v[7:8], null, v2, 24, v[12:13]
	s_delay_alu instid0(VALU_DEP_1) | instskip(NEXT) | instid1(VALU_DEP_1)
	v_dual_mov_b32 v2, v8 :: v_dual_and_b32 v3, v3, v11
	v_mad_co_u64_u32 v[2:3], null, v3, 24, v[2:3]
	s_delay_alu instid0(VALU_DEP_1)
	v_mov_b32_e32 v8, v2
	global_load_b64 v[8:9], v[7:8], off scope:SCOPE_SYS
	s_wait_loadcnt 0x0
	global_atomic_cmpswap_b64 v[8:9], v1, v[8:11], s[2:3] offset:24 th:TH_ATOMIC_RETURN scope:SCOPE_SYS
	s_wait_loadcnt 0x0
	global_inv scope:SCOPE_SYS
	v_cmp_eq_u64_e32 vcc_lo, v[8:9], v[10:11]
	s_wait_alu 0xfffe
	s_or_b32 s5, vcc_lo, s5
	s_wait_alu 0xfffe
	s_and_not1_b32 exec_lo, exec_lo, s5
	s_cbranch_execnz .LBB3_109
; %bb.110:
	s_or_b32 exec_lo, exec_lo, s5
.LBB3_111:
	s_wait_alu 0xfffe
	s_or_b32 exec_lo, exec_lo, s4
.LBB3_112:
	s_wait_alu 0xfffe
	s_or_b32 exec_lo, exec_lo, s1
	v_readfirstlane_b32 s5, v9
	v_mov_b32_e32 v7, 0
	v_readfirstlane_b32 s4, v8
	s_mov_b32 s1, exec_lo
	global_load_b64 v[10:11], v7, s[2:3] offset:40
	s_wait_loadcnt 0x1
	global_load_b128 v[1:4], v7, s[2:3]
	s_wait_loadcnt 0x1
	s_wait_alu 0xf1ff
	v_and_b32_e32 v12, s5, v11
	v_and_b32_e32 v11, s4, v10
	s_delay_alu instid0(VALU_DEP_2) | instskip(NEXT) | instid1(VALU_DEP_2)
	v_mul_lo_u32 v8, 24, v12
	v_mul_lo_u32 v9, 0, v11
	v_mul_hi_u32 v10, 24, v11
	v_mul_lo_u32 v13, 24, v11
	s_delay_alu instid0(VALU_DEP_3) | instskip(SKIP_1) | instid1(VALU_DEP_2)
	v_add_nc_u32_e32 v8, v8, v9
	s_wait_loadcnt 0x0
	v_add_co_u32 v9, vcc_lo, v1, v13
	s_delay_alu instid0(VALU_DEP_2) | instskip(SKIP_1) | instid1(VALU_DEP_1)
	v_add_nc_u32_e32 v8, v8, v10
	s_wait_alu 0xfffd
	v_add_co_ci_u32_e64 v10, null, v2, v8, vcc_lo
	s_and_saveexec_b32 s6, s0
	s_cbranch_execz .LBB3_114
; %bb.113:
	s_wait_alu 0xfffe
	v_dual_mov_b32 v13, s1 :: v_dual_mov_b32 v14, v7
	v_dual_mov_b32 v15, 2 :: v_dual_mov_b32 v16, 1
	global_store_b128 v[9:10], v[13:16], off offset:8
.LBB3_114:
	s_wait_alu 0xfffe
	s_or_b32 exec_lo, exec_lo, s6
	v_lshlrev_b64_e32 v[11:12], 12, v[11:12]
	s_mov_b32 s12, 0
	v_and_or_b32 v5, 0xffffff1f, v5, 32
	s_wait_alu 0xfffe
	s_mov_b32 s15, s12
	s_mov_b32 s13, s12
	s_mov_b32 s14, s12
	v_add_co_u32 v3, vcc_lo, v3, v11
	s_wait_alu 0xfffd
	v_add_co_ci_u32_e64 v4, null, v4, v12, vcc_lo
	v_mov_b32_e32 v8, v7
	s_delay_alu instid0(VALU_DEP_3) | instskip(SKIP_1) | instid1(VALU_DEP_4)
	v_add_co_u32 v11, vcc_lo, v3, v31
	v_readfirstlane_b32 s6, v3
	v_readfirstlane_b32 s7, v4
	s_wait_alu 0xfffe
	v_dual_mov_b32 v16, s15 :: v_dual_mov_b32 v13, s12
	s_wait_alu 0xfffd
	v_add_co_ci_u32_e64 v12, null, 0, v4, vcc_lo
	v_dual_mov_b32 v15, s14 :: v_dual_mov_b32 v14, s13
	s_clause 0x3
	global_store_b128 v31, v[5:8], s[6:7]
	global_store_b128 v31, v[13:16], s[6:7] offset:16
	global_store_b128 v31, v[13:16], s[6:7] offset:32
	;; [unrolled: 1-line block ×3, first 2 shown]
	s_and_saveexec_b32 s1, s0
	s_cbranch_execz .LBB3_122
; %bb.115:
	v_mov_b32_e32 v7, 0
	s_mov_b32 s6, exec_lo
	s_clause 0x1
	global_load_b64 v[15:16], v7, s[2:3] offset:32 scope:SCOPE_SYS
	global_load_b64 v[3:4], v7, s[2:3] offset:40
	v_dual_mov_b32 v14, s5 :: v_dual_mov_b32 v13, s4
	s_wait_loadcnt 0x0
	v_and_b32_e32 v4, s5, v4
	v_and_b32_e32 v3, s4, v3
	s_delay_alu instid0(VALU_DEP_2) | instskip(NEXT) | instid1(VALU_DEP_2)
	v_mul_lo_u32 v4, 24, v4
	v_mul_lo_u32 v5, 0, v3
	v_mul_hi_u32 v6, 24, v3
	v_mul_lo_u32 v3, 24, v3
	s_delay_alu instid0(VALU_DEP_3) | instskip(NEXT) | instid1(VALU_DEP_2)
	v_add_nc_u32_e32 v4, v4, v5
	v_add_co_u32 v5, vcc_lo, v1, v3
	s_delay_alu instid0(VALU_DEP_2) | instskip(SKIP_1) | instid1(VALU_DEP_1)
	v_add_nc_u32_e32 v4, v4, v6
	s_wait_alu 0xfffd
	v_add_co_ci_u32_e64 v6, null, v2, v4, vcc_lo
	global_store_b64 v[5:6], v[15:16], off
	global_wb scope:SCOPE_SYS
	s_wait_storecnt 0x0
	global_atomic_cmpswap_b64 v[3:4], v7, v[13:16], s[2:3] offset:32 th:TH_ATOMIC_RETURN scope:SCOPE_SYS
	s_wait_loadcnt 0x0
	v_cmpx_ne_u64_e64 v[3:4], v[15:16]
	s_cbranch_execz .LBB3_118
; %bb.116:
	s_mov_b32 s7, 0
.LBB3_117:                              ; =>This Inner Loop Header: Depth=1
	v_dual_mov_b32 v1, s4 :: v_dual_mov_b32 v2, s5
	s_sleep 1
	global_store_b64 v[5:6], v[3:4], off
	global_wb scope:SCOPE_SYS
	s_wait_storecnt 0x0
	global_atomic_cmpswap_b64 v[1:2], v7, v[1:4], s[2:3] offset:32 th:TH_ATOMIC_RETURN scope:SCOPE_SYS
	s_wait_loadcnt 0x0
	v_cmp_eq_u64_e32 vcc_lo, v[1:2], v[3:4]
	v_dual_mov_b32 v4, v2 :: v_dual_mov_b32 v3, v1
	s_wait_alu 0xfffe
	s_or_b32 s7, vcc_lo, s7
	s_wait_alu 0xfffe
	s_and_not1_b32 exec_lo, exec_lo, s7
	s_cbranch_execnz .LBB3_117
.LBB3_118:
	s_wait_alu 0xfffe
	s_or_b32 exec_lo, exec_lo, s6
	v_mov_b32_e32 v4, 0
	s_mov_b32 s7, exec_lo
	s_mov_b32 s6, exec_lo
	s_wait_alu 0xfffe
	v_mbcnt_lo_u32_b32 v3, s7, 0
	global_load_b64 v[1:2], v4, s[2:3] offset:16
	v_cmpx_eq_u32_e32 0, v3
	s_cbranch_execz .LBB3_120
; %bb.119:
	s_bcnt1_i32_b32 s7, s7
	s_wait_alu 0xfffe
	v_mov_b32_e32 v3, s7
	global_wb scope:SCOPE_SYS
	s_wait_loadcnt 0x0
	s_wait_storecnt 0x0
	global_atomic_add_u64 v[1:2], v[3:4], off offset:8 scope:SCOPE_SYS
.LBB3_120:
	s_or_b32 exec_lo, exec_lo, s6
	s_wait_loadcnt 0x0
	global_load_b64 v[3:4], v[1:2], off offset:16
	s_wait_loadcnt 0x0
	v_cmp_eq_u64_e32 vcc_lo, 0, v[3:4]
	s_cbranch_vccnz .LBB3_122
; %bb.121:
	global_load_b32 v1, v[1:2], off offset:24
	v_mov_b32_e32 v2, 0
	s_wait_loadcnt 0x0
	v_readfirstlane_b32 s6, v1
	global_wb scope:SCOPE_SYS
	s_wait_storecnt 0x0
	global_store_b64 v[3:4], v[1:2], off scope:SCOPE_SYS
	s_and_b32 m0, s6, 0xffffff
	s_sendmsg sendmsg(MSG_INTERRUPT)
.LBB3_122:
	s_wait_alu 0xfffe
	s_or_b32 exec_lo, exec_lo, s1
	s_branch .LBB3_126
.LBB3_123:                              ;   in Loop: Header=BB3_126 Depth=1
	s_wait_alu 0xfffe
	s_or_b32 exec_lo, exec_lo, s1
	s_delay_alu instid0(VALU_DEP_1)
	v_readfirstlane_b32 s1, v1
	s_cmp_eq_u32 s1, 0
	s_cbranch_scc1 .LBB3_125
; %bb.124:                              ;   in Loop: Header=BB3_126 Depth=1
	s_sleep 1
	s_cbranch_execnz .LBB3_126
	s_branch .LBB3_128
.LBB3_125:
	s_branch .LBB3_128
.LBB3_126:                              ; =>This Inner Loop Header: Depth=1
	v_mov_b32_e32 v1, 1
	s_and_saveexec_b32 s1, s0
	s_cbranch_execz .LBB3_123
; %bb.127:                              ;   in Loop: Header=BB3_126 Depth=1
	global_load_b32 v1, v[9:10], off offset:20 scope:SCOPE_SYS
	s_wait_loadcnt 0x0
	global_inv scope:SCOPE_SYS
	v_and_b32_e32 v1, 1, v1
	s_branch .LBB3_123
.LBB3_128:
	global_load_b64 v[1:2], v[11:12], off
	s_and_saveexec_b32 s6, s0
	s_cbranch_execz .LBB3_132
; %bb.129:
	v_mov_b32_e32 v9, 0
	s_clause 0x2
	global_load_b64 v[3:4], v9, s[2:3] offset:40
	global_load_b64 v[12:13], v9, s[2:3] offset:24 scope:SCOPE_SYS
	global_load_b64 v[5:6], v9, s[2:3]
	s_wait_loadcnt 0x2
	v_readfirstlane_b32 s10, v3
	v_readfirstlane_b32 s11, v4
	s_add_nc_u64 s[0:1], s[10:11], 1
	s_wait_alu 0xfffe
	s_add_nc_u64 s[4:5], s[0:1], s[4:5]
	s_wait_alu 0xfffe
	s_cmp_eq_u64 s[4:5], 0
	s_cselect_b32 s1, s1, s5
	s_cselect_b32 s0, s0, s4
	s_wait_alu 0xfffe
	v_mov_b32_e32 v11, s1
	s_and_b64 s[4:5], s[0:1], s[10:11]
	v_mov_b32_e32 v10, s0
	s_wait_alu 0xfffe
	s_mul_u64 s[4:5], s[4:5], 24
	s_wait_loadcnt 0x0
	s_wait_alu 0xfffe
	v_add_co_u32 v7, vcc_lo, v5, s4
	s_wait_alu 0xfffd
	v_add_co_ci_u32_e64 v8, null, s5, v6, vcc_lo
	global_store_b64 v[7:8], v[12:13], off
	global_wb scope:SCOPE_SYS
	s_wait_storecnt 0x0
	global_atomic_cmpswap_b64 v[5:6], v9, v[10:13], s[2:3] offset:24 th:TH_ATOMIC_RETURN scope:SCOPE_SYS
	s_wait_loadcnt 0x0
	v_cmp_ne_u64_e32 vcc_lo, v[5:6], v[12:13]
	s_and_b32 exec_lo, exec_lo, vcc_lo
	s_cbranch_execz .LBB3_132
; %bb.130:
	s_mov_b32 s4, 0
.LBB3_131:                              ; =>This Inner Loop Header: Depth=1
	v_dual_mov_b32 v3, s0 :: v_dual_mov_b32 v4, s1
	s_sleep 1
	global_store_b64 v[7:8], v[5:6], off
	global_wb scope:SCOPE_SYS
	s_wait_storecnt 0x0
	global_atomic_cmpswap_b64 v[3:4], v9, v[3:6], s[2:3] offset:24 th:TH_ATOMIC_RETURN scope:SCOPE_SYS
	s_wait_loadcnt 0x0
	v_cmp_eq_u64_e32 vcc_lo, v[3:4], v[5:6]
	v_dual_mov_b32 v6, v4 :: v_dual_mov_b32 v5, v3
	s_wait_alu 0xfffe
	s_or_b32 s4, vcc_lo, s4
	s_wait_alu 0xfffe
	s_and_not1_b32 exec_lo, exec_lo, s4
	s_cbranch_execnz .LBB3_131
.LBB3_132:
	s_wait_alu 0xfffe
	s_or_b32 exec_lo, exec_lo, s6
.LBB3_133:
	s_getpc_b64 s[0:1]
	s_wait_alu 0xfffe
	s_sext_i32_i16 s1, s1
	s_add_co_u32 s0, s0, .str.3@rel32@lo+12
	s_wait_alu 0xfffe
	s_add_co_ci_u32 s1, s1, .str.3@rel32@hi+24
	s_mov_b64 s[4:5], 0
	s_wait_alu 0xfffe
	s_cmp_lg_u64 s[0:1], 0
	s_cselect_b32 s6, -1, 0
	s_cmp_eq_u64 s[0:1], 0
	s_cbranch_scc1 .LBB3_137
; %bb.134:
	s_getpc_b64 s[0:1]
	s_wait_alu 0xfffe
	s_sext_i32_i16 s1, s1
	s_add_co_u32 s0, s0, .str.3@rel32@lo+11
	s_wait_alu 0xfffe
	s_add_co_ci_u32 s1, s1, .str.3@rel32@hi+23
.LBB3_135:                              ; =>This Inner Loop Header: Depth=1
	s_load_u8 s4, s[0:1], 0x1
	s_add_nc_u64 s[0:1], s[0:1], 1
	s_wait_kmcnt 0x0
	s_cmp_lg_u32 s4, 0
	s_cbranch_scc1 .LBB3_135
; %bb.136:
	s_getpc_b64 s[4:5]
	s_wait_alu 0xfffe
	s_sext_i32_i16 s5, s5
	s_add_co_u32 s4, s4, .str.3@rel32@lo+12
	s_wait_alu 0xfffe
	s_add_co_ci_u32 s5, s5, .str.3@rel32@hi+24
	s_wait_alu 0xfffe
	s_sub_nc_u64 s[0:1], s[0:1], s[4:5]
	s_wait_alu 0xfffe
	s_add_nc_u64 s[4:5], s[0:1], 1
.LBB3_137:
	s_wait_alu 0xfffe
	s_and_b32 vcc_lo, exec_lo, s6
	s_wait_alu 0xfffe
	s_cbranch_vccz .LBB3_215
; %bb.138:
	s_wait_loadcnt 0x0
	v_dual_mov_b32 v8, 0 :: v_dual_and_b32 v33, 2, v1
	v_dual_mov_b32 v4, v2 :: v_dual_and_b32 v3, -3, v1
	v_dual_mov_b32 v9, 2 :: v_dual_mov_b32 v10, 1
	s_getpc_b64 s[6:7]
	s_wait_alu 0xfffe
	s_sext_i32_i16 s7, s7
	s_add_co_u32 s6, s6, .str.3@rel32@lo+12
	s_wait_alu 0xfffe
	s_add_co_ci_u32 s7, s7, .str.3@rel32@hi+24
	s_branch .LBB3_140
.LBB3_139:                              ;   in Loop: Header=BB3_140 Depth=1
	s_wait_alu 0xfffe
	s_or_b32 exec_lo, exec_lo, s14
	s_sub_nc_u64 s[4:5], s[4:5], s[10:11]
	s_add_nc_u64 s[6:7], s[6:7], s[10:11]
	s_wait_alu 0xfffe
	s_cmp_lg_u64 s[4:5], 0
	s_cbranch_scc0 .LBB3_216
.LBB3_140:                              ; =>This Loop Header: Depth=1
                                        ;     Child Loop BB3_143 Depth 2
                                        ;     Child Loop BB3_150 Depth 2
	;; [unrolled: 1-line block ×11, first 2 shown]
	v_cmp_lt_u64_e64 s0, s[4:5], 56
	v_cmp_gt_u64_e64 s1, s[4:5], 7
	s_and_b32 s0, s0, exec_lo
	s_cselect_b32 s11, s5, 0
	s_cselect_b32 s10, s4, 56
	s_and_b32 vcc_lo, exec_lo, s1
	s_wait_alu 0xfffe
	s_cbranch_vccnz .LBB3_145
; %bb.141:                              ;   in Loop: Header=BB3_140 Depth=1
	v_mov_b32_e32 v5, 0
	v_mov_b32_e32 v6, 0
	s_cmp_eq_u64 s[4:5], 0
	s_cbranch_scc1 .LBB3_144
; %bb.142:                              ;   in Loop: Header=BB3_140 Depth=1
	s_mov_b64 s[0:1], 0
	s_mov_b64 s[12:13], 0
.LBB3_143:                              ;   Parent Loop BB3_140 Depth=1
                                        ; =>  This Inner Loop Header: Depth=2
	s_wait_alu 0xfffe
	s_add_nc_u64 s[14:15], s[6:7], s[12:13]
	s_add_nc_u64 s[12:13], s[12:13], 1
	global_load_u8 v7, v8, s[14:15]
	s_wait_alu 0xfffe
	s_cmp_lg_u32 s10, s12
	s_wait_loadcnt 0x0
	v_and_b32_e32 v7, 0xffff, v7
	s_delay_alu instid0(VALU_DEP_1) | instskip(SKIP_1) | instid1(VALU_DEP_1)
	v_lshlrev_b64_e32 v[11:12], s0, v[7:8]
	s_add_nc_u64 s[0:1], s[0:1], 8
	v_or_b32_e32 v5, v11, v5
	s_delay_alu instid0(VALU_DEP_2)
	v_or_b32_e32 v6, v12, v6
	s_cbranch_scc1 .LBB3_143
.LBB3_144:                              ;   in Loop: Header=BB3_140 Depth=1
	s_mov_b64 s[12:13], s[6:7]
	s_mov_b32 s16, 0
	s_cbranch_execz .LBB3_146
	s_branch .LBB3_147
.LBB3_145:                              ;   in Loop: Header=BB3_140 Depth=1
	s_add_nc_u64 s[12:13], s[6:7], 8
	s_mov_b32 s16, 0
.LBB3_146:                              ;   in Loop: Header=BB3_140 Depth=1
	global_load_b64 v[5:6], v8, s[6:7]
	s_add_co_i32 s16, s10, -8
.LBB3_147:                              ;   in Loop: Header=BB3_140 Depth=1
	s_wait_alu 0xfffe
	s_cmp_gt_u32 s16, 7
	s_cbranch_scc1 .LBB3_152
; %bb.148:                              ;   in Loop: Header=BB3_140 Depth=1
	v_mov_b32_e32 v11, 0
	v_mov_b32_e32 v12, 0
	s_cmp_eq_u32 s16, 0
	s_cbranch_scc1 .LBB3_151
; %bb.149:                              ;   in Loop: Header=BB3_140 Depth=1
	s_mov_b64 s[0:1], 0
	s_mov_b64 s[14:15], 0
.LBB3_150:                              ;   Parent Loop BB3_140 Depth=1
                                        ; =>  This Inner Loop Header: Depth=2
	s_wait_alu 0xfffe
	s_add_nc_u64 s[18:19], s[12:13], s[14:15]
	s_add_nc_u64 s[14:15], s[14:15], 1
	global_load_u8 v7, v8, s[18:19]
	s_wait_alu 0xfffe
	s_cmp_lg_u32 s16, s14
	s_wait_loadcnt 0x0
	v_and_b32_e32 v7, 0xffff, v7
	s_delay_alu instid0(VALU_DEP_1) | instskip(SKIP_1) | instid1(VALU_DEP_1)
	v_lshlrev_b64_e32 v[13:14], s0, v[7:8]
	s_add_nc_u64 s[0:1], s[0:1], 8
	v_or_b32_e32 v11, v13, v11
	s_delay_alu instid0(VALU_DEP_2)
	v_or_b32_e32 v12, v14, v12
	s_cbranch_scc1 .LBB3_150
.LBB3_151:                              ;   in Loop: Header=BB3_140 Depth=1
	s_mov_b64 s[0:1], s[12:13]
	s_mov_b32 s17, 0
	s_cbranch_execz .LBB3_153
	s_branch .LBB3_154
.LBB3_152:                              ;   in Loop: Header=BB3_140 Depth=1
	s_add_nc_u64 s[0:1], s[12:13], 8
                                        ; implicit-def: $vgpr11_vgpr12
	s_mov_b32 s17, 0
.LBB3_153:                              ;   in Loop: Header=BB3_140 Depth=1
	global_load_b64 v[11:12], v8, s[12:13]
	s_add_co_i32 s17, s16, -8
.LBB3_154:                              ;   in Loop: Header=BB3_140 Depth=1
	s_wait_alu 0xfffe
	s_cmp_gt_u32 s17, 7
	s_cbranch_scc1 .LBB3_159
; %bb.155:                              ;   in Loop: Header=BB3_140 Depth=1
	v_mov_b32_e32 v13, 0
	v_mov_b32_e32 v14, 0
	s_cmp_eq_u32 s17, 0
	s_cbranch_scc1 .LBB3_158
; %bb.156:                              ;   in Loop: Header=BB3_140 Depth=1
	s_mov_b64 s[12:13], 0
	s_mov_b64 s[14:15], 0
.LBB3_157:                              ;   Parent Loop BB3_140 Depth=1
                                        ; =>  This Inner Loop Header: Depth=2
	s_wait_alu 0xfffe
	s_add_nc_u64 s[18:19], s[0:1], s[14:15]
	s_add_nc_u64 s[14:15], s[14:15], 1
	global_load_u8 v7, v8, s[18:19]
	s_wait_alu 0xfffe
	s_cmp_lg_u32 s17, s14
	s_wait_loadcnt 0x0
	v_and_b32_e32 v7, 0xffff, v7
	s_delay_alu instid0(VALU_DEP_1) | instskip(SKIP_1) | instid1(VALU_DEP_1)
	v_lshlrev_b64_e32 v[15:16], s12, v[7:8]
	s_add_nc_u64 s[12:13], s[12:13], 8
	v_or_b32_e32 v13, v15, v13
	s_delay_alu instid0(VALU_DEP_2)
	v_or_b32_e32 v14, v16, v14
	s_cbranch_scc1 .LBB3_157
.LBB3_158:                              ;   in Loop: Header=BB3_140 Depth=1
	s_mov_b64 s[12:13], s[0:1]
	s_mov_b32 s16, 0
	s_cbranch_execz .LBB3_160
	s_branch .LBB3_161
.LBB3_159:                              ;   in Loop: Header=BB3_140 Depth=1
	s_add_nc_u64 s[12:13], s[0:1], 8
	s_mov_b32 s16, 0
.LBB3_160:                              ;   in Loop: Header=BB3_140 Depth=1
	global_load_b64 v[13:14], v8, s[0:1]
	s_add_co_i32 s16, s17, -8
.LBB3_161:                              ;   in Loop: Header=BB3_140 Depth=1
	s_wait_alu 0xfffe
	s_cmp_gt_u32 s16, 7
	s_cbranch_scc1 .LBB3_166
; %bb.162:                              ;   in Loop: Header=BB3_140 Depth=1
	v_mov_b32_e32 v15, 0
	v_mov_b32_e32 v16, 0
	s_cmp_eq_u32 s16, 0
	s_cbranch_scc1 .LBB3_165
; %bb.163:                              ;   in Loop: Header=BB3_140 Depth=1
	s_mov_b64 s[0:1], 0
	s_mov_b64 s[14:15], 0
.LBB3_164:                              ;   Parent Loop BB3_140 Depth=1
                                        ; =>  This Inner Loop Header: Depth=2
	s_wait_alu 0xfffe
	s_add_nc_u64 s[18:19], s[12:13], s[14:15]
	s_add_nc_u64 s[14:15], s[14:15], 1
	global_load_u8 v7, v8, s[18:19]
	s_wait_alu 0xfffe
	s_cmp_lg_u32 s16, s14
	s_wait_loadcnt 0x0
	v_and_b32_e32 v7, 0xffff, v7
	s_delay_alu instid0(VALU_DEP_1) | instskip(SKIP_1) | instid1(VALU_DEP_1)
	v_lshlrev_b64_e32 v[17:18], s0, v[7:8]
	s_add_nc_u64 s[0:1], s[0:1], 8
	v_or_b32_e32 v15, v17, v15
	s_delay_alu instid0(VALU_DEP_2)
	v_or_b32_e32 v16, v18, v16
	s_cbranch_scc1 .LBB3_164
.LBB3_165:                              ;   in Loop: Header=BB3_140 Depth=1
	s_mov_b64 s[0:1], s[12:13]
	s_mov_b32 s17, 0
	s_cbranch_execz .LBB3_167
	s_branch .LBB3_168
.LBB3_166:                              ;   in Loop: Header=BB3_140 Depth=1
	s_add_nc_u64 s[0:1], s[12:13], 8
                                        ; implicit-def: $vgpr15_vgpr16
	s_mov_b32 s17, 0
.LBB3_167:                              ;   in Loop: Header=BB3_140 Depth=1
	global_load_b64 v[15:16], v8, s[12:13]
	s_add_co_i32 s17, s16, -8
.LBB3_168:                              ;   in Loop: Header=BB3_140 Depth=1
	s_wait_alu 0xfffe
	s_cmp_gt_u32 s17, 7
	s_cbranch_scc1 .LBB3_173
; %bb.169:                              ;   in Loop: Header=BB3_140 Depth=1
	v_mov_b32_e32 v17, 0
	v_mov_b32_e32 v18, 0
	s_cmp_eq_u32 s17, 0
	s_cbranch_scc1 .LBB3_172
; %bb.170:                              ;   in Loop: Header=BB3_140 Depth=1
	s_mov_b64 s[12:13], 0
	s_mov_b64 s[14:15], 0
.LBB3_171:                              ;   Parent Loop BB3_140 Depth=1
                                        ; =>  This Inner Loop Header: Depth=2
	s_wait_alu 0xfffe
	s_add_nc_u64 s[18:19], s[0:1], s[14:15]
	s_add_nc_u64 s[14:15], s[14:15], 1
	global_load_u8 v7, v8, s[18:19]
	s_wait_alu 0xfffe
	s_cmp_lg_u32 s17, s14
	s_wait_loadcnt 0x0
	v_and_b32_e32 v7, 0xffff, v7
	s_delay_alu instid0(VALU_DEP_1) | instskip(SKIP_1) | instid1(VALU_DEP_1)
	v_lshlrev_b64_e32 v[19:20], s12, v[7:8]
	s_add_nc_u64 s[12:13], s[12:13], 8
	v_or_b32_e32 v17, v19, v17
	s_delay_alu instid0(VALU_DEP_2)
	v_or_b32_e32 v18, v20, v18
	s_cbranch_scc1 .LBB3_171
.LBB3_172:                              ;   in Loop: Header=BB3_140 Depth=1
	s_mov_b64 s[12:13], s[0:1]
	s_mov_b32 s16, 0
	s_cbranch_execz .LBB3_174
	s_branch .LBB3_175
.LBB3_173:                              ;   in Loop: Header=BB3_140 Depth=1
	s_add_nc_u64 s[12:13], s[0:1], 8
	s_mov_b32 s16, 0
.LBB3_174:                              ;   in Loop: Header=BB3_140 Depth=1
	global_load_b64 v[17:18], v8, s[0:1]
	s_add_co_i32 s16, s17, -8
.LBB3_175:                              ;   in Loop: Header=BB3_140 Depth=1
	s_wait_alu 0xfffe
	s_cmp_gt_u32 s16, 7
	s_cbranch_scc1 .LBB3_180
; %bb.176:                              ;   in Loop: Header=BB3_140 Depth=1
	v_mov_b32_e32 v19, 0
	v_mov_b32_e32 v20, 0
	s_cmp_eq_u32 s16, 0
	s_cbranch_scc1 .LBB3_179
; %bb.177:                              ;   in Loop: Header=BB3_140 Depth=1
	s_mov_b64 s[0:1], 0
	s_mov_b64 s[14:15], 0
.LBB3_178:                              ;   Parent Loop BB3_140 Depth=1
                                        ; =>  This Inner Loop Header: Depth=2
	s_wait_alu 0xfffe
	s_add_nc_u64 s[18:19], s[12:13], s[14:15]
	s_add_nc_u64 s[14:15], s[14:15], 1
	global_load_u8 v7, v8, s[18:19]
	s_wait_alu 0xfffe
	s_cmp_lg_u32 s16, s14
	s_wait_loadcnt 0x0
	v_and_b32_e32 v7, 0xffff, v7
	s_delay_alu instid0(VALU_DEP_1) | instskip(SKIP_1) | instid1(VALU_DEP_1)
	v_lshlrev_b64_e32 v[21:22], s0, v[7:8]
	s_add_nc_u64 s[0:1], s[0:1], 8
	v_or_b32_e32 v19, v21, v19
	s_delay_alu instid0(VALU_DEP_2)
	v_or_b32_e32 v20, v22, v20
	s_cbranch_scc1 .LBB3_178
.LBB3_179:                              ;   in Loop: Header=BB3_140 Depth=1
	s_mov_b64 s[0:1], s[12:13]
	s_mov_b32 s17, 0
	s_cbranch_execz .LBB3_181
	s_branch .LBB3_182
.LBB3_180:                              ;   in Loop: Header=BB3_140 Depth=1
	s_add_nc_u64 s[0:1], s[12:13], 8
                                        ; implicit-def: $vgpr19_vgpr20
	s_mov_b32 s17, 0
.LBB3_181:                              ;   in Loop: Header=BB3_140 Depth=1
	global_load_b64 v[19:20], v8, s[12:13]
	s_add_co_i32 s17, s16, -8
.LBB3_182:                              ;   in Loop: Header=BB3_140 Depth=1
	s_wait_alu 0xfffe
	s_cmp_gt_u32 s17, 7
	s_cbranch_scc1 .LBB3_187
; %bb.183:                              ;   in Loop: Header=BB3_140 Depth=1
	v_mov_b32_e32 v21, 0
	v_mov_b32_e32 v22, 0
	s_cmp_eq_u32 s17, 0
	s_cbranch_scc1 .LBB3_186
; %bb.184:                              ;   in Loop: Header=BB3_140 Depth=1
	s_mov_b64 s[12:13], 0
	s_mov_b64 s[14:15], s[0:1]
.LBB3_185:                              ;   Parent Loop BB3_140 Depth=1
                                        ; =>  This Inner Loop Header: Depth=2
	global_load_u8 v7, v8, s[14:15]
	s_add_co_i32 s17, s17, -1
	s_wait_alu 0xfffe
	s_add_nc_u64 s[14:15], s[14:15], 1
	s_cmp_lg_u32 s17, 0
	s_wait_loadcnt 0x0
	v_and_b32_e32 v7, 0xffff, v7
	s_delay_alu instid0(VALU_DEP_1) | instskip(SKIP_1) | instid1(VALU_DEP_1)
	v_lshlrev_b64_e32 v[23:24], s12, v[7:8]
	s_add_nc_u64 s[12:13], s[12:13], 8
	v_or_b32_e32 v21, v23, v21
	s_delay_alu instid0(VALU_DEP_2)
	v_or_b32_e32 v22, v24, v22
	s_cbranch_scc1 .LBB3_185
.LBB3_186:                              ;   in Loop: Header=BB3_140 Depth=1
	s_cbranch_execz .LBB3_188
	s_branch .LBB3_189
.LBB3_187:                              ;   in Loop: Header=BB3_140 Depth=1
.LBB3_188:                              ;   in Loop: Header=BB3_140 Depth=1
	global_load_b64 v[21:22], v8, s[0:1]
.LBB3_189:                              ;   in Loop: Header=BB3_140 Depth=1
	v_readfirstlane_b32 s0, v32
	v_mov_b32_e32 v27, 0
	v_mov_b32_e32 v28, 0
	s_wait_alu 0xf1ff
	s_delay_alu instid0(VALU_DEP_3)
	v_cmp_eq_u32_e64 s0, s0, v32
	s_and_saveexec_b32 s1, s0
	s_cbranch_execz .LBB3_195
; %bb.190:                              ;   in Loop: Header=BB3_140 Depth=1
	global_load_b64 v[25:26], v8, s[2:3] offset:24 scope:SCOPE_SYS
	s_wait_loadcnt 0x0
	global_inv scope:SCOPE_SYS
	s_clause 0x1
	global_load_b64 v[23:24], v8, s[2:3] offset:40
	global_load_b64 v[27:28], v8, s[2:3]
	s_mov_b32 s12, exec_lo
	s_wait_loadcnt 0x1
	v_and_b32_e32 v7, v24, v26
	v_and_b32_e32 v23, v23, v25
	s_delay_alu instid0(VALU_DEP_2) | instskip(NEXT) | instid1(VALU_DEP_2)
	v_mul_lo_u32 v7, 24, v7
	v_mul_lo_u32 v24, 0, v23
	v_mul_hi_u32 v29, 24, v23
	v_mul_lo_u32 v23, 24, v23
	s_delay_alu instid0(VALU_DEP_3) | instskip(SKIP_1) | instid1(VALU_DEP_2)
	v_add_nc_u32_e32 v7, v7, v24
	s_wait_loadcnt 0x0
	v_add_co_u32 v23, vcc_lo, v27, v23
	s_delay_alu instid0(VALU_DEP_2) | instskip(SKIP_1) | instid1(VALU_DEP_1)
	v_add_nc_u32_e32 v7, v7, v29
	s_wait_alu 0xfffd
	v_add_co_ci_u32_e64 v24, null, v28, v7, vcc_lo
	global_load_b64 v[23:24], v[23:24], off scope:SCOPE_SYS
	s_wait_loadcnt 0x0
	global_atomic_cmpswap_b64 v[27:28], v8, v[23:26], s[2:3] offset:24 th:TH_ATOMIC_RETURN scope:SCOPE_SYS
	s_wait_loadcnt 0x0
	global_inv scope:SCOPE_SYS
	v_cmpx_ne_u64_e64 v[27:28], v[25:26]
	s_cbranch_execz .LBB3_194
; %bb.191:                              ;   in Loop: Header=BB3_140 Depth=1
	s_mov_b32 s13, 0
.LBB3_192:                              ;   Parent Loop BB3_140 Depth=1
                                        ; =>  This Inner Loop Header: Depth=2
	s_sleep 1
	s_clause 0x1
	global_load_b64 v[23:24], v8, s[2:3] offset:40
	global_load_b64 v[29:30], v8, s[2:3]
	v_dual_mov_b32 v25, v27 :: v_dual_mov_b32 v26, v28
	s_wait_loadcnt 0x1
	s_delay_alu instid0(VALU_DEP_1) | instskip(NEXT) | instid1(VALU_DEP_2)
	v_and_b32_e32 v7, v23, v25
	v_and_b32_e32 v23, v24, v26
	s_wait_loadcnt 0x0
	s_delay_alu instid0(VALU_DEP_2) | instskip(NEXT) | instid1(VALU_DEP_1)
	v_mad_co_u64_u32 v[27:28], null, v7, 24, v[29:30]
	v_mov_b32_e32 v7, v28
	s_delay_alu instid0(VALU_DEP_1) | instskip(NEXT) | instid1(VALU_DEP_1)
	v_mad_co_u64_u32 v[23:24], null, v23, 24, v[7:8]
	v_mov_b32_e32 v28, v23
	global_load_b64 v[23:24], v[27:28], off scope:SCOPE_SYS
	s_wait_loadcnt 0x0
	global_atomic_cmpswap_b64 v[27:28], v8, v[23:26], s[2:3] offset:24 th:TH_ATOMIC_RETURN scope:SCOPE_SYS
	s_wait_loadcnt 0x0
	global_inv scope:SCOPE_SYS
	v_cmp_eq_u64_e32 vcc_lo, v[27:28], v[25:26]
	s_wait_alu 0xfffe
	s_or_b32 s13, vcc_lo, s13
	s_wait_alu 0xfffe
	s_and_not1_b32 exec_lo, exec_lo, s13
	s_cbranch_execnz .LBB3_192
; %bb.193:                              ;   in Loop: Header=BB3_140 Depth=1
	s_or_b32 exec_lo, exec_lo, s13
.LBB3_194:                              ;   in Loop: Header=BB3_140 Depth=1
	s_wait_alu 0xfffe
	s_or_b32 exec_lo, exec_lo, s12
.LBB3_195:                              ;   in Loop: Header=BB3_140 Depth=1
	s_wait_alu 0xfffe
	s_or_b32 exec_lo, exec_lo, s1
	s_clause 0x1
	global_load_b64 v[29:30], v8, s[2:3] offset:40
	global_load_b128 v[23:26], v8, s[2:3]
	v_readfirstlane_b32 s13, v28
	v_readfirstlane_b32 s12, v27
	s_mov_b32 s1, exec_lo
	s_wait_loadcnt 0x1
	s_wait_alu 0xf1ff
	v_and_b32_e32 v30, s13, v30
	v_and_b32_e32 v29, s12, v29
	s_delay_alu instid0(VALU_DEP_2) | instskip(NEXT) | instid1(VALU_DEP_2)
	v_mul_lo_u32 v7, 24, v30
	v_mul_lo_u32 v27, 0, v29
	v_mul_hi_u32 v28, 24, v29
	v_mul_lo_u32 v34, 24, v29
	s_delay_alu instid0(VALU_DEP_3) | instskip(SKIP_1) | instid1(VALU_DEP_2)
	v_add_nc_u32_e32 v7, v7, v27
	s_wait_loadcnt 0x0
	v_add_co_u32 v27, vcc_lo, v23, v34
	s_delay_alu instid0(VALU_DEP_2) | instskip(SKIP_1) | instid1(VALU_DEP_1)
	v_add_nc_u32_e32 v7, v7, v28
	s_wait_alu 0xfffd
	v_add_co_ci_u32_e64 v28, null, v24, v7, vcc_lo
	s_and_saveexec_b32 s14, s0
	s_cbranch_execz .LBB3_197
; %bb.196:                              ;   in Loop: Header=BB3_140 Depth=1
	s_wait_alu 0xfffe
	v_mov_b32_e32 v7, s1
	global_store_b128 v[27:28], v[7:10], off offset:8
.LBB3_197:                              ;   in Loop: Header=BB3_140 Depth=1
	s_wait_alu 0xfffe
	s_or_b32 exec_lo, exec_lo, s14
	v_cmp_lt_u64_e64 vcc_lo, s[4:5], 57
	v_lshlrev_b64_e32 v[29:30], 12, v[29:30]
	v_and_b32_e32 v3, 0xffffff1f, v3
	s_lshl_b32 s1, s10, 2
	s_wait_alu 0xfffe
	s_add_co_i32 s1, s1, 28
	s_wait_alu 0xfffd
	v_cndmask_b32_e32 v7, 0, v33, vcc_lo
	v_add_co_u32 v25, vcc_lo, v25, v29
	s_wait_alu 0xfffd
	v_add_co_ci_u32_e64 v26, null, v26, v30, vcc_lo
	s_delay_alu instid0(VALU_DEP_3) | instskip(NEXT) | instid1(VALU_DEP_3)
	v_or_b32_e32 v3, v3, v7
	v_readfirstlane_b32 s14, v25
	s_delay_alu instid0(VALU_DEP_3) | instskip(SKIP_1) | instid1(VALU_DEP_3)
	v_readfirstlane_b32 s15, v26
	s_wait_alu 0xfffe
	v_and_or_b32 v3, 0x1e0, s1, v3
	s_clause 0x3
	global_store_b128 v31, v[3:6], s[14:15]
	global_store_b128 v31, v[11:14], s[14:15] offset:16
	global_store_b128 v31, v[15:18], s[14:15] offset:32
	;; [unrolled: 1-line block ×3, first 2 shown]
	s_and_saveexec_b32 s1, s0
	s_cbranch_execz .LBB3_205
; %bb.198:                              ;   in Loop: Header=BB3_140 Depth=1
	s_clause 0x1
	global_load_b64 v[15:16], v8, s[2:3] offset:32 scope:SCOPE_SYS
	global_load_b64 v[3:4], v8, s[2:3] offset:40
	s_mov_b32 s14, exec_lo
	v_dual_mov_b32 v13, s12 :: v_dual_mov_b32 v14, s13
	s_wait_loadcnt 0x0
	v_and_b32_e32 v3, s12, v3
	v_and_b32_e32 v4, s13, v4
	s_delay_alu instid0(VALU_DEP_2) | instskip(NEXT) | instid1(VALU_DEP_2)
	v_mul_lo_u32 v5, 0, v3
	v_mul_lo_u32 v4, 24, v4
	v_mul_hi_u32 v6, 24, v3
	v_mul_lo_u32 v3, 24, v3
	s_delay_alu instid0(VALU_DEP_3) | instskip(NEXT) | instid1(VALU_DEP_2)
	v_add_nc_u32_e32 v4, v4, v5
	v_add_co_u32 v11, vcc_lo, v23, v3
	s_delay_alu instid0(VALU_DEP_2) | instskip(SKIP_1) | instid1(VALU_DEP_1)
	v_add_nc_u32_e32 v4, v4, v6
	s_wait_alu 0xfffd
	v_add_co_ci_u32_e64 v12, null, v24, v4, vcc_lo
	global_store_b64 v[11:12], v[15:16], off
	global_wb scope:SCOPE_SYS
	s_wait_storecnt 0x0
	global_atomic_cmpswap_b64 v[5:6], v8, v[13:16], s[2:3] offset:32 th:TH_ATOMIC_RETURN scope:SCOPE_SYS
	s_wait_loadcnt 0x0
	v_cmpx_ne_u64_e64 v[5:6], v[15:16]
	s_cbranch_execz .LBB3_201
; %bb.199:                              ;   in Loop: Header=BB3_140 Depth=1
	s_mov_b32 s15, 0
.LBB3_200:                              ;   Parent Loop BB3_140 Depth=1
                                        ; =>  This Inner Loop Header: Depth=2
	v_dual_mov_b32 v3, s12 :: v_dual_mov_b32 v4, s13
	s_sleep 1
	global_store_b64 v[11:12], v[5:6], off
	global_wb scope:SCOPE_SYS
	s_wait_storecnt 0x0
	global_atomic_cmpswap_b64 v[3:4], v8, v[3:6], s[2:3] offset:32 th:TH_ATOMIC_RETURN scope:SCOPE_SYS
	s_wait_loadcnt 0x0
	v_cmp_eq_u64_e32 vcc_lo, v[3:4], v[5:6]
	v_dual_mov_b32 v6, v4 :: v_dual_mov_b32 v5, v3
	s_wait_alu 0xfffe
	s_or_b32 s15, vcc_lo, s15
	s_wait_alu 0xfffe
	s_and_not1_b32 exec_lo, exec_lo, s15
	s_cbranch_execnz .LBB3_200
.LBB3_201:                              ;   in Loop: Header=BB3_140 Depth=1
	s_wait_alu 0xfffe
	s_or_b32 exec_lo, exec_lo, s14
	global_load_b64 v[3:4], v8, s[2:3] offset:16
	s_mov_b32 s15, exec_lo
	s_mov_b32 s14, exec_lo
	s_wait_alu 0xfffe
	v_mbcnt_lo_u32_b32 v5, s15, 0
	s_delay_alu instid0(VALU_DEP_1)
	v_cmpx_eq_u32_e32 0, v5
	s_cbranch_execz .LBB3_203
; %bb.202:                              ;   in Loop: Header=BB3_140 Depth=1
	s_bcnt1_i32_b32 s15, s15
	s_wait_alu 0xfffe
	v_mov_b32_e32 v7, s15
	global_wb scope:SCOPE_SYS
	s_wait_loadcnt 0x0
	s_wait_storecnt 0x0
	global_atomic_add_u64 v[3:4], v[7:8], off offset:8 scope:SCOPE_SYS
.LBB3_203:                              ;   in Loop: Header=BB3_140 Depth=1
	s_or_b32 exec_lo, exec_lo, s14
	s_wait_loadcnt 0x0
	global_load_b64 v[5:6], v[3:4], off offset:16
	s_wait_loadcnt 0x0
	v_cmp_eq_u64_e32 vcc_lo, 0, v[5:6]
	s_cbranch_vccnz .LBB3_205
; %bb.204:                              ;   in Loop: Header=BB3_140 Depth=1
	global_load_b32 v7, v[3:4], off offset:24
	s_wait_loadcnt 0x0
	v_readfirstlane_b32 s14, v7
	global_wb scope:SCOPE_SYS
	s_wait_storecnt 0x0
	global_store_b64 v[5:6], v[7:8], off scope:SCOPE_SYS
	s_and_b32 m0, s14, 0xffffff
	s_sendmsg sendmsg(MSG_INTERRUPT)
.LBB3_205:                              ;   in Loop: Header=BB3_140 Depth=1
	s_wait_alu 0xfffe
	s_or_b32 exec_lo, exec_lo, s1
	v_add_co_u32 v3, vcc_lo, v25, v31
	s_wait_alu 0xfffd
	v_add_co_ci_u32_e64 v4, null, 0, v26, vcc_lo
	s_branch .LBB3_209
.LBB3_206:                              ;   in Loop: Header=BB3_209 Depth=2
	s_wait_alu 0xfffe
	s_or_b32 exec_lo, exec_lo, s1
	s_delay_alu instid0(VALU_DEP_1)
	v_readfirstlane_b32 s1, v5
	s_cmp_eq_u32 s1, 0
	s_cbranch_scc1 .LBB3_208
; %bb.207:                              ;   in Loop: Header=BB3_209 Depth=2
	s_sleep 1
	s_cbranch_execnz .LBB3_209
	s_branch .LBB3_211
.LBB3_208:                              ;   in Loop: Header=BB3_140 Depth=1
	s_branch .LBB3_211
.LBB3_209:                              ;   Parent Loop BB3_140 Depth=1
                                        ; =>  This Inner Loop Header: Depth=2
	v_mov_b32_e32 v5, 1
	s_and_saveexec_b32 s1, s0
	s_cbranch_execz .LBB3_206
; %bb.210:                              ;   in Loop: Header=BB3_209 Depth=2
	global_load_b32 v5, v[27:28], off offset:20 scope:SCOPE_SYS
	s_wait_loadcnt 0x0
	global_inv scope:SCOPE_SYS
	v_and_b32_e32 v5, 1, v5
	s_branch .LBB3_206
.LBB3_211:                              ;   in Loop: Header=BB3_140 Depth=1
	global_load_b64 v[3:4], v[3:4], off
	s_and_saveexec_b32 s14, s0
	s_cbranch_execz .LBB3_139
; %bb.212:                              ;   in Loop: Header=BB3_140 Depth=1
	s_clause 0x2
	global_load_b64 v[5:6], v8, s[2:3] offset:40
	global_load_b64 v[15:16], v8, s[2:3] offset:24 scope:SCOPE_SYS
	global_load_b64 v[11:12], v8, s[2:3]
	s_wait_loadcnt 0x2
	v_readfirstlane_b32 s16, v5
	v_readfirstlane_b32 s17, v6
	s_add_nc_u64 s[0:1], s[16:17], 1
	s_wait_alu 0xfffe
	s_add_nc_u64 s[12:13], s[0:1], s[12:13]
	s_wait_alu 0xfffe
	s_cmp_eq_u64 s[12:13], 0
	s_cselect_b32 s1, s1, s13
	s_cselect_b32 s0, s0, s12
	s_wait_alu 0xfffe
	v_dual_mov_b32 v14, s1 :: v_dual_mov_b32 v13, s0
	s_and_b64 s[12:13], s[0:1], s[16:17]
	s_wait_alu 0xfffe
	s_mul_u64 s[12:13], s[12:13], 24
	s_wait_loadcnt 0x0
	s_wait_alu 0xfffe
	v_add_co_u32 v5, vcc_lo, v11, s12
	s_wait_alu 0xfffd
	v_add_co_ci_u32_e64 v6, null, s13, v12, vcc_lo
	global_store_b64 v[5:6], v[15:16], off
	global_wb scope:SCOPE_SYS
	s_wait_storecnt 0x0
	global_atomic_cmpswap_b64 v[13:14], v8, v[13:16], s[2:3] offset:24 th:TH_ATOMIC_RETURN scope:SCOPE_SYS
	s_wait_loadcnt 0x0
	v_cmp_ne_u64_e32 vcc_lo, v[13:14], v[15:16]
	s_and_b32 exec_lo, exec_lo, vcc_lo
	s_cbranch_execz .LBB3_139
; %bb.213:                              ;   in Loop: Header=BB3_140 Depth=1
	s_mov_b32 s12, 0
.LBB3_214:                              ;   Parent Loop BB3_140 Depth=1
                                        ; =>  This Inner Loop Header: Depth=2
	v_dual_mov_b32 v11, s0 :: v_dual_mov_b32 v12, s1
	s_sleep 1
	global_store_b64 v[5:6], v[13:14], off
	global_wb scope:SCOPE_SYS
	s_wait_storecnt 0x0
	global_atomic_cmpswap_b64 v[11:12], v8, v[11:14], s[2:3] offset:24 th:TH_ATOMIC_RETURN scope:SCOPE_SYS
	s_wait_loadcnt 0x0
	v_cmp_eq_u64_e32 vcc_lo, v[11:12], v[13:14]
	v_dual_mov_b32 v14, v12 :: v_dual_mov_b32 v13, v11
	s_wait_alu 0xfffe
	s_or_b32 s12, vcc_lo, s12
	s_wait_alu 0xfffe
	s_and_not1_b32 exec_lo, exec_lo, s12
	s_cbranch_execnz .LBB3_214
	s_branch .LBB3_139
.LBB3_215:
                                        ; implicit-def: $vgpr3_vgpr4
	s_cbranch_execnz .LBB3_217
	s_branch .LBB3_244
.LBB3_216:
	s_branch .LBB3_244
.LBB3_217:
	v_readfirstlane_b32 s0, v32
	v_mov_b32_e32 v9, 0
	v_mov_b32_e32 v10, 0
	s_wait_alu 0xf1ff
	s_delay_alu instid0(VALU_DEP_3)
	v_cmp_eq_u32_e64 s0, s0, v32
	s_and_saveexec_b32 s1, s0
	s_cbranch_execz .LBB3_223
; %bb.218:
	s_wait_loadcnt 0x0
	v_mov_b32_e32 v3, 0
	s_mov_b32 s4, exec_lo
	global_load_b64 v[6:7], v3, s[2:3] offset:24 scope:SCOPE_SYS
	s_wait_loadcnt 0x0
	global_inv scope:SCOPE_SYS
	s_clause 0x1
	global_load_b64 v[4:5], v3, s[2:3] offset:40
	global_load_b64 v[8:9], v3, s[2:3]
	s_wait_loadcnt 0x1
	v_and_b32_e32 v5, v5, v7
	v_and_b32_e32 v4, v4, v6
	s_delay_alu instid0(VALU_DEP_2) | instskip(NEXT) | instid1(VALU_DEP_2)
	v_mul_lo_u32 v5, 24, v5
	v_mul_lo_u32 v10, 0, v4
	v_mul_hi_u32 v11, 24, v4
	v_mul_lo_u32 v4, 24, v4
	s_delay_alu instid0(VALU_DEP_3) | instskip(SKIP_1) | instid1(VALU_DEP_2)
	v_add_nc_u32_e32 v5, v5, v10
	s_wait_loadcnt 0x0
	v_add_co_u32 v4, vcc_lo, v8, v4
	s_delay_alu instid0(VALU_DEP_2) | instskip(SKIP_1) | instid1(VALU_DEP_1)
	v_add_nc_u32_e32 v5, v5, v11
	s_wait_alu 0xfffd
	v_add_co_ci_u32_e64 v5, null, v9, v5, vcc_lo
	global_load_b64 v[4:5], v[4:5], off scope:SCOPE_SYS
	s_wait_loadcnt 0x0
	global_atomic_cmpswap_b64 v[9:10], v3, v[4:7], s[2:3] offset:24 th:TH_ATOMIC_RETURN scope:SCOPE_SYS
	s_wait_loadcnt 0x0
	global_inv scope:SCOPE_SYS
	v_cmpx_ne_u64_e64 v[9:10], v[6:7]
	s_cbranch_execz .LBB3_222
; %bb.219:
	s_mov_b32 s5, 0
.LBB3_220:                              ; =>This Inner Loop Header: Depth=1
	s_sleep 1
	s_clause 0x1
	global_load_b64 v[4:5], v3, s[2:3] offset:40
	global_load_b64 v[11:12], v3, s[2:3]
	v_dual_mov_b32 v6, v9 :: v_dual_mov_b32 v7, v10
	s_wait_loadcnt 0x1
	s_delay_alu instid0(VALU_DEP_1) | instskip(NEXT) | instid1(VALU_DEP_2)
	v_and_b32_e32 v4, v4, v6
	v_and_b32_e32 v5, v5, v7
	s_wait_loadcnt 0x0
	s_delay_alu instid0(VALU_DEP_2) | instskip(NEXT) | instid1(VALU_DEP_1)
	v_mad_co_u64_u32 v[8:9], null, v4, 24, v[11:12]
	v_mov_b32_e32 v4, v9
	s_delay_alu instid0(VALU_DEP_1) | instskip(NEXT) | instid1(VALU_DEP_1)
	v_mad_co_u64_u32 v[4:5], null, v5, 24, v[4:5]
	v_mov_b32_e32 v9, v4
	global_load_b64 v[4:5], v[8:9], off scope:SCOPE_SYS
	s_wait_loadcnt 0x0
	global_atomic_cmpswap_b64 v[9:10], v3, v[4:7], s[2:3] offset:24 th:TH_ATOMIC_RETURN scope:SCOPE_SYS
	s_wait_loadcnt 0x0
	global_inv scope:SCOPE_SYS
	v_cmp_eq_u64_e32 vcc_lo, v[9:10], v[6:7]
	s_wait_alu 0xfffe
	s_or_b32 s5, vcc_lo, s5
	s_wait_alu 0xfffe
	s_and_not1_b32 exec_lo, exec_lo, s5
	s_cbranch_execnz .LBB3_220
; %bb.221:
	s_or_b32 exec_lo, exec_lo, s5
.LBB3_222:
	s_wait_alu 0xfffe
	s_or_b32 exec_lo, exec_lo, s4
.LBB3_223:
	s_wait_alu 0xfffe
	s_or_b32 exec_lo, exec_lo, s1
	v_readfirstlane_b32 s5, v10
	s_wait_loadcnt 0x0
	v_mov_b32_e32 v3, 0
	v_readfirstlane_b32 s4, v9
	s_mov_b32 s1, exec_lo
	s_clause 0x1
	global_load_b64 v[11:12], v3, s[2:3] offset:40
	global_load_b128 v[5:8], v3, s[2:3]
	s_wait_loadcnt 0x1
	s_wait_alu 0xf1ff
	v_and_b32_e32 v12, s5, v12
	v_and_b32_e32 v11, s4, v11
	s_delay_alu instid0(VALU_DEP_2) | instskip(NEXT) | instid1(VALU_DEP_2)
	v_mul_lo_u32 v4, 24, v12
	v_mul_lo_u32 v9, 0, v11
	v_mul_hi_u32 v10, 24, v11
	v_mul_lo_u32 v13, 24, v11
	s_delay_alu instid0(VALU_DEP_3) | instskip(SKIP_1) | instid1(VALU_DEP_2)
	v_add_nc_u32_e32 v4, v4, v9
	s_wait_loadcnt 0x0
	v_add_co_u32 v9, vcc_lo, v5, v13
	s_delay_alu instid0(VALU_DEP_2) | instskip(SKIP_1) | instid1(VALU_DEP_1)
	v_add_nc_u32_e32 v4, v4, v10
	s_wait_alu 0xfffd
	v_add_co_ci_u32_e64 v10, null, v6, v4, vcc_lo
	s_and_saveexec_b32 s6, s0
	s_cbranch_execz .LBB3_225
; %bb.224:
	s_wait_alu 0xfffe
	v_dual_mov_b32 v13, s1 :: v_dual_mov_b32 v14, v3
	v_dual_mov_b32 v15, 2 :: v_dual_mov_b32 v16, 1
	global_store_b128 v[9:10], v[13:16], off offset:8
.LBB3_225:
	s_wait_alu 0xfffe
	s_or_b32 exec_lo, exec_lo, s6
	v_lshlrev_b64_e32 v[11:12], 12, v[11:12]
	s_mov_b32 s12, 0
	v_and_or_b32 v1, 0xffffff1f, v1, 32
	s_wait_alu 0xfffe
	s_mov_b32 s13, s12
	s_mov_b32 s14, s12
	;; [unrolled: 1-line block ×3, first 2 shown]
	v_add_co_u32 v7, vcc_lo, v7, v11
	s_wait_alu 0xfffd
	v_add_co_ci_u32_e64 v8, null, v8, v12, vcc_lo
	v_dual_mov_b32 v4, v3 :: v_dual_mov_b32 v11, s12
	s_delay_alu instid0(VALU_DEP_3) | instskip(SKIP_1) | instid1(VALU_DEP_4)
	v_readfirstlane_b32 s6, v7
	v_add_co_u32 v7, vcc_lo, v7, v31
	v_readfirstlane_b32 s7, v8
	s_wait_alu 0xfffd
	v_add_co_ci_u32_e64 v8, null, 0, v8, vcc_lo
	s_wait_alu 0xfffe
	v_dual_mov_b32 v12, s13 :: v_dual_mov_b32 v13, s14
	v_mov_b32_e32 v14, s15
	s_clause 0x3
	global_store_b128 v31, v[1:4], s[6:7]
	global_store_b128 v31, v[11:14], s[6:7] offset:16
	global_store_b128 v31, v[11:14], s[6:7] offset:32
	;; [unrolled: 1-line block ×3, first 2 shown]
	s_and_saveexec_b32 s1, s0
	s_cbranch_execz .LBB3_233
; %bb.226:
	v_mov_b32_e32 v11, 0
	s_mov_b32 s6, exec_lo
	s_clause 0x1
	global_load_b64 v[14:15], v11, s[2:3] offset:32 scope:SCOPE_SYS
	global_load_b64 v[1:2], v11, s[2:3] offset:40
	v_dual_mov_b32 v12, s4 :: v_dual_mov_b32 v13, s5
	s_wait_loadcnt 0x0
	v_and_b32_e32 v2, s5, v2
	v_and_b32_e32 v1, s4, v1
	s_delay_alu instid0(VALU_DEP_2) | instskip(NEXT) | instid1(VALU_DEP_2)
	v_mul_lo_u32 v2, 24, v2
	v_mul_lo_u32 v3, 0, v1
	v_mul_hi_u32 v4, 24, v1
	v_mul_lo_u32 v1, 24, v1
	s_delay_alu instid0(VALU_DEP_3) | instskip(NEXT) | instid1(VALU_DEP_2)
	v_add_nc_u32_e32 v2, v2, v3
	v_add_co_u32 v5, vcc_lo, v5, v1
	s_delay_alu instid0(VALU_DEP_2) | instskip(SKIP_1) | instid1(VALU_DEP_1)
	v_add_nc_u32_e32 v2, v2, v4
	s_wait_alu 0xfffd
	v_add_co_ci_u32_e64 v6, null, v6, v2, vcc_lo
	global_store_b64 v[5:6], v[14:15], off
	global_wb scope:SCOPE_SYS
	s_wait_storecnt 0x0
	global_atomic_cmpswap_b64 v[3:4], v11, v[12:15], s[2:3] offset:32 th:TH_ATOMIC_RETURN scope:SCOPE_SYS
	s_wait_loadcnt 0x0
	v_cmpx_ne_u64_e64 v[3:4], v[14:15]
	s_cbranch_execz .LBB3_229
; %bb.227:
	s_mov_b32 s7, 0
.LBB3_228:                              ; =>This Inner Loop Header: Depth=1
	v_dual_mov_b32 v1, s4 :: v_dual_mov_b32 v2, s5
	s_sleep 1
	global_store_b64 v[5:6], v[3:4], off
	global_wb scope:SCOPE_SYS
	s_wait_storecnt 0x0
	global_atomic_cmpswap_b64 v[1:2], v11, v[1:4], s[2:3] offset:32 th:TH_ATOMIC_RETURN scope:SCOPE_SYS
	s_wait_loadcnt 0x0
	v_cmp_eq_u64_e32 vcc_lo, v[1:2], v[3:4]
	v_dual_mov_b32 v4, v2 :: v_dual_mov_b32 v3, v1
	s_wait_alu 0xfffe
	s_or_b32 s7, vcc_lo, s7
	s_wait_alu 0xfffe
	s_and_not1_b32 exec_lo, exec_lo, s7
	s_cbranch_execnz .LBB3_228
.LBB3_229:
	s_wait_alu 0xfffe
	s_or_b32 exec_lo, exec_lo, s6
	v_mov_b32_e32 v4, 0
	s_mov_b32 s7, exec_lo
	s_mov_b32 s6, exec_lo
	s_wait_alu 0xfffe
	v_mbcnt_lo_u32_b32 v3, s7, 0
	global_load_b64 v[1:2], v4, s[2:3] offset:16
	v_cmpx_eq_u32_e32 0, v3
	s_cbranch_execz .LBB3_231
; %bb.230:
	s_bcnt1_i32_b32 s7, s7
	s_wait_alu 0xfffe
	v_mov_b32_e32 v3, s7
	global_wb scope:SCOPE_SYS
	s_wait_loadcnt 0x0
	s_wait_storecnt 0x0
	global_atomic_add_u64 v[1:2], v[3:4], off offset:8 scope:SCOPE_SYS
.LBB3_231:
	s_or_b32 exec_lo, exec_lo, s6
	s_wait_loadcnt 0x0
	global_load_b64 v[3:4], v[1:2], off offset:16
	s_wait_loadcnt 0x0
	v_cmp_eq_u64_e32 vcc_lo, 0, v[3:4]
	s_cbranch_vccnz .LBB3_233
; %bb.232:
	global_load_b32 v1, v[1:2], off offset:24
	v_mov_b32_e32 v2, 0
	s_wait_loadcnt 0x0
	v_readfirstlane_b32 s6, v1
	global_wb scope:SCOPE_SYS
	s_wait_storecnt 0x0
	global_store_b64 v[3:4], v[1:2], off scope:SCOPE_SYS
	s_and_b32 m0, s6, 0xffffff
	s_sendmsg sendmsg(MSG_INTERRUPT)
.LBB3_233:
	s_wait_alu 0xfffe
	s_or_b32 exec_lo, exec_lo, s1
	s_branch .LBB3_237
.LBB3_234:                              ;   in Loop: Header=BB3_237 Depth=1
	s_wait_alu 0xfffe
	s_or_b32 exec_lo, exec_lo, s1
	s_delay_alu instid0(VALU_DEP_1)
	v_readfirstlane_b32 s1, v1
	s_cmp_eq_u32 s1, 0
	s_cbranch_scc1 .LBB3_236
; %bb.235:                              ;   in Loop: Header=BB3_237 Depth=1
	s_sleep 1
	s_cbranch_execnz .LBB3_237
	s_branch .LBB3_239
.LBB3_236:
	s_branch .LBB3_239
.LBB3_237:                              ; =>This Inner Loop Header: Depth=1
	v_mov_b32_e32 v1, 1
	s_and_saveexec_b32 s1, s0
	s_cbranch_execz .LBB3_234
; %bb.238:                              ;   in Loop: Header=BB3_237 Depth=1
	global_load_b32 v1, v[9:10], off offset:20 scope:SCOPE_SYS
	s_wait_loadcnt 0x0
	global_inv scope:SCOPE_SYS
	v_and_b32_e32 v1, 1, v1
	s_branch .LBB3_234
.LBB3_239:
	global_load_b64 v[3:4], v[7:8], off
	s_and_saveexec_b32 s6, s0
	s_cbranch_execz .LBB3_243
; %bb.240:
	v_mov_b32_e32 v9, 0
	s_clause 0x2
	global_load_b64 v[1:2], v9, s[2:3] offset:40
	global_load_b64 v[12:13], v9, s[2:3] offset:24 scope:SCOPE_SYS
	global_load_b64 v[5:6], v9, s[2:3]
	s_wait_loadcnt 0x2
	v_readfirstlane_b32 s10, v1
	v_readfirstlane_b32 s11, v2
	s_add_nc_u64 s[0:1], s[10:11], 1
	s_wait_alu 0xfffe
	s_add_nc_u64 s[4:5], s[0:1], s[4:5]
	s_wait_alu 0xfffe
	s_cmp_eq_u64 s[4:5], 0
	s_cselect_b32 s1, s1, s5
	s_cselect_b32 s0, s0, s4
	s_wait_alu 0xfffe
	v_mov_b32_e32 v11, s1
	s_and_b64 s[4:5], s[0:1], s[10:11]
	v_mov_b32_e32 v10, s0
	s_wait_alu 0xfffe
	s_mul_u64 s[4:5], s[4:5], 24
	s_wait_loadcnt 0x0
	s_wait_alu 0xfffe
	v_add_co_u32 v1, vcc_lo, v5, s4
	s_wait_alu 0xfffd
	v_add_co_ci_u32_e64 v2, null, s5, v6, vcc_lo
	global_store_b64 v[1:2], v[12:13], off
	global_wb scope:SCOPE_SYS
	s_wait_storecnt 0x0
	global_atomic_cmpswap_b64 v[7:8], v9, v[10:13], s[2:3] offset:24 th:TH_ATOMIC_RETURN scope:SCOPE_SYS
	s_wait_loadcnt 0x0
	v_cmp_ne_u64_e32 vcc_lo, v[7:8], v[12:13]
	s_and_b32 exec_lo, exec_lo, vcc_lo
	s_cbranch_execz .LBB3_243
; %bb.241:
	s_mov_b32 s4, 0
.LBB3_242:                              ; =>This Inner Loop Header: Depth=1
	v_dual_mov_b32 v5, s0 :: v_dual_mov_b32 v6, s1
	s_sleep 1
	global_store_b64 v[1:2], v[7:8], off
	global_wb scope:SCOPE_SYS
	s_wait_storecnt 0x0
	global_atomic_cmpswap_b64 v[5:6], v9, v[5:8], s[2:3] offset:24 th:TH_ATOMIC_RETURN scope:SCOPE_SYS
	s_wait_loadcnt 0x0
	v_cmp_eq_u64_e32 vcc_lo, v[5:6], v[7:8]
	v_dual_mov_b32 v8, v6 :: v_dual_mov_b32 v7, v5
	s_wait_alu 0xfffe
	s_or_b32 s4, vcc_lo, s4
	s_wait_alu 0xfffe
	s_and_not1_b32 exec_lo, exec_lo, s4
	s_cbranch_execnz .LBB3_242
.LBB3_243:
	s_wait_alu 0xfffe
	s_or_b32 exec_lo, exec_lo, s6
.LBB3_244:
	v_readfirstlane_b32 s0, v32
	s_wait_loadcnt 0x0
	v_mov_b32_e32 v1, 0
	v_mov_b32_e32 v2, 0
	s_wait_alu 0xf1ff
	v_cmp_eq_u32_e64 s0, s0, v32
	s_and_saveexec_b32 s1, s0
	s_cbranch_execz .LBB3_250
; %bb.245:
	v_mov_b32_e32 v5, 0
	s_mov_b32 s4, exec_lo
	global_load_b64 v[8:9], v5, s[2:3] offset:24 scope:SCOPE_SYS
	s_wait_loadcnt 0x0
	global_inv scope:SCOPE_SYS
	s_clause 0x1
	global_load_b64 v[1:2], v5, s[2:3] offset:40
	global_load_b64 v[6:7], v5, s[2:3]
	s_wait_loadcnt 0x1
	v_and_b32_e32 v2, v2, v9
	v_and_b32_e32 v1, v1, v8
	s_delay_alu instid0(VALU_DEP_2) | instskip(NEXT) | instid1(VALU_DEP_2)
	v_mul_lo_u32 v2, 24, v2
	v_mul_lo_u32 v10, 0, v1
	v_mul_hi_u32 v11, 24, v1
	v_mul_lo_u32 v1, 24, v1
	s_delay_alu instid0(VALU_DEP_3) | instskip(SKIP_1) | instid1(VALU_DEP_2)
	v_add_nc_u32_e32 v2, v2, v10
	s_wait_loadcnt 0x0
	v_add_co_u32 v1, vcc_lo, v6, v1
	s_delay_alu instid0(VALU_DEP_2) | instskip(SKIP_1) | instid1(VALU_DEP_1)
	v_add_nc_u32_e32 v2, v2, v11
	s_wait_alu 0xfffd
	v_add_co_ci_u32_e64 v2, null, v7, v2, vcc_lo
	global_load_b64 v[6:7], v[1:2], off scope:SCOPE_SYS
	s_wait_loadcnt 0x0
	global_atomic_cmpswap_b64 v[1:2], v5, v[6:9], s[2:3] offset:24 th:TH_ATOMIC_RETURN scope:SCOPE_SYS
	s_wait_loadcnt 0x0
	global_inv scope:SCOPE_SYS
	v_cmpx_ne_u64_e64 v[1:2], v[8:9]
	s_cbranch_execz .LBB3_249
; %bb.246:
	s_mov_b32 s5, 0
.LBB3_247:                              ; =>This Inner Loop Header: Depth=1
	s_sleep 1
	s_clause 0x1
	global_load_b64 v[6:7], v5, s[2:3] offset:40
	global_load_b64 v[10:11], v5, s[2:3]
	v_dual_mov_b32 v9, v2 :: v_dual_mov_b32 v8, v1
	s_wait_loadcnt 0x1
	s_delay_alu instid0(VALU_DEP_1) | instskip(NEXT) | instid1(VALU_DEP_2)
	v_and_b32_e32 v1, v6, v8
	v_and_b32_e32 v6, v7, v9
	s_wait_loadcnt 0x0
	s_delay_alu instid0(VALU_DEP_2) | instskip(NEXT) | instid1(VALU_DEP_1)
	v_mad_co_u64_u32 v[1:2], null, v1, 24, v[10:11]
	v_mad_co_u64_u32 v[6:7], null, v6, 24, v[2:3]
	s_delay_alu instid0(VALU_DEP_1)
	v_mov_b32_e32 v2, v6
	global_load_b64 v[6:7], v[1:2], off scope:SCOPE_SYS
	s_wait_loadcnt 0x0
	global_atomic_cmpswap_b64 v[1:2], v5, v[6:9], s[2:3] offset:24 th:TH_ATOMIC_RETURN scope:SCOPE_SYS
	s_wait_loadcnt 0x0
	global_inv scope:SCOPE_SYS
	v_cmp_eq_u64_e32 vcc_lo, v[1:2], v[8:9]
	s_wait_alu 0xfffe
	s_or_b32 s5, vcc_lo, s5
	s_wait_alu 0xfffe
	s_and_not1_b32 exec_lo, exec_lo, s5
	s_cbranch_execnz .LBB3_247
; %bb.248:
	s_or_b32 exec_lo, exec_lo, s5
.LBB3_249:
	s_wait_alu 0xfffe
	s_or_b32 exec_lo, exec_lo, s4
.LBB3_250:
	s_wait_alu 0xfffe
	s_or_b32 exec_lo, exec_lo, s1
	v_readfirstlane_b32 s4, v1
	v_mov_b32_e32 v6, 0
	v_readfirstlane_b32 s5, v2
	s_mov_b32 s1, exec_lo
	s_clause 0x1
	global_load_b64 v[11:12], v6, s[2:3] offset:40
	global_load_b128 v[7:10], v6, s[2:3]
	s_wait_loadcnt 0x1
	s_wait_alu 0xf1ff
	v_and_b32_e32 v2, s5, v12
	v_and_b32_e32 v1, s4, v11
	s_delay_alu instid0(VALU_DEP_2) | instskip(NEXT) | instid1(VALU_DEP_2)
	v_mul_lo_u32 v5, 24, v2
	v_mul_lo_u32 v11, 0, v1
	v_mul_hi_u32 v12, 24, v1
	v_mul_lo_u32 v13, 24, v1
	s_delay_alu instid0(VALU_DEP_3) | instskip(SKIP_1) | instid1(VALU_DEP_2)
	v_add_nc_u32_e32 v5, v5, v11
	s_wait_loadcnt 0x0
	v_add_co_u32 v11, vcc_lo, v7, v13
	s_delay_alu instid0(VALU_DEP_2) | instskip(SKIP_1) | instid1(VALU_DEP_1)
	v_add_nc_u32_e32 v5, v5, v12
	s_wait_alu 0xfffd
	v_add_co_ci_u32_e64 v12, null, v8, v5, vcc_lo
	s_and_saveexec_b32 s6, s0
	s_cbranch_execz .LBB3_252
; %bb.251:
	s_wait_alu 0xfffe
	v_dual_mov_b32 v5, s1 :: v_dual_mov_b32 v16, 1
	v_dual_mov_b32 v15, 2 :: v_dual_mov_b32 v14, v6
	s_delay_alu instid0(VALU_DEP_2)
	v_mov_b32_e32 v13, v5
	global_store_b128 v[11:12], v[13:16], off offset:8
.LBB3_252:
	s_wait_alu 0xfffe
	s_or_b32 exec_lo, exec_lo, s6
	v_lshlrev_b64_e32 v[1:2], 12, v[1:2]
	s_mov_b32 s12, 0
	v_and_or_b32 v3, 0xffffff1f, v3, 32
	s_wait_alu 0xfffe
	s_mov_b32 s13, s12
	s_mov_b32 s14, s12
	;; [unrolled: 1-line block ×3, first 2 shown]
	s_wait_alu 0xfffe
	v_dual_mov_b32 v5, v0 :: v_dual_mov_b32 v16, s15
	v_add_co_u32 v0, vcc_lo, v9, v1
	s_wait_alu 0xfffd
	v_add_co_ci_u32_e64 v1, null, v10, v2, vcc_lo
	v_dual_mov_b32 v15, s14 :: v_dual_mov_b32 v14, s13
	s_delay_alu instid0(VALU_DEP_3) | instskip(SKIP_1) | instid1(VALU_DEP_4)
	v_add_co_u32 v9, vcc_lo, v0, v31
	v_readfirstlane_b32 s6, v0
	v_readfirstlane_b32 s7, v1
	s_wait_alu 0xfffd
	v_add_co_ci_u32_e64 v10, null, 0, v1, vcc_lo
	v_mov_b32_e32 v13, s12
	s_clause 0x3
	global_store_b128 v31, v[3:6], s[6:7]
	global_store_b128 v31, v[13:16], s[6:7] offset:16
	global_store_b128 v31, v[13:16], s[6:7] offset:32
	global_store_b128 v31, v[13:16], s[6:7] offset:48
	s_and_saveexec_b32 s1, s0
	s_cbranch_execz .LBB3_260
; %bb.253:
	v_mov_b32_e32 v6, 0
	s_mov_b32 s6, exec_lo
	s_clause 0x1
	global_load_b64 v[15:16], v6, s[2:3] offset:32 scope:SCOPE_SYS
	global_load_b64 v[0:1], v6, s[2:3] offset:40
	v_dual_mov_b32 v13, s4 :: v_dual_mov_b32 v14, s5
	s_wait_loadcnt 0x0
	v_and_b32_e32 v1, s5, v1
	v_and_b32_e32 v0, s4, v0
	s_delay_alu instid0(VALU_DEP_2) | instskip(NEXT) | instid1(VALU_DEP_2)
	v_mul_lo_u32 v1, 24, v1
	v_mul_lo_u32 v2, 0, v0
	v_mul_hi_u32 v3, 24, v0
	v_mul_lo_u32 v0, 24, v0
	s_delay_alu instid0(VALU_DEP_3) | instskip(NEXT) | instid1(VALU_DEP_2)
	v_add_nc_u32_e32 v1, v1, v2
	v_add_co_u32 v4, vcc_lo, v7, v0
	s_delay_alu instid0(VALU_DEP_2) | instskip(SKIP_1) | instid1(VALU_DEP_1)
	v_add_nc_u32_e32 v1, v1, v3
	s_wait_alu 0xfffd
	v_add_co_ci_u32_e64 v5, null, v8, v1, vcc_lo
	global_store_b64 v[4:5], v[15:16], off
	global_wb scope:SCOPE_SYS
	s_wait_storecnt 0x0
	global_atomic_cmpswap_b64 v[2:3], v6, v[13:16], s[2:3] offset:32 th:TH_ATOMIC_RETURN scope:SCOPE_SYS
	s_wait_loadcnt 0x0
	v_cmpx_ne_u64_e64 v[2:3], v[15:16]
	s_cbranch_execz .LBB3_256
; %bb.254:
	s_mov_b32 s7, 0
.LBB3_255:                              ; =>This Inner Loop Header: Depth=1
	v_dual_mov_b32 v0, s4 :: v_dual_mov_b32 v1, s5
	s_sleep 1
	global_store_b64 v[4:5], v[2:3], off
	global_wb scope:SCOPE_SYS
	s_wait_storecnt 0x0
	global_atomic_cmpswap_b64 v[0:1], v6, v[0:3], s[2:3] offset:32 th:TH_ATOMIC_RETURN scope:SCOPE_SYS
	s_wait_loadcnt 0x0
	v_cmp_eq_u64_e32 vcc_lo, v[0:1], v[2:3]
	v_dual_mov_b32 v3, v1 :: v_dual_mov_b32 v2, v0
	s_wait_alu 0xfffe
	s_or_b32 s7, vcc_lo, s7
	s_wait_alu 0xfffe
	s_and_not1_b32 exec_lo, exec_lo, s7
	s_cbranch_execnz .LBB3_255
.LBB3_256:
	s_wait_alu 0xfffe
	s_or_b32 exec_lo, exec_lo, s6
	v_mov_b32_e32 v3, 0
	s_mov_b32 s7, exec_lo
	s_mov_b32 s6, exec_lo
	s_wait_alu 0xfffe
	v_mbcnt_lo_u32_b32 v2, s7, 0
	global_load_b64 v[0:1], v3, s[2:3] offset:16
	v_cmpx_eq_u32_e32 0, v2
	s_cbranch_execz .LBB3_258
; %bb.257:
	s_bcnt1_i32_b32 s7, s7
	s_wait_alu 0xfffe
	v_mov_b32_e32 v2, s7
	global_wb scope:SCOPE_SYS
	s_wait_loadcnt 0x0
	s_wait_storecnt 0x0
	global_atomic_add_u64 v[0:1], v[2:3], off offset:8 scope:SCOPE_SYS
.LBB3_258:
	s_or_b32 exec_lo, exec_lo, s6
	s_wait_loadcnt 0x0
	global_load_b64 v[2:3], v[0:1], off offset:16
	s_wait_loadcnt 0x0
	v_cmp_eq_u64_e32 vcc_lo, 0, v[2:3]
	s_cbranch_vccnz .LBB3_260
; %bb.259:
	global_load_b32 v0, v[0:1], off offset:24
	v_mov_b32_e32 v1, 0
	s_wait_loadcnt 0x0
	v_readfirstlane_b32 s6, v0
	global_wb scope:SCOPE_SYS
	s_wait_storecnt 0x0
	global_store_b64 v[2:3], v[0:1], off scope:SCOPE_SYS
	s_and_b32 m0, s6, 0xffffff
	s_sendmsg sendmsg(MSG_INTERRUPT)
.LBB3_260:
	s_wait_alu 0xfffe
	s_or_b32 exec_lo, exec_lo, s1
	s_branch .LBB3_264
.LBB3_261:                              ;   in Loop: Header=BB3_264 Depth=1
	s_wait_alu 0xfffe
	s_or_b32 exec_lo, exec_lo, s1
	s_delay_alu instid0(VALU_DEP_1)
	v_readfirstlane_b32 s1, v0
	s_cmp_eq_u32 s1, 0
	s_cbranch_scc1 .LBB3_263
; %bb.262:                              ;   in Loop: Header=BB3_264 Depth=1
	s_sleep 1
	s_cbranch_execnz .LBB3_264
	s_branch .LBB3_266
.LBB3_263:
	s_branch .LBB3_266
.LBB3_264:                              ; =>This Inner Loop Header: Depth=1
	v_mov_b32_e32 v0, 1
	s_and_saveexec_b32 s1, s0
	s_cbranch_execz .LBB3_261
; %bb.265:                              ;   in Loop: Header=BB3_264 Depth=1
	global_load_b32 v0, v[11:12], off offset:20 scope:SCOPE_SYS
	s_wait_loadcnt 0x0
	global_inv scope:SCOPE_SYS
	v_and_b32_e32 v0, 1, v0
	s_branch .LBB3_261
.LBB3_266:
	global_load_b64 v[0:1], v[9:10], off
	s_and_saveexec_b32 s6, s0
	s_cbranch_execz .LBB3_270
; %bb.267:
	v_mov_b32_e32 v8, 0
	s_clause 0x2
	global_load_b64 v[2:3], v8, s[2:3] offset:40
	global_load_b64 v[11:12], v8, s[2:3] offset:24 scope:SCOPE_SYS
	global_load_b64 v[4:5], v8, s[2:3]
	s_wait_loadcnt 0x2
	v_readfirstlane_b32 s10, v2
	v_readfirstlane_b32 s11, v3
	s_add_nc_u64 s[0:1], s[10:11], 1
	s_wait_alu 0xfffe
	s_add_nc_u64 s[4:5], s[0:1], s[4:5]
	s_wait_alu 0xfffe
	s_cmp_eq_u64 s[4:5], 0
	s_cselect_b32 s1, s1, s5
	s_cselect_b32 s0, s0, s4
	s_wait_alu 0xfffe
	v_mov_b32_e32 v10, s1
	s_and_b64 s[4:5], s[0:1], s[10:11]
	v_mov_b32_e32 v9, s0
	s_wait_alu 0xfffe
	s_mul_u64 s[4:5], s[4:5], 24
	s_wait_loadcnt 0x0
	s_wait_alu 0xfffe
	v_add_co_u32 v6, vcc_lo, v4, s4
	s_wait_alu 0xfffd
	v_add_co_ci_u32_e64 v7, null, s5, v5, vcc_lo
	global_store_b64 v[6:7], v[11:12], off
	global_wb scope:SCOPE_SYS
	s_wait_storecnt 0x0
	global_atomic_cmpswap_b64 v[4:5], v8, v[9:12], s[2:3] offset:24 th:TH_ATOMIC_RETURN scope:SCOPE_SYS
	s_wait_loadcnt 0x0
	v_cmp_ne_u64_e32 vcc_lo, v[4:5], v[11:12]
	s_and_b32 exec_lo, exec_lo, vcc_lo
	s_cbranch_execz .LBB3_270
; %bb.268:
	s_mov_b32 s4, 0
.LBB3_269:                              ; =>This Inner Loop Header: Depth=1
	v_dual_mov_b32 v2, s0 :: v_dual_mov_b32 v3, s1
	s_sleep 1
	global_store_b64 v[6:7], v[4:5], off
	global_wb scope:SCOPE_SYS
	s_wait_storecnt 0x0
	global_atomic_cmpswap_b64 v[2:3], v8, v[2:5], s[2:3] offset:24 th:TH_ATOMIC_RETURN scope:SCOPE_SYS
	s_wait_loadcnt 0x0
	v_cmp_eq_u64_e32 vcc_lo, v[2:3], v[4:5]
	v_dual_mov_b32 v5, v3 :: v_dual_mov_b32 v4, v2
	s_wait_alu 0xfffe
	s_or_b32 s4, vcc_lo, s4
	s_wait_alu 0xfffe
	s_and_not1_b32 exec_lo, exec_lo, s4
	s_cbranch_execnz .LBB3_269
.LBB3_270:
	s_wait_alu 0xfffe
	s_or_b32 exec_lo, exec_lo, s6
	s_getpc_b64 s[0:1]
	s_wait_alu 0xfffe
	s_sext_i32_i16 s1, s1
	s_add_co_u32 s0, s0, __FUNCTION__._ZL18flash_attn_ext_f16ILi64ELi64ELi8ELi2ELb1ELb0EEvPKcS1_S1_S1_S1_PKiPfP15HIP_vector_typeIfLj2EEffffjfiS5_IjLj3EEiiiiiiiiiiiliiliiiiil@rel32@lo+12
	s_wait_alu 0xfffe
	s_add_co_ci_u32 s1, s1, __FUNCTION__._ZL18flash_attn_ext_f16ILi64ELi64ELi8ELi2ELb1ELb0EEvPKcS1_S1_S1_S1_PKiPfP15HIP_vector_typeIfLj2EEffffjfiS5_IjLj3EEiiiiiiiiiiiliiliiiiil@rel32@hi+24
	s_wait_alu 0xfffe
	v_dual_mov_b32 v2, s0 :: v_dual_mov_b32 v3, s1
	s_cmp_lg_u64 s[0:1], 0
	s_mov_b64 s[14:15], s[8:9]
	s_cselect_b32 s4, 19, 0
	s_wait_alu 0xfffe
	v_dual_mov_b32 v5, 0 :: v_dual_mov_b32 v4, s4
	s_getpc_b64 s[2:3]
	s_wait_alu 0xfffe
	s_sext_i32_i16 s3, s3
	s_add_co_u32 s2, s2, __ockl_printf_append_string_n@rel32@lo+12
	s_wait_alu 0xfffe
	s_add_co_ci_u32 s3, s3, __ockl_printf_append_string_n@rel32@hi+24
	s_wait_alu 0xfffe
	s_swappc_b64 s[30:31], s[2:3]
	v_dual_mov_b32 v2, 0x514 :: v_dual_mov_b32 v3, 0
	v_mov_b32_e32 v4, 1
	s_getpc_b64 s[0:1]
	s_wait_alu 0xfffe
	s_sext_i32_i16 s1, s1
	s_add_co_u32 s0, s0, __ockl_printf_append_args@rel32@lo+12
	s_wait_alu 0xfffe
	s_add_co_ci_u32 s1, s1, __ockl_printf_append_args@rel32@hi+24
	s_mov_b64 s[8:9], s[14:15]
	s_wait_alu 0xfffe
	s_swappc_b64 s[30:31], s[0:1]
	s_trap 2
.Lfunc_end3:
	.size	_ZL14no_device_codePKciS0_iS0_, .Lfunc_end3-_ZL14no_device_codePKciS0_iS0_
                                        ; -- End function
	.set .L_ZL14no_device_codePKciS0_iS0_.num_vgpr, max(40, .L__ockl_printf_append_string_n.num_vgpr, .L__ockl_printf_append_args.num_vgpr)
	.set .L_ZL14no_device_codePKciS0_iS0_.num_agpr, max(0, .L__ockl_printf_append_string_n.num_agpr, .L__ockl_printf_append_args.num_agpr)
	.set .L_ZL14no_device_codePKciS0_iS0_.numbered_sgpr, max(34, .L__ockl_printf_append_string_n.numbered_sgpr, .L__ockl_printf_append_args.numbered_sgpr)
	.set .L_ZL14no_device_codePKciS0_iS0_.num_named_barrier, max(0, .L__ockl_printf_append_string_n.num_named_barrier, .L__ockl_printf_append_args.num_named_barrier)
	.set .L_ZL14no_device_codePKciS0_iS0_.private_seg_size, 16+max(.L__ockl_printf_append_string_n.private_seg_size, .L__ockl_printf_append_args.private_seg_size)
	.set .L_ZL14no_device_codePKciS0_iS0_.uses_vcc, or(1, .L__ockl_printf_append_string_n.uses_vcc, .L__ockl_printf_append_args.uses_vcc)
	.set .L_ZL14no_device_codePKciS0_iS0_.uses_flat_scratch, or(0, .L__ockl_printf_append_string_n.uses_flat_scratch, .L__ockl_printf_append_args.uses_flat_scratch)
	.set .L_ZL14no_device_codePKciS0_iS0_.has_dyn_sized_stack, or(0, .L__ockl_printf_append_string_n.has_dyn_sized_stack, .L__ockl_printf_append_args.has_dyn_sized_stack)
	.set .L_ZL14no_device_codePKciS0_iS0_.has_recursion, or(0, .L__ockl_printf_append_string_n.has_recursion, .L__ockl_printf_append_args.has_recursion)
	.set .L_ZL14no_device_codePKciS0_iS0_.has_indirect_call, or(0, .L__ockl_printf_append_string_n.has_indirect_call, .L__ockl_printf_append_args.has_indirect_call)
	.section	.AMDGPU.csdata,"",@progbits
; Function info:
; codeLenInByte = 12688
; TotalNumSgprs: 36
; NumVgprs: 40
; ScratchSize: 16
; MemoryBound: 0
	.section	.text._ZL18flash_attn_ext_f16ILi64ELi64ELi8ELi2ELb1ELb0EEvPKcS1_S1_S1_S1_PKiPfP15HIP_vector_typeIfLj2EEffffjfiS5_IjLj3EEiiiiiiiiiiiliiliiiiil,"axG",@progbits,_ZL18flash_attn_ext_f16ILi64ELi64ELi8ELi2ELb1ELb0EEvPKcS1_S1_S1_S1_PKiPfP15HIP_vector_typeIfLj2EEffffjfiS5_IjLj3EEiiiiiiiiiiiliiliiiiil,comdat
	.globl	_ZL18flash_attn_ext_f16ILi64ELi64ELi8ELi2ELb1ELb0EEvPKcS1_S1_S1_S1_PKiPfP15HIP_vector_typeIfLj2EEffffjfiS5_IjLj3EEiiiiiiiiiiiliiliiiiil ; -- Begin function _ZL18flash_attn_ext_f16ILi64ELi64ELi8ELi2ELb1ELb0EEvPKcS1_S1_S1_S1_PKiPfP15HIP_vector_typeIfLj2EEffffjfiS5_IjLj3EEiiiiiiiiiiiliiliiiiil
	.p2align	8
	.type	_ZL18flash_attn_ext_f16ILi64ELi64ELi8ELi2ELb1ELb0EEvPKcS1_S1_S1_S1_PKiPfP15HIP_vector_typeIfLj2EEffffjfiS5_IjLj3EEiiiiiiiiiiiliiliiiiil,@function
_ZL18flash_attn_ext_f16ILi64ELi64ELi8ELi2ELb1ELb0EEvPKcS1_S1_S1_S1_PKiPfP15HIP_vector_typeIfLj2EEffffjfiS5_IjLj3EEiiiiiiiiiiiliiliiiiil: ; @_ZL18flash_attn_ext_f16ILi64ELi64ELi8ELi2ELb1ELb0EEvPKcS1_S1_S1_S1_PKiPfP15HIP_vector_typeIfLj2EEffffjfiS5_IjLj3EEiiiiiiiiiiiliiliiiiil
; %bb.0:
	v_mov_b32_e32 v0, 0x6cc
	s_add_nc_u64 s[8:9], s[0:1], 0xd0
	s_getpc_b64 s[0:1]
	s_sext_i32_i16 s1, s1
	s_add_co_u32 s0, s0, _ZL14no_device_codePKciS0_iS0_@rel32@lo+8
	s_add_co_ci_u32 s1, s1, _ZL14no_device_codePKciS0_iS0_@rel32@hi+16
	s_mov_b32 s32, 0
	s_swappc_b64 s[30:31], s[0:1]
	.section	.rodata,"a",@progbits
	.p2align	6, 0x0
	.amdhsa_kernel _ZL18flash_attn_ext_f16ILi64ELi64ELi8ELi2ELb1ELb0EEvPKcS1_S1_S1_S1_PKiPfP15HIP_vector_typeIfLj2EEffffjfiS5_IjLj3EEiiiiiiiiiiiliiliiiiil
		.amdhsa_group_segment_fixed_size 0
		.amdhsa_private_segment_fixed_size 16
		.amdhsa_kernarg_size 464
		.amdhsa_user_sgpr_count 2
		.amdhsa_user_sgpr_dispatch_ptr 0
		.amdhsa_user_sgpr_queue_ptr 0
		.amdhsa_user_sgpr_kernarg_segment_ptr 1
		.amdhsa_user_sgpr_dispatch_id 0
		.amdhsa_user_sgpr_private_segment_size 0
		.amdhsa_wavefront_size32 1
		.amdhsa_uses_dynamic_stack 0
		.amdhsa_enable_private_segment 1
		.amdhsa_system_sgpr_workgroup_id_x 1
		.amdhsa_system_sgpr_workgroup_id_y 0
		.amdhsa_system_sgpr_workgroup_id_z 0
		.amdhsa_system_sgpr_workgroup_info 0
		.amdhsa_system_vgpr_workitem_id 0
		.amdhsa_next_free_vgpr 40
		.amdhsa_next_free_sgpr 34
		.amdhsa_reserve_vcc 1
		.amdhsa_float_round_mode_32 0
		.amdhsa_float_round_mode_16_64 0
		.amdhsa_float_denorm_mode_32 3
		.amdhsa_float_denorm_mode_16_64 3
		.amdhsa_fp16_overflow 0
		.amdhsa_workgroup_processor_mode 1
		.amdhsa_memory_ordered 1
		.amdhsa_forward_progress 1
		.amdhsa_inst_pref_size 1
		.amdhsa_round_robin_scheduling 0
		.amdhsa_exception_fp_ieee_invalid_op 0
		.amdhsa_exception_fp_denorm_src 0
		.amdhsa_exception_fp_ieee_div_zero 0
		.amdhsa_exception_fp_ieee_overflow 0
		.amdhsa_exception_fp_ieee_underflow 0
		.amdhsa_exception_fp_ieee_inexact 0
		.amdhsa_exception_int_div_zero 0
	.end_amdhsa_kernel
	.section	.text._ZL18flash_attn_ext_f16ILi64ELi64ELi8ELi2ELb1ELb0EEvPKcS1_S1_S1_S1_PKiPfP15HIP_vector_typeIfLj2EEffffjfiS5_IjLj3EEiiiiiiiiiiiliiliiiiil,"axG",@progbits,_ZL18flash_attn_ext_f16ILi64ELi64ELi8ELi2ELb1ELb0EEvPKcS1_S1_S1_S1_PKiPfP15HIP_vector_typeIfLj2EEffffjfiS5_IjLj3EEiiiiiiiiiiiliiliiiiil,comdat
.Lfunc_end4:
	.size	_ZL18flash_attn_ext_f16ILi64ELi64ELi8ELi2ELb1ELb0EEvPKcS1_S1_S1_S1_PKiPfP15HIP_vector_typeIfLj2EEffffjfiS5_IjLj3EEiiiiiiiiiiiliiliiiiil, .Lfunc_end4-_ZL18flash_attn_ext_f16ILi64ELi64ELi8ELi2ELb1ELb0EEvPKcS1_S1_S1_S1_PKiPfP15HIP_vector_typeIfLj2EEffffjfiS5_IjLj3EEiiiiiiiiiiiliiliiiiil
                                        ; -- End function
	.set _ZL18flash_attn_ext_f16ILi64ELi64ELi8ELi2ELb1ELb0EEvPKcS1_S1_S1_S1_PKiPfP15HIP_vector_typeIfLj2EEffffjfiS5_IjLj3EEiiiiiiiiiiiliiliiiiil.num_vgpr, max(1, .L_ZL14no_device_codePKciS0_iS0_.num_vgpr)
	.set _ZL18flash_attn_ext_f16ILi64ELi64ELi8ELi2ELb1ELb0EEvPKcS1_S1_S1_S1_PKiPfP15HIP_vector_typeIfLj2EEffffjfiS5_IjLj3EEiiiiiiiiiiiliiliiiiil.num_agpr, max(0, .L_ZL14no_device_codePKciS0_iS0_.num_agpr)
	.set _ZL18flash_attn_ext_f16ILi64ELi64ELi8ELi2ELb1ELb0EEvPKcS1_S1_S1_S1_PKiPfP15HIP_vector_typeIfLj2EEffffjfiS5_IjLj3EEiiiiiiiiiiiliiliiiiil.numbered_sgpr, max(33, .L_ZL14no_device_codePKciS0_iS0_.numbered_sgpr)
	.set _ZL18flash_attn_ext_f16ILi64ELi64ELi8ELi2ELb1ELb0EEvPKcS1_S1_S1_S1_PKiPfP15HIP_vector_typeIfLj2EEffffjfiS5_IjLj3EEiiiiiiiiiiiliiliiiiil.num_named_barrier, max(0, .L_ZL14no_device_codePKciS0_iS0_.num_named_barrier)
	.set _ZL18flash_attn_ext_f16ILi64ELi64ELi8ELi2ELb1ELb0EEvPKcS1_S1_S1_S1_PKiPfP15HIP_vector_typeIfLj2EEffffjfiS5_IjLj3EEiiiiiiiiiiiliiliiiiil.private_seg_size, 0+max(.L_ZL14no_device_codePKciS0_iS0_.private_seg_size)
	.set _ZL18flash_attn_ext_f16ILi64ELi64ELi8ELi2ELb1ELb0EEvPKcS1_S1_S1_S1_PKiPfP15HIP_vector_typeIfLj2EEffffjfiS5_IjLj3EEiiiiiiiiiiiliiliiiiil.uses_vcc, or(1, .L_ZL14no_device_codePKciS0_iS0_.uses_vcc)
	.set _ZL18flash_attn_ext_f16ILi64ELi64ELi8ELi2ELb1ELb0EEvPKcS1_S1_S1_S1_PKiPfP15HIP_vector_typeIfLj2EEffffjfiS5_IjLj3EEiiiiiiiiiiiliiliiiiil.uses_flat_scratch, or(0, .L_ZL14no_device_codePKciS0_iS0_.uses_flat_scratch)
	.set _ZL18flash_attn_ext_f16ILi64ELi64ELi8ELi2ELb1ELb0EEvPKcS1_S1_S1_S1_PKiPfP15HIP_vector_typeIfLj2EEffffjfiS5_IjLj3EEiiiiiiiiiiiliiliiiiil.has_dyn_sized_stack, or(0, .L_ZL14no_device_codePKciS0_iS0_.has_dyn_sized_stack)
	.set _ZL18flash_attn_ext_f16ILi64ELi64ELi8ELi2ELb1ELb0EEvPKcS1_S1_S1_S1_PKiPfP15HIP_vector_typeIfLj2EEffffjfiS5_IjLj3EEiiiiiiiiiiiliiliiiiil.has_recursion, or(0, .L_ZL14no_device_codePKciS0_iS0_.has_recursion)
	.set _ZL18flash_attn_ext_f16ILi64ELi64ELi8ELi2ELb1ELb0EEvPKcS1_S1_S1_S1_PKiPfP15HIP_vector_typeIfLj2EEffffjfiS5_IjLj3EEiiiiiiiiiiiliiliiiiil.has_indirect_call, or(0, .L_ZL14no_device_codePKciS0_iS0_.has_indirect_call)
	.section	.AMDGPU.csdata,"",@progbits
; Kernel info:
; codeLenInByte = 48
; TotalNumSgprs: 36
; NumVgprs: 40
; ScratchSize: 16
; MemoryBound: 0
; FloatMode: 240
; IeeeMode: 1
; LDSByteSize: 0 bytes/workgroup (compile time only)
; SGPRBlocks: 0
; VGPRBlocks: 4
; NumSGPRsForWavesPerEU: 36
; NumVGPRsForWavesPerEU: 40
; Occupancy: 16
; WaveLimiterHint : 1
; COMPUTE_PGM_RSRC2:SCRATCH_EN: 1
; COMPUTE_PGM_RSRC2:USER_SGPR: 2
; COMPUTE_PGM_RSRC2:TRAP_HANDLER: 0
; COMPUTE_PGM_RSRC2:TGID_X_EN: 1
; COMPUTE_PGM_RSRC2:TGID_Y_EN: 0
; COMPUTE_PGM_RSRC2:TGID_Z_EN: 0
; COMPUTE_PGM_RSRC2:TIDIG_COMP_CNT: 0
	.section	.text._ZL25flash_attn_mask_to_KV_maxILi8EEvPK7__half2Piiii,"axG",@progbits,_ZL25flash_attn_mask_to_KV_maxILi8EEvPK7__half2Piiii,comdat
	.globl	_ZL25flash_attn_mask_to_KV_maxILi8EEvPK7__half2Piiii ; -- Begin function _ZL25flash_attn_mask_to_KV_maxILi8EEvPK7__half2Piiii
	.p2align	8
	.type	_ZL25flash_attn_mask_to_KV_maxILi8EEvPK7__half2Piiii,@function
_ZL25flash_attn_mask_to_KV_maxILi8EEvPK7__half2Piiii: ; @_ZL25flash_attn_mask_to_KV_maxILi8EEvPK7__half2Piiii
; %bb.0:
	s_load_b64 s[8:9], s[0:1], 0x0
	s_mov_b32 s2, exec_lo
	v_cmpx_gt_u32_e32 32, v0
; %bb.1:
	v_dual_mov_b32 v2, 1 :: v_dual_lshlrev_b32 v1, 2, v0
	ds_store_b32 v1, v2
; %bb.2:
	s_or_b32 exec_lo, exec_lo, s2
	s_clause 0x2
	s_load_b96 s[4:6], s[0:1], 0x10
	s_load_b64 s[2:3], s[0:1], 0x8
	s_load_b32 s1, s[0:1], 0x20
	v_dual_mov_b32 v2, 0 :: v_dual_and_b32 v1, 31, v0
	v_lshrrev_b32_e32 v5, 3, v0
	s_wait_dscnt 0x0
	s_barrier_signal -1
	s_delay_alu instid0(VALU_DEP_2)
	v_lshlrev_b32_e32 v6, 2, v1
	s_barrier_wait -1
	global_inv scope:SCOPE_SE
	s_wait_kmcnt 0x0
	s_mul_i32 s0, ttmp9, s5
	s_mul_i32 s6, s6, ttmp7
	s_lshl_b32 s0, s0, 3
	s_delay_alu instid0(SALU_CYCLE_1) | instskip(SKIP_2) | instid1(SALU_CYCLE_1)
	s_add_co_i32 s6, s6, s0
	v_cmp_eq_u32_e64 s0, 0, v1
	s_ashr_i32 s7, s6, 31
	s_lshl_b64 s[6:7], s[6:7], 2
	s_delay_alu instid0(SALU_CYCLE_1)
	s_add_nc_u64 s[6:7], s[8:9], s[6:7]
	s_lshl_b32 s8, s4, 8
	s_branch .LBB5_4
.LBB5_3:                                ;   in Loop: Header=BB5_4 Depth=1
	s_wait_alu 0xfffe
	s_or_b32 exec_lo, exec_lo, s9
	s_wait_dscnt 0x0
	s_barrier_signal -1
	s_barrier_wait -1
	global_inv scope:SCOPE_SE
	ds_load_b32 v1, v6
	s_wait_loadcnt_dscnt 0x0
	s_barrier_signal -1
	s_barrier_wait -1
	global_inv scope:SCOPE_SE
	v_cmp_ne_u32_e32 vcc_lo, 0, v1
	s_cmp_lg_u32 vcc_lo, exec_lo
	s_cselect_b32 s9, -1, 0
	s_wait_alu 0xfffe
	s_and_b32 vcc_lo, exec_lo, s9
	s_wait_alu 0xfffe
	s_cbranch_vccnz .LBB5_36
.LBB5_4:                                ; =>This Inner Loop Header: Depth=1
	s_mov_b32 s4, s8
	s_addk_co_i32 s8, 0xff00
	s_wait_alu 0xfffe
	s_cmp_lt_i32 s8, 0
	s_cbranch_scc1 .LBB5_35
; %bb.5:                                ;   in Loop: Header=BB5_4 Depth=1
	s_lshr_b32 s9, s8, 1
	s_wait_alu 0xfffe
	v_add_nc_u32_e32 v1, s9, v0
	s_delay_alu instid0(VALU_DEP_1) | instskip(NEXT) | instid1(VALU_DEP_1)
	v_lshlrev_b64_e32 v[3:4], 2, v[1:2]
	v_add_co_u32 v3, vcc_lo, s6, v3
	s_wait_alu 0xfffd
	s_delay_alu instid0(VALU_DEP_2) | instskip(SKIP_4) | instid1(VALU_DEP_2)
	v_add_co_ci_u32_e64 v4, null, s7, v4, vcc_lo
	global_load_b32 v3, v[3:4], off
	s_wait_loadcnt 0x0
	v_lshrrev_b32_e32 v4, 16, v3
	v_cmp_class_f16_e64 s9, v3, 0x204
	v_cmp_class_f16_e64 s10, v4, 0x204
	s_and_b32 s11, s9, s10
	s_mov_b32 s10, 0
	s_wait_alu 0xfffe
	s_and_saveexec_b32 s9, s11
	s_cbranch_execz .LBB5_33
; %bb.6:                                ;   in Loop: Header=BB5_4 Depth=1
	v_add_nc_u32_e32 v3, s5, v1
	s_mov_b32 s11, 0
	s_delay_alu instid0(VALU_DEP_1) | instskip(NEXT) | instid1(VALU_DEP_1)
	v_ashrrev_i32_e32 v4, 31, v3
	v_lshlrev_b64_e32 v[7:8], 2, v[3:4]
	s_delay_alu instid0(VALU_DEP_1) | instskip(SKIP_1) | instid1(VALU_DEP_2)
	v_add_co_u32 v7, vcc_lo, s6, v7
	s_wait_alu 0xfffd
	v_add_co_ci_u32_e64 v8, null, s7, v8, vcc_lo
	global_load_b32 v1, v[7:8], off
	s_wait_loadcnt 0x0
	v_cmp_class_f16_e64 s12, v1, 0x204
	s_and_saveexec_b32 s10, s12
	s_cbranch_execz .LBB5_32
; %bb.7:                                ;   in Loop: Header=BB5_4 Depth=1
	v_lshrrev_b32_e32 v1, 16, v1
	s_mov_b32 s12, 0
	s_delay_alu instid0(VALU_DEP_1)
	v_cmp_class_f16_e64 s13, v1, 0x204
	s_and_saveexec_b32 s11, s13
	s_cbranch_execz .LBB5_31
; %bb.8:                                ;   in Loop: Header=BB5_4 Depth=1
	v_add_nc_u32_e32 v3, s5, v3
	s_mov_b32 s13, 0
	s_delay_alu instid0(VALU_DEP_1) | instskip(NEXT) | instid1(VALU_DEP_1)
	v_ashrrev_i32_e32 v4, 31, v3
	v_lshlrev_b64_e32 v[7:8], 2, v[3:4]
	s_delay_alu instid0(VALU_DEP_1) | instskip(SKIP_1) | instid1(VALU_DEP_2)
	v_add_co_u32 v7, vcc_lo, s6, v7
	s_wait_alu 0xfffd
	v_add_co_ci_u32_e64 v8, null, s7, v8, vcc_lo
	global_load_b32 v1, v[7:8], off
	s_wait_loadcnt 0x0
	v_cmp_class_f16_e64 s14, v1, 0x204
	s_and_saveexec_b32 s12, s14
	s_cbranch_execz .LBB5_30
; %bb.9:                                ;   in Loop: Header=BB5_4 Depth=1
	v_lshrrev_b32_e32 v1, 16, v1
	s_mov_b32 s14, 0
	s_delay_alu instid0(VALU_DEP_1)
	v_cmp_class_f16_e64 s15, v1, 0x204
	s_and_saveexec_b32 s13, s15
	s_cbranch_execz .LBB5_29
; %bb.10:                               ;   in Loop: Header=BB5_4 Depth=1
	v_add_nc_u32_e32 v3, s5, v3
	s_mov_b32 s15, 0
	s_delay_alu instid0(VALU_DEP_1) | instskip(NEXT) | instid1(VALU_DEP_1)
	v_ashrrev_i32_e32 v4, 31, v3
	v_lshlrev_b64_e32 v[7:8], 2, v[3:4]
	s_delay_alu instid0(VALU_DEP_1) | instskip(SKIP_1) | instid1(VALU_DEP_2)
	v_add_co_u32 v7, vcc_lo, s6, v7
	s_wait_alu 0xfffd
	v_add_co_ci_u32_e64 v8, null, s7, v8, vcc_lo
	global_load_b32 v1, v[7:8], off
	s_wait_loadcnt 0x0
	v_cmp_class_f16_e64 s16, v1, 0x204
	s_and_saveexec_b32 s14, s16
	s_cbranch_execz .LBB5_28
; %bb.11:                               ;   in Loop: Header=BB5_4 Depth=1
	v_lshrrev_b32_e32 v1, 16, v1
	s_mov_b32 s16, 0
	s_delay_alu instid0(VALU_DEP_1)
	v_cmp_class_f16_e64 s17, v1, 0x204
	s_and_saveexec_b32 s15, s17
	s_cbranch_execz .LBB5_27
; %bb.12:                               ;   in Loop: Header=BB5_4 Depth=1
	v_add_nc_u32_e32 v3, s5, v3
	s_mov_b32 s17, 0
	s_delay_alu instid0(VALU_DEP_1) | instskip(NEXT) | instid1(VALU_DEP_1)
	v_ashrrev_i32_e32 v4, 31, v3
	v_lshlrev_b64_e32 v[7:8], 2, v[3:4]
	s_delay_alu instid0(VALU_DEP_1) | instskip(SKIP_1) | instid1(VALU_DEP_2)
	v_add_co_u32 v7, vcc_lo, s6, v7
	s_wait_alu 0xfffd
	v_add_co_ci_u32_e64 v8, null, s7, v8, vcc_lo
	global_load_b32 v1, v[7:8], off
	s_wait_loadcnt 0x0
	v_cmp_class_f16_e64 s18, v1, 0x204
	s_and_saveexec_b32 s16, s18
	s_cbranch_execz .LBB5_26
; %bb.13:                               ;   in Loop: Header=BB5_4 Depth=1
	;; [unrolled: 22-line block ×4, first 2 shown]
	v_lshrrev_b32_e32 v1, 16, v1
	s_mov_b32 s22, 0
	s_delay_alu instid0(VALU_DEP_1)
	v_cmp_class_f16_e64 s23, v1, 0x204
	s_and_saveexec_b32 s21, s23
	s_cbranch_execz .LBB5_21
; %bb.18:                               ;   in Loop: Header=BB5_4 Depth=1
	v_add_nc_u32_e32 v3, s5, v3
	s_delay_alu instid0(VALU_DEP_1) | instskip(NEXT) | instid1(VALU_DEP_1)
	v_ashrrev_i32_e32 v4, 31, v3
	v_lshlrev_b64_e32 v[3:4], 2, v[3:4]
	s_delay_alu instid0(VALU_DEP_1) | instskip(SKIP_1) | instid1(VALU_DEP_2)
	v_add_co_u32 v3, vcc_lo, s6, v3
	s_wait_alu 0xfffd
	v_add_co_ci_u32_e64 v4, null, s7, v4, vcc_lo
	global_load_b32 v1, v[3:4], off
	s_wait_loadcnt 0x0
	v_cmp_class_f16_e64 s24, v1, 0x204
	s_and_saveexec_b32 s23, s24
; %bb.19:                               ;   in Loop: Header=BB5_4 Depth=1
	v_lshrrev_b32_e32 v1, 16, v1
	s_delay_alu instid0(VALU_DEP_1)
	v_cmp_class_f16_e64 s22, v1, 0x204
	s_and_b32 s22, s22, exec_lo
; %bb.20:                               ;   in Loop: Header=BB5_4 Depth=1
	s_or_b32 exec_lo, exec_lo, s23
	s_delay_alu instid0(SALU_CYCLE_1)
	s_and_b32 s22, s22, exec_lo
.LBB5_21:                               ;   in Loop: Header=BB5_4 Depth=1
	s_or_b32 exec_lo, exec_lo, s21
	s_delay_alu instid0(SALU_CYCLE_1)
	s_and_b32 s21, s22, exec_lo
.LBB5_22:                               ;   in Loop: Header=BB5_4 Depth=1
	s_or_b32 exec_lo, exec_lo, s20
	s_delay_alu instid0(SALU_CYCLE_1)
	s_and_b32 s20, s21, exec_lo
.LBB5_23:                               ;   in Loop: Header=BB5_4 Depth=1
	s_or_b32 exec_lo, exec_lo, s19
	s_delay_alu instid0(SALU_CYCLE_1)
	s_and_b32 s19, s20, exec_lo
.LBB5_24:                               ;   in Loop: Header=BB5_4 Depth=1
	s_or_b32 exec_lo, exec_lo, s18
	s_delay_alu instid0(SALU_CYCLE_1)
	s_and_b32 s18, s19, exec_lo
.LBB5_25:                               ;   in Loop: Header=BB5_4 Depth=1
	s_or_b32 exec_lo, exec_lo, s17
	s_delay_alu instid0(SALU_CYCLE_1)
	s_and_b32 s17, s18, exec_lo
.LBB5_26:                               ;   in Loop: Header=BB5_4 Depth=1
	s_or_b32 exec_lo, exec_lo, s16
	s_delay_alu instid0(SALU_CYCLE_1)
	s_and_b32 s16, s17, exec_lo
.LBB5_27:                               ;   in Loop: Header=BB5_4 Depth=1
	s_or_b32 exec_lo, exec_lo, s15
	s_delay_alu instid0(SALU_CYCLE_1)
	s_and_b32 s15, s16, exec_lo
.LBB5_28:                               ;   in Loop: Header=BB5_4 Depth=1
	s_or_b32 exec_lo, exec_lo, s14
	s_delay_alu instid0(SALU_CYCLE_1)
	s_and_b32 s14, s15, exec_lo
.LBB5_29:                               ;   in Loop: Header=BB5_4 Depth=1
	s_or_b32 exec_lo, exec_lo, s13
	s_delay_alu instid0(SALU_CYCLE_1)
	s_and_b32 s13, s14, exec_lo
.LBB5_30:                               ;   in Loop: Header=BB5_4 Depth=1
	s_or_b32 exec_lo, exec_lo, s12
	s_delay_alu instid0(SALU_CYCLE_1)
	s_and_b32 s12, s13, exec_lo
.LBB5_31:                               ;   in Loop: Header=BB5_4 Depth=1
	s_wait_alu 0xfffe
	s_or_b32 exec_lo, exec_lo, s11
	s_delay_alu instid0(SALU_CYCLE_1)
	s_and_b32 s11, s12, exec_lo
.LBB5_32:                               ;   in Loop: Header=BB5_4 Depth=1
	s_wait_alu 0xfffe
	s_or_b32 exec_lo, exec_lo, s10
	s_delay_alu instid0(SALU_CYCLE_1)
	s_and_b32 s10, s11, exec_lo
.LBB5_33:                               ;   in Loop: Header=BB5_4 Depth=1
	s_wait_alu 0xfffe
	s_or_b32 exec_lo, exec_lo, s9
	v_cndmask_b32_e64 v1, 0, 1, s10
	s_mov_b32 s11, exec_lo
	s_delay_alu instid0(VALU_DEP_1)
	v_cmp_ne_u32_e32 vcc_lo, 0, v1
	s_and_saveexec_b32 s9, s0
	s_cbranch_execz .LBB5_3
; %bb.34:                               ;   in Loop: Header=BB5_4 Depth=1
	s_wait_alu 0xfffe
	s_cmp_eq_u32 vcc_lo, s11
	s_cselect_b32 s10, -1, 0
	s_wait_alu 0xfffe
	v_cndmask_b32_e64 v1, 0, 1, s10
	ds_store_b32 v5, v1
	s_branch .LBB5_3
.LBB5_35:                               ;   in Loop: Header=BB5_4 Depth=1
	s_cbranch_execz .LBB5_4
.LBB5_36:
	s_mov_b32 s0, exec_lo
	v_cmpx_eq_u32_e32 0, v0
	s_cbranch_execz .LBB5_38
; %bb.37:
	s_mul_i32 s0, s1, ttmp7
	v_dual_mov_b32 v0, 0 :: v_dual_mov_b32 v1, s4
	s_add_co_i32 s0, s0, ttmp9
	s_delay_alu instid0(SALU_CYCLE_1) | instskip(NEXT) | instid1(SALU_CYCLE_1)
	s_ashr_i32 s1, s0, 31
	s_lshl_b64 s[0:1], s[0:1], 2
	s_delay_alu instid0(SALU_CYCLE_1)
	s_add_nc_u64 s[0:1], s[2:3], s[0:1]
	global_store_b32 v0, v1, s[0:1]
.LBB5_38:
	s_endpgm
	.section	.rodata,"a",@progbits
	.p2align	6, 0x0
	.amdhsa_kernel _ZL25flash_attn_mask_to_KV_maxILi8EEvPK7__half2Piiii
		.amdhsa_group_segment_fixed_size 128
		.amdhsa_private_segment_fixed_size 0
		.amdhsa_kernarg_size 288
		.amdhsa_user_sgpr_count 2
		.amdhsa_user_sgpr_dispatch_ptr 0
		.amdhsa_user_sgpr_queue_ptr 0
		.amdhsa_user_sgpr_kernarg_segment_ptr 1
		.amdhsa_user_sgpr_dispatch_id 0
		.amdhsa_user_sgpr_private_segment_size 0
		.amdhsa_wavefront_size32 1
		.amdhsa_uses_dynamic_stack 0
		.amdhsa_enable_private_segment 0
		.amdhsa_system_sgpr_workgroup_id_x 1
		.amdhsa_system_sgpr_workgroup_id_y 1
		.amdhsa_system_sgpr_workgroup_id_z 0
		.amdhsa_system_sgpr_workgroup_info 0
		.amdhsa_system_vgpr_workitem_id 0
		.amdhsa_next_free_vgpr 9
		.amdhsa_next_free_sgpr 25
		.amdhsa_reserve_vcc 1
		.amdhsa_float_round_mode_32 0
		.amdhsa_float_round_mode_16_64 0
		.amdhsa_float_denorm_mode_32 3
		.amdhsa_float_denorm_mode_16_64 3
		.amdhsa_fp16_overflow 0
		.amdhsa_workgroup_processor_mode 1
		.amdhsa_memory_ordered 1
		.amdhsa_forward_progress 1
		.amdhsa_inst_pref_size 12
		.amdhsa_round_robin_scheduling 0
		.amdhsa_exception_fp_ieee_invalid_op 0
		.amdhsa_exception_fp_denorm_src 0
		.amdhsa_exception_fp_ieee_div_zero 0
		.amdhsa_exception_fp_ieee_overflow 0
		.amdhsa_exception_fp_ieee_underflow 0
		.amdhsa_exception_fp_ieee_inexact 0
		.amdhsa_exception_int_div_zero 0
	.end_amdhsa_kernel
	.section	.text._ZL25flash_attn_mask_to_KV_maxILi8EEvPK7__half2Piiii,"axG",@progbits,_ZL25flash_attn_mask_to_KV_maxILi8EEvPK7__half2Piiii,comdat
.Lfunc_end5:
	.size	_ZL25flash_attn_mask_to_KV_maxILi8EEvPK7__half2Piiii, .Lfunc_end5-_ZL25flash_attn_mask_to_KV_maxILi8EEvPK7__half2Piiii
                                        ; -- End function
	.set _ZL25flash_attn_mask_to_KV_maxILi8EEvPK7__half2Piiii.num_vgpr, 9
	.set _ZL25flash_attn_mask_to_KV_maxILi8EEvPK7__half2Piiii.num_agpr, 0
	.set _ZL25flash_attn_mask_to_KV_maxILi8EEvPK7__half2Piiii.numbered_sgpr, 25
	.set _ZL25flash_attn_mask_to_KV_maxILi8EEvPK7__half2Piiii.num_named_barrier, 0
	.set _ZL25flash_attn_mask_to_KV_maxILi8EEvPK7__half2Piiii.private_seg_size, 0
	.set _ZL25flash_attn_mask_to_KV_maxILi8EEvPK7__half2Piiii.uses_vcc, 1
	.set _ZL25flash_attn_mask_to_KV_maxILi8EEvPK7__half2Piiii.uses_flat_scratch, 0
	.set _ZL25flash_attn_mask_to_KV_maxILi8EEvPK7__half2Piiii.has_dyn_sized_stack, 0
	.set _ZL25flash_attn_mask_to_KV_maxILi8EEvPK7__half2Piiii.has_recursion, 0
	.set _ZL25flash_attn_mask_to_KV_maxILi8EEvPK7__half2Piiii.has_indirect_call, 0
	.section	.AMDGPU.csdata,"",@progbits
; Kernel info:
; codeLenInByte = 1456
; TotalNumSgprs: 27
; NumVgprs: 9
; ScratchSize: 0
; MemoryBound: 0
; FloatMode: 240
; IeeeMode: 1
; LDSByteSize: 128 bytes/workgroup (compile time only)
; SGPRBlocks: 0
; VGPRBlocks: 1
; NumSGPRsForWavesPerEU: 27
; NumVGPRsForWavesPerEU: 9
; Occupancy: 16
; WaveLimiterHint : 0
; COMPUTE_PGM_RSRC2:SCRATCH_EN: 0
; COMPUTE_PGM_RSRC2:USER_SGPR: 2
; COMPUTE_PGM_RSRC2:TRAP_HANDLER: 0
; COMPUTE_PGM_RSRC2:TGID_X_EN: 1
; COMPUTE_PGM_RSRC2:TGID_Y_EN: 1
; COMPUTE_PGM_RSRC2:TGID_Z_EN: 0
; COMPUTE_PGM_RSRC2:TIDIG_COMP_CNT: 0
	.section	.text._ZL33flash_attn_stream_k_fixup_uniformILi64ELi8ELi2EEvPfPK15HIP_vector_typeIfLj2EEiiiiiiS1_IjLj3EES5_S5_,"axG",@progbits,_ZL33flash_attn_stream_k_fixup_uniformILi64ELi8ELi2EEvPfPK15HIP_vector_typeIfLj2EEiiiiiiS1_IjLj3EES5_S5_,comdat
	.globl	_ZL33flash_attn_stream_k_fixup_uniformILi64ELi8ELi2EEvPfPK15HIP_vector_typeIfLj2EEiiiiiiS1_IjLj3EES5_S5_ ; -- Begin function _ZL33flash_attn_stream_k_fixup_uniformILi64ELi8ELi2EEvPfPK15HIP_vector_typeIfLj2EEiiiiiiS1_IjLj3EES5_S5_
	.p2align	8
	.type	_ZL33flash_attn_stream_k_fixup_uniformILi64ELi8ELi2EEvPfPK15HIP_vector_typeIfLj2EEiiiiiiS1_IjLj3EES5_S5_,@function
_ZL33flash_attn_stream_k_fixup_uniformILi64ELi8ELi2EEvPfPK15HIP_vector_typeIfLj2EEiiiiiiS1_IjLj3EES5_S5_: ; @_ZL33flash_attn_stream_k_fixup_uniformILi64ELi8ELi2EEvPfPK15HIP_vector_typeIfLj2EEiiiiiiS1_IjLj3EES5_S5_
; %bb.0:
	s_clause 0x1
	s_load_b256 s[4:11], s[0:1], 0x1c
	s_load_b128 s[12:15], s[0:1], 0x3c
	s_wait_kmcnt 0x0
	s_mul_hi_u32 s2, s7, ttmp9
	s_delay_alu instid0(SALU_CYCLE_1) | instskip(NEXT) | instid1(SALU_CYCLE_1)
	s_add_co_i32 s2, ttmp9, s2
	s_lshr_b32 s2, s2, s8
	s_delay_alu instid0(SALU_CYCLE_1) | instskip(SKIP_2) | instid1(SALU_CYCLE_1)
	s_mul_i32 s3, s2, s9
	s_load_b64 s[8:9], s[0:1], 0x10
	s_sub_co_i32 s7, ttmp9, s3
	s_mul_hi_u32 s3, s7, s10
	s_delay_alu instid0(SALU_CYCLE_1) | instskip(NEXT) | instid1(SALU_CYCLE_1)
	s_add_co_i32 s3, s7, s3
	s_lshr_b32 s3, s3, s11
	s_delay_alu instid0(SALU_CYCLE_1) | instskip(NEXT) | instid1(SALU_CYCLE_1)
	s_mul_i32 s10, s3, s12
	s_sub_co_i32 s7, s7, s10
	s_delay_alu instid0(SALU_CYCLE_1) | instskip(NEXT) | instid1(SALU_CYCLE_1)
	s_mul_hi_u32 s10, s7, s13
	s_add_co_i32 s10, s7, s10
	s_delay_alu instid0(SALU_CYCLE_1) | instskip(NEXT) | instid1(SALU_CYCLE_1)
	s_lshr_b32 s12, s10, s14
	s_mul_i32 s10, s12, s15
	s_lshl_b32 s12, s12, 1
	s_sub_co_i32 s11, s7, s10
	s_and_b32 s7, ttmp7, 0xffff
	s_lshl_b32 s13, s11, 3
	s_lshr_b32 s10, ttmp7, 16
	s_add_co_i32 s13, s13, s7
	s_wait_kmcnt 0x0
	s_cmp_lt_i32 s13, s8
	s_cselect_b32 s13, -1, 0
	s_add_co_i32 s14, s12, s10
	s_delay_alu instid0(SALU_CYCLE_1) | instskip(SKIP_1) | instid1(SALU_CYCLE_1)
	s_cmp_lt_i32 s14, s5
	s_cselect_b32 s14, -1, 0
	s_and_b32 s13, s13, s14
	s_delay_alu instid0(SALU_CYCLE_1)
	s_and_not1_b32 vcc_lo, exec_lo, s13
	s_cbranch_vccnz .LBB6_6
; %bb.1:
	s_mul_i32 s2, s2, s8
	s_mul_i32 s5, s3, s5
	s_add_co_i32 s2, s2, s7
	s_delay_alu instid0(SALU_CYCLE_1) | instskip(NEXT) | instid1(SALU_CYCLE_1)
	s_mul_i32 s2, s2, s9
	s_add_co_i32 s8, s2, s10
	s_load_b128 s[0:3], s[0:1], 0x0
	s_add_co_i32 s5, s8, s5
	s_mul_i32 s8, s9, s11
	s_add_co_i32 s5, s5, s12
	s_lshl_b32 s8, s8, 9
	s_lshl_b32 s5, s5, 6
	s_delay_alu instid0(SALU_CYCLE_1)
	s_add_co_i32 s8, s8, s5
	s_lshl_b32 s5, s7, 1
	v_or_b32_e32 v1, s8, v0
	s_mul_i32 s8, s6, ttmp9
	s_wait_alu 0xfffe
	s_add_co_i32 s9, s8, s6
	s_wait_alu 0xfffe
	s_add_co_i32 s12, s9, -2
	v_ashrrev_i32_e32 v2, 31, v1
	s_delay_alu instid0(VALU_DEP_1) | instskip(SKIP_1) | instid1(VALU_DEP_1)
	v_lshlrev_b64_e32 v[1:2], 2, v[1:2]
	s_wait_kmcnt 0x0
	v_add_co_u32 v1, vcc_lo, s0, v1
	s_delay_alu instid0(VALU_DEP_1)
	v_add_co_ci_u32_e64 v2, null, s1, v2, vcc_lo
	s_add_co_i32 s0, s5, s10
	s_lshl_b32 s1, s9, 4
	global_load_b32 v5, v[1:2], off
	s_wait_alu 0xfffe
	s_add_co_i32 s0, s0, s1
	s_wait_alu 0xfffe
	s_add_co_i32 s0, s0, -16
	s_wait_alu 0xfffe
	s_ashr_i32 s1, s0, 31
	s_wait_alu 0xfffe
	s_lshl_b64 s[0:1], s[0:1], 3
	s_cmp_lt_i32 s12, s8
	s_wait_alu 0xfffe
	s_add_nc_u64 s[0:1], s[2:3], s[0:1]
	s_load_b32 s11, s[0:1], 0x4
	s_cbranch_scc1 .LBB6_4
; %bb.2:
	s_load_b32 s0, s[0:1], 0x0
	s_add_co_i32 s13, ttmp9, 1
	s_lshl_b32 s12, s4, 6
	s_mul_i32 s1, s6, s13
	s_lshl_b32 s6, s7, 7
	s_lshl_b32 s7, s10, 6
	s_wait_alu 0xfffe
	s_lshl_b32 s14, s1, 10
	s_add_co_i32 s6, s7, s6
	s_lshl_b32 s1, s1, 4
	s_add_co_i32 s14, s6, s14
	s_wait_alu 0xfffe
	s_add_co_i32 s1, s10, s1
	v_or_b32_e32 v0, s14, v0
	s_lshl_b32 s4, s4, 4
	s_ashr_i32 s13, s12, 31
	s_wait_alu 0xfffe
	s_add_co_i32 s1, s1, s4
	s_wait_kmcnt 0x0
	v_dual_mov_b32 v6, s11 :: v_dual_add_nc_u32 v3, 0xfffff800, v0
	s_lshl_b64 s[6:7], s[12:13], 2
	s_wait_alu 0xfffe
	s_add_co_i32 s4, s1, s5
	s_add_nc_u64 s[6:7], s[2:3], s[6:7]
	s_add_co_i32 s1, s9, -1
	s_sub_co_i32 s4, s4, 32
.LBB6_3:                                ; =>This Inner Loop Header: Depth=1
	v_ashrrev_i32_e32 v4, 31, v3
	s_ashr_i32 s5, s4, 31
	v_mov_b32_e32 v10, v6
	s_lshl_b64 s[10:11], s[4:5], 3
	s_wait_loadcnt 0x0
	v_mov_b32_e32 v9, v5
	v_lshlrev_b64_e32 v[7:8], 2, v[3:4]
	s_wait_alu 0xfffe
	s_add_nc_u64 s[10:11], s[2:3], s[10:11]
	v_max_num_f32_e64 v4, s0, s0
	s_load_b64 s[10:11], s[10:11], 0x0
	v_add_nc_u32_e32 v3, 0xfffffc00, v3
	v_add_co_u32 v7, vcc_lo, s6, v7
	s_wait_alu 0xfffd
	v_add_co_ci_u32_e64 v8, null, s7, v8, vcc_lo
	v_readfirstlane_b32 s5, v4
	global_load_b32 v0, v[7:8], off
	s_wait_kmcnt 0x0
	v_max_num_f32_e64 v4, s10, s10
	s_delay_alu instid0(VALU_DEP_1) | instskip(SKIP_1) | instid1(SALU_CYCLE_3)
	v_readfirstlane_b32 s9, v4
	s_max_num_f32 s5, s5, s9
	s_sub_f32 s0, s0, s5
	s_sub_f32 s9, s10, s5
	s_wait_alu 0xfffe
	s_delay_alu instid0(SALU_CYCLE_1) | instskip(NEXT) | instid1(SALU_CYCLE_1)
	s_mul_f32 s10, s0, 0x3fb8aa3b
	s_mul_f32 s12, s9, 0x3fb8aa3b
	s_wait_alu 0xfffe
	s_delay_alu instid0(SALU_CYCLE_1)
	s_xor_b32 s13, s10, 0x80000000
	s_rndne_f32 s14, s10
	s_fmamk_f32 s13, s0, 0x3fb8aa3b, s13
	s_cmp_nlt_f32 s0, 0xc2ce8ed0
	s_rndne_f32 s15, s12
	s_wait_alu 0xfffe
	s_sub_f32 s10, s10, s14
	s_fmamk_f32 s13, s0, 0x32a5705f, s13
	s_cvt_i32_f32 s14, s14
	s_cselect_b32 vcc_lo, -1, 0
	s_cmp_ngt_f32 s0, 0x42b17218
	s_wait_alu 0xfffe
	s_add_f32 s10, s10, s13
	s_sub_f32 s13, s12, s15
	s_wait_alu 0xfffe
	s_delay_alu instid0(SALU_CYCLE_1) | instskip(SKIP_1) | instid1(TRANS32_DEP_1)
	v_s_exp_f32 s10, s10
	s_wait_alu 0xf1ff
	v_ldexp_f32 v4, s10, s14
	s_cvt_i32_f32 s10, s15
	s_delay_alu instid0(VALU_DEP_1) | instskip(SKIP_3) | instid1(VALU_DEP_1)
	v_cndmask_b32_e32 v4, 0, v4, vcc_lo
	s_cselect_b32 vcc_lo, -1, 0
	s_cmp_ge_f32 s0, 0xc1a00000
	s_wait_alu 0xfffe
	v_cndmask_b32_e32 v4, 0x7f800000, v4, vcc_lo
	s_cselect_b32 vcc_lo, -1, 0
	s_xor_b32 s0, s12, 0x80000000
	s_cmp_nlt_f32 s9, 0xc2ce8ed0
	s_wait_alu 0xfffe
	s_fmamk_f32 s0, s9, 0x3fb8aa3b, s0
	s_wait_alu 0xfffe
	s_delay_alu instid0(SALU_CYCLE_2) | instskip(SKIP_1) | instid1(SALU_CYCLE_2)
	s_fmamk_f32 s0, s9, 0x32a5705f, s0
	s_wait_alu 0xfffe
	s_add_f32 s0, s13, s0
	s_wait_alu 0xfffe
	s_delay_alu instid0(SALU_CYCLE_2) | instskip(SKIP_1) | instid1(TRANS32_DEP_1)
	v_s_exp_f32 s0, s0
	s_wait_alu 0xf1ff
	v_ldexp_f32 v7, s0, s10
	s_cselect_b32 s0, -1, 0
	s_cmp_ngt_f32 s9, 0x42b17218
	s_wait_alu 0xfffe
	s_delay_alu instid0(VALU_DEP_1) | instskip(SKIP_3) | instid1(VALU_DEP_1)
	v_cndmask_b32_e64 v7, 0, v7, s0
	s_cselect_b32 s0, -1, 0
	s_cmp_ge_f32 s9, 0xc1a00000
	s_wait_alu 0xfffe
	v_cndmask_b32_e64 v7, 0x7f800000, v7, s0
	s_cselect_b32 s0, -1, 0
	s_add_co_i32 s1, s1, -1
	s_add_co_i32 s4, s4, -16
	s_wait_alu 0xfffe
	s_cmp_le_i32 s1, s8
	v_cndmask_b32_e64 v7, 0, v7, s0
	s_mov_b32 s0, s5
	s_wait_loadcnt 0x0
	s_delay_alu instid0(VALU_DEP_1) | instskip(NEXT) | instid1(VALU_DEP_1)
	v_dual_mul_f32 v5, v0, v7 :: v_dual_cndmask_b32 v4, 0, v4
	v_dual_mul_f32 v8, s11, v7 :: v_dual_fmac_f32 v5, v9, v4
	s_delay_alu instid0(VALU_DEP_1) | instskip(NEXT) | instid1(VALU_DEP_1)
	v_mov_b32_e32 v6, v8
	v_fmac_f32_e32 v6, v10, v4
	s_cbranch_scc0 .LBB6_3
	s_branch .LBB6_5
.LBB6_4:
	s_wait_kmcnt 0x0
	v_mov_b32_e32 v6, s11
.LBB6_5:
	s_wait_loadcnt 0x0
	s_delay_alu instid0(VALU_DEP_1) | instskip(NEXT) | instid1(VALU_DEP_1)
	v_div_scale_f32 v0, null, v6, v6, v5
	v_rcp_f32_e32 v3, v0
	s_delay_alu instid0(TRANS32_DEP_1) | instskip(NEXT) | instid1(VALU_DEP_1)
	v_fma_f32 v4, -v0, v3, 1.0
	v_fmac_f32_e32 v3, v4, v3
	v_div_scale_f32 v4, vcc_lo, v5, v6, v5
	s_delay_alu instid0(VALU_DEP_1) | instskip(NEXT) | instid1(VALU_DEP_1)
	v_mul_f32_e32 v7, v4, v3
	v_fma_f32 v8, -v0, v7, v4
	s_delay_alu instid0(VALU_DEP_1) | instskip(NEXT) | instid1(VALU_DEP_1)
	v_fmac_f32_e32 v7, v8, v3
	v_fma_f32 v0, -v0, v7, v4
	s_wait_alu 0xfffd
	s_delay_alu instid0(VALU_DEP_1) | instskip(NEXT) | instid1(VALU_DEP_1)
	v_div_fmas_f32 v0, v0, v3, v7
	v_div_fixup_f32 v0, v0, v6, v5
	global_store_b32 v[1:2], v0, off
.LBB6_6:
	s_endpgm
	.section	.rodata,"a",@progbits
	.p2align	6, 0x0
	.amdhsa_kernel _ZL33flash_attn_stream_k_fixup_uniformILi64ELi8ELi2EEvPfPK15HIP_vector_typeIfLj2EEiiiiiiS1_IjLj3EES5_S5_
		.amdhsa_group_segment_fixed_size 0
		.amdhsa_private_segment_fixed_size 0
		.amdhsa_kernarg_size 76
		.amdhsa_user_sgpr_count 2
		.amdhsa_user_sgpr_dispatch_ptr 0
		.amdhsa_user_sgpr_queue_ptr 0
		.amdhsa_user_sgpr_kernarg_segment_ptr 1
		.amdhsa_user_sgpr_dispatch_id 0
		.amdhsa_user_sgpr_private_segment_size 0
		.amdhsa_wavefront_size32 1
		.amdhsa_uses_dynamic_stack 0
		.amdhsa_enable_private_segment 0
		.amdhsa_system_sgpr_workgroup_id_x 1
		.amdhsa_system_sgpr_workgroup_id_y 1
		.amdhsa_system_sgpr_workgroup_id_z 1
		.amdhsa_system_sgpr_workgroup_info 0
		.amdhsa_system_vgpr_workitem_id 0
		.amdhsa_next_free_vgpr 11
		.amdhsa_next_free_sgpr 16
		.amdhsa_reserve_vcc 1
		.amdhsa_float_round_mode_32 0
		.amdhsa_float_round_mode_16_64 0
		.amdhsa_float_denorm_mode_32 3
		.amdhsa_float_denorm_mode_16_64 3
		.amdhsa_fp16_overflow 0
		.amdhsa_workgroup_processor_mode 1
		.amdhsa_memory_ordered 1
		.amdhsa_forward_progress 1
		.amdhsa_inst_pref_size 9
		.amdhsa_round_robin_scheduling 0
		.amdhsa_exception_fp_ieee_invalid_op 0
		.amdhsa_exception_fp_denorm_src 0
		.amdhsa_exception_fp_ieee_div_zero 0
		.amdhsa_exception_fp_ieee_overflow 0
		.amdhsa_exception_fp_ieee_underflow 0
		.amdhsa_exception_fp_ieee_inexact 0
		.amdhsa_exception_int_div_zero 0
	.end_amdhsa_kernel
	.section	.text._ZL33flash_attn_stream_k_fixup_uniformILi64ELi8ELi2EEvPfPK15HIP_vector_typeIfLj2EEiiiiiiS1_IjLj3EES5_S5_,"axG",@progbits,_ZL33flash_attn_stream_k_fixup_uniformILi64ELi8ELi2EEvPfPK15HIP_vector_typeIfLj2EEiiiiiiS1_IjLj3EES5_S5_,comdat
.Lfunc_end6:
	.size	_ZL33flash_attn_stream_k_fixup_uniformILi64ELi8ELi2EEvPfPK15HIP_vector_typeIfLj2EEiiiiiiS1_IjLj3EES5_S5_, .Lfunc_end6-_ZL33flash_attn_stream_k_fixup_uniformILi64ELi8ELi2EEvPfPK15HIP_vector_typeIfLj2EEiiiiiiS1_IjLj3EES5_S5_
                                        ; -- End function
	.set _ZL33flash_attn_stream_k_fixup_uniformILi64ELi8ELi2EEvPfPK15HIP_vector_typeIfLj2EEiiiiiiS1_IjLj3EES5_S5_.num_vgpr, 11
	.set _ZL33flash_attn_stream_k_fixup_uniformILi64ELi8ELi2EEvPfPK15HIP_vector_typeIfLj2EEiiiiiiS1_IjLj3EES5_S5_.num_agpr, 0
	.set _ZL33flash_attn_stream_k_fixup_uniformILi64ELi8ELi2EEvPfPK15HIP_vector_typeIfLj2EEiiiiiiS1_IjLj3EES5_S5_.numbered_sgpr, 16
	.set _ZL33flash_attn_stream_k_fixup_uniformILi64ELi8ELi2EEvPfPK15HIP_vector_typeIfLj2EEiiiiiiS1_IjLj3EES5_S5_.num_named_barrier, 0
	.set _ZL33flash_attn_stream_k_fixup_uniformILi64ELi8ELi2EEvPfPK15HIP_vector_typeIfLj2EEiiiiiiS1_IjLj3EES5_S5_.private_seg_size, 0
	.set _ZL33flash_attn_stream_k_fixup_uniformILi64ELi8ELi2EEvPfPK15HIP_vector_typeIfLj2EEiiiiiiS1_IjLj3EES5_S5_.uses_vcc, 1
	.set _ZL33flash_attn_stream_k_fixup_uniformILi64ELi8ELi2EEvPfPK15HIP_vector_typeIfLj2EEiiiiiiS1_IjLj3EES5_S5_.uses_flat_scratch, 0
	.set _ZL33flash_attn_stream_k_fixup_uniformILi64ELi8ELi2EEvPfPK15HIP_vector_typeIfLj2EEiiiiiiS1_IjLj3EES5_S5_.has_dyn_sized_stack, 0
	.set _ZL33flash_attn_stream_k_fixup_uniformILi64ELi8ELi2EEvPfPK15HIP_vector_typeIfLj2EEiiiiiiS1_IjLj3EES5_S5_.has_recursion, 0
	.set _ZL33flash_attn_stream_k_fixup_uniformILi64ELi8ELi2EEvPfPK15HIP_vector_typeIfLj2EEiiiiiiS1_IjLj3EES5_S5_.has_indirect_call, 0
	.section	.AMDGPU.csdata,"",@progbits
; Kernel info:
; codeLenInByte = 1140
; TotalNumSgprs: 18
; NumVgprs: 11
; ScratchSize: 0
; MemoryBound: 0
; FloatMode: 240
; IeeeMode: 1
; LDSByteSize: 0 bytes/workgroup (compile time only)
; SGPRBlocks: 0
; VGPRBlocks: 1
; NumSGPRsForWavesPerEU: 18
; NumVGPRsForWavesPerEU: 11
; Occupancy: 16
; WaveLimiterHint : 0
; COMPUTE_PGM_RSRC2:SCRATCH_EN: 0
; COMPUTE_PGM_RSRC2:USER_SGPR: 2
; COMPUTE_PGM_RSRC2:TRAP_HANDLER: 0
; COMPUTE_PGM_RSRC2:TGID_X_EN: 1
; COMPUTE_PGM_RSRC2:TGID_Y_EN: 1
; COMPUTE_PGM_RSRC2:TGID_Z_EN: 1
; COMPUTE_PGM_RSRC2:TIDIG_COMP_CNT: 0
	.section	.text._ZL33flash_attn_stream_k_fixup_generalILi64ELi8ELi2EEvPfPK15HIP_vector_typeIfLj2EEiiiiS1_IjLj3EES5_S5_S5_,"axG",@progbits,_ZL33flash_attn_stream_k_fixup_generalILi64ELi8ELi2EEvPfPK15HIP_vector_typeIfLj2EEiiiiS1_IjLj3EES5_S5_S5_,comdat
	.globl	_ZL33flash_attn_stream_k_fixup_generalILi64ELi8ELi2EEvPfPK15HIP_vector_typeIfLj2EEiiiiS1_IjLj3EES5_S5_S5_ ; -- Begin function _ZL33flash_attn_stream_k_fixup_generalILi64ELi8ELi2EEvPfPK15HIP_vector_typeIfLj2EEiiiiS1_IjLj3EES5_S5_S5_
	.p2align	8
	.type	_ZL33flash_attn_stream_k_fixup_generalILi64ELi8ELi2EEvPfPK15HIP_vector_typeIfLj2EEiiiiS1_IjLj3EES5_S5_S5_,@function
_ZL33flash_attn_stream_k_fixup_generalILi64ELi8ELi2EEvPfPK15HIP_vector_typeIfLj2EEiiiiS1_IjLj3EES5_S5_S5_: ; @_ZL33flash_attn_stream_k_fixup_generalILi64ELi8ELi2EEvPfPK15HIP_vector_typeIfLj2EEiiiiS1_IjLj3EES5_S5_S5_
; %bb.0:
	s_clause 0x1
	s_load_b128 s[4:7], s[0:1], 0x10
	s_load_b32 s16, s[0:1], 0x50
	s_mov_b32 s2, ttmp9
	s_ashr_i32 s3, ttmp9, 31
	s_mov_b32 s17, 0
	s_delay_alu instid0(SALU_CYCLE_1) | instskip(SKIP_3) | instid1(SALU_CYCLE_1)
	s_mov_b32 s8, s17
	s_wait_kmcnt 0x0
	s_ashr_i32 s19, s7, 31
	s_mov_b32 s18, s7
	s_mul_u64 s[2:3], s[18:19], s[2:3]
	s_delay_alu instid0(SALU_CYCLE_1) | instskip(NEXT) | instid1(SALU_CYCLE_1)
	s_mov_b32 s9, s3
	s_cmp_lg_u64 s[8:9], 0
	s_cbranch_scc0 .LBB7_21
; %bb.1:
	s_add_nc_u64 s[8:9], s[16:17], 0
	s_mov_b32 s15, s17
	s_xor_b64 s[8:9], s[8:9], 0
	s_mov_b32 s23, s17
	s_cvt_f32_u32 s7, s8
	s_cvt_f32_u32 s10, s9
	s_sub_nc_u64 s[12:13], 0, s[8:9]
	s_delay_alu instid0(SALU_CYCLE_2) | instskip(NEXT) | instid1(SALU_CYCLE_3)
	s_fmamk_f32 s7, s10, 0x4f800000, s7
	v_s_rcp_f32 s7, s7
	s_delay_alu instid0(TRANS32_DEP_1) | instskip(SKIP_1) | instid1(SALU_CYCLE_2)
	s_mul_f32 s7, s7, 0x5f7ffffc
	s_wait_alu 0xfffe
	s_mul_f32 s10, s7, 0x2f800000
	s_delay_alu instid0(SALU_CYCLE_3) | instskip(NEXT) | instid1(SALU_CYCLE_3)
	s_trunc_f32 s10, s10
	s_fmamk_f32 s7, s10, 0xcf800000, s7
	s_cvt_u32_f32 s11, s10
	s_wait_alu 0xfffe
	s_delay_alu instid0(SALU_CYCLE_1) | instskip(NEXT) | instid1(SALU_CYCLE_3)
	s_cvt_u32_f32 s10, s7
	s_mul_u64 s[20:21], s[12:13], s[10:11]
	s_delay_alu instid0(SALU_CYCLE_1)
	s_mul_hi_u32 s25, s10, s21
	s_mul_i32 s24, s10, s21
	s_mul_hi_u32 s14, s10, s20
	s_mul_i32 s22, s11, s20
	s_add_nc_u64 s[14:15], s[14:15], s[24:25]
	s_mul_hi_u32 s7, s11, s20
	s_mul_hi_u32 s26, s11, s21
	s_add_co_u32 s14, s14, s22
	s_wait_alu 0xfffe
	s_add_co_ci_u32 s22, s15, s7
	s_mul_i32 s20, s11, s21
	s_add_co_ci_u32 s21, s26, 0
	s_delay_alu instid0(SALU_CYCLE_1)
	s_add_nc_u64 s[14:15], s[22:23], s[20:21]
	s_mov_b32 s21, s17
	s_add_co_u32 s10, s10, s14
	s_cselect_b32 s7, -1, 0
	s_wait_alu 0xfffe
	s_cmp_lg_u32 s7, 0
	s_add_co_ci_u32 s11, s11, s15
	s_mov_b32 s15, s17
	s_mul_u64 s[12:13], s[12:13], s[10:11]
	s_delay_alu instid0(SALU_CYCLE_1)
	s_mul_hi_u32 s23, s10, s13
	s_mul_i32 s22, s10, s13
	s_mul_hi_u32 s14, s10, s12
	s_mul_i32 s20, s11, s12
	s_add_nc_u64 s[14:15], s[14:15], s[22:23]
	s_mul_hi_u32 s7, s11, s12
	s_mul_hi_u32 s24, s11, s13
	s_mul_i32 s12, s11, s13
	s_add_co_u32 s13, s14, s20
	s_wait_alu 0xfffe
	s_add_co_ci_u32 s20, s15, s7
	s_add_co_ci_u32 s13, s24, 0
	s_mov_b32 s15, s17
	s_add_nc_u64 s[12:13], s[20:21], s[12:13]
	s_delay_alu instid0(SALU_CYCLE_1) | instskip(SKIP_1) | instid1(SALU_CYCLE_1)
	s_add_co_u32 s7, s10, s12
	s_cselect_b32 s10, -1, 0
	s_cmp_lg_u32 s10, 0
	s_add_co_ci_u32 s20, s11, s13
	s_ashr_i32 s10, s3, 31
	s_delay_alu instid0(SALU_CYCLE_1) | instskip(NEXT) | instid1(SALU_CYCLE_1)
	s_mov_b32 s11, s10
	s_add_nc_u64 s[12:13], s[2:3], s[10:11]
	s_delay_alu instid0(SALU_CYCLE_1) | instskip(NEXT) | instid1(SALU_CYCLE_1)
	s_xor_b64 s[12:13], s[12:13], s[10:11]
	s_mul_hi_u32 s23, s12, s20
	s_mul_i32 s22, s12, s20
	s_wait_alu 0xfffe
	s_mul_hi_u32 s14, s12, s7
	s_mul_hi_u32 s24, s13, s7
	s_mul_i32 s7, s13, s7
	s_add_nc_u64 s[14:15], s[14:15], s[22:23]
	s_mul_hi_u32 s3, s13, s20
	s_wait_alu 0xfffe
	s_add_co_u32 s7, s14, s7
	s_mul_i32 s22, s13, s20
	s_add_co_ci_u32 s20, s15, s24
	s_add_co_ci_u32 s23, s3, 0
	s_delay_alu instid0(SALU_CYCLE_1) | instskip(NEXT) | instid1(SALU_CYCLE_1)
	s_add_nc_u64 s[14:15], s[20:21], s[22:23]
	s_mul_u64 s[20:21], s[8:9], s[14:15]
	s_delay_alu instid0(SALU_CYCLE_1)
	s_sub_co_u32 s3, s12, s20
	s_cselect_b32 s7, -1, 0
	s_sub_co_i32 s12, s13, s21
	s_wait_alu 0xfffe
	s_cmp_lg_u32 s7, 0
	s_sub_co_ci_u32 s12, s12, s9
	s_sub_co_u32 s20, s3, s8
	s_cselect_b32 s22, -1, 0
	s_delay_alu instid0(SALU_CYCLE_1) | instskip(SKIP_2) | instid1(SALU_CYCLE_1)
	s_cmp_lg_u32 s22, 0
	s_add_nc_u64 s[22:23], s[14:15], 1
	s_sub_co_ci_u32 s12, s12, 0
	s_cmp_ge_u32 s12, s9
	s_cselect_b32 s24, -1, 0
	s_cmp_ge_u32 s20, s8
	s_cselect_b32 s20, -1, 0
	s_cmp_eq_u32 s12, s9
	s_cselect_b32 s12, s20, s24
	s_add_nc_u64 s[24:25], s[14:15], 2
	s_cmp_lg_u32 s12, 0
	s_cselect_b32 s12, s24, s22
	s_cselect_b32 s20, s25, s23
	s_cmp_lg_u32 s7, 0
	s_sub_co_ci_u32 s7, s13, s21
	s_wait_alu 0xfffe
	s_cmp_ge_u32 s7, s9
	s_cselect_b32 s13, -1, 0
	s_cmp_ge_u32 s3, s8
	s_cselect_b32 s3, -1, 0
	s_cmp_eq_u32 s7, s9
	s_cselect_b32 s3, s3, s13
	s_delay_alu instid0(SALU_CYCLE_1) | instskip(SKIP_4) | instid1(SALU_CYCLE_1)
	s_cmp_lg_u32 s3, 0
	s_mov_b32 s3, s17
	s_cselect_b32 s9, s20, s15
	s_cselect_b32 s8, s12, s14
	s_xor_b64 s[10:11], s[10:11], 0
	s_xor_b64 s[8:9], s[8:9], s[10:11]
	s_delay_alu instid0(SALU_CYCLE_1)
	s_sub_nc_u64 s[20:21], s[8:9], s[10:11]
	s_and_not1_b32 vcc_lo, exec_lo, s3
	s_cbranch_vccnz .LBB7_3
.LBB7_2:
	v_cvt_f32_u32_e32 v1, s16
	s_sub_co_i32 s7, 0, s16
	s_delay_alu instid0(VALU_DEP_1) | instskip(NEXT) | instid1(TRANS32_DEP_1)
	v_rcp_iflag_f32_e32 v1, v1
	v_mul_f32_e32 v1, 0x4f7ffffe, v1
	s_delay_alu instid0(VALU_DEP_1) | instskip(NEXT) | instid1(VALU_DEP_1)
	v_cvt_u32_f32_e32 v1, v1
	v_readfirstlane_b32 s3, v1
	s_wait_alu 0xfffe
	s_mul_i32 s7, s7, s3
	s_wait_alu 0xfffe
	s_mul_hi_u32 s7, s3, s7
	s_wait_alu 0xfffe
	s_add_co_i32 s3, s3, s7
	s_delay_alu instid0(SALU_CYCLE_1) | instskip(NEXT) | instid1(SALU_CYCLE_1)
	s_mul_hi_u32 s3, s2, s3
	s_mul_i32 s7, s3, s16
	s_wait_alu 0xfffe
	s_sub_co_i32 s2, s2, s7
	s_add_co_i32 s7, s3, 1
	s_sub_co_i32 s8, s2, s16
	s_cmp_ge_u32 s2, s16
	s_wait_alu 0xfffe
	s_cselect_b32 s3, s7, s3
	s_cselect_b32 s2, s8, s2
	s_add_co_i32 s7, s3, 1
	s_cmp_ge_u32 s2, s16
	s_wait_alu 0xfffe
	s_cselect_b32 s20, s7, s3
.LBB7_3:
	s_add_co_i32 s2, ttmp9, 1
	s_mov_b32 s8, 0
	s_ashr_i32 s3, s2, 31
	s_delay_alu instid0(SALU_CYCLE_1) | instskip(NEXT) | instid1(SALU_CYCLE_1)
	s_mul_u64 s[2:3], s[18:19], s[2:3]
	s_mov_b32 s9, s3
	s_delay_alu instid0(SALU_CYCLE_1)
	s_cmp_lg_u64 s[8:9], 0
	s_cbranch_scc0 .LBB7_22
; %bb.4:
	s_add_nc_u64 s[10:11], s[16:17], 0
	s_mov_b32 s23, s8
	s_xor_b64 s[10:11], s[10:11], 0
	s_mov_b32 s27, s8
	s_cvt_f32_u32 s7, s10
	s_cvt_f32_u32 s9, s11
	s_sub_nc_u64 s[14:15], 0, s[10:11]
	s_wait_alu 0xfffe
	s_delay_alu instid0(SALU_CYCLE_1) | instskip(SKIP_1) | instid1(SALU_CYCLE_2)
	s_fmamk_f32 s7, s9, 0x4f800000, s7
	s_wait_alu 0xfffe
	v_s_rcp_f32 s7, s7
	s_delay_alu instid0(TRANS32_DEP_1) | instskip(SKIP_1) | instid1(SALU_CYCLE_2)
	s_mul_f32 s7, s7, 0x5f7ffffc
	s_wait_alu 0xfffe
	s_mul_f32 s9, s7, 0x2f800000
	s_delay_alu instid0(SALU_CYCLE_3) | instskip(NEXT) | instid1(SALU_CYCLE_3)
	s_trunc_f32 s9, s9
	s_fmamk_f32 s7, s9, 0xcf800000, s7
	s_cvt_u32_f32 s13, s9
	s_wait_alu 0xfffe
	s_delay_alu instid0(SALU_CYCLE_1) | instskip(NEXT) | instid1(SALU_CYCLE_3)
	s_cvt_u32_f32 s12, s7
	s_mul_u64 s[24:25], s[14:15], s[12:13]
	s_delay_alu instid0(SALU_CYCLE_1)
	s_mul_hi_u32 s29, s12, s25
	s_mul_i32 s28, s12, s25
	s_mul_hi_u32 s22, s12, s24
	s_mul_i32 s9, s13, s24
	s_add_nc_u64 s[22:23], s[22:23], s[28:29]
	s_mul_hi_u32 s7, s13, s24
	s_mul_hi_u32 s21, s13, s25
	s_add_co_u32 s9, s22, s9
	s_wait_alu 0xfffe
	s_add_co_ci_u32 s26, s23, s7
	s_mul_i32 s24, s13, s25
	s_add_co_ci_u32 s25, s21, 0
	s_delay_alu instid0(SALU_CYCLE_1)
	s_add_nc_u64 s[22:23], s[26:27], s[24:25]
	s_mov_b32 s25, s8
	s_add_co_u32 s12, s12, s22
	s_cselect_b32 s7, -1, 0
	s_wait_alu 0xfffe
	s_cmp_lg_u32 s7, 0
	s_add_co_ci_u32 s13, s13, s23
	s_mov_b32 s23, s8
	s_mul_u64 s[14:15], s[14:15], s[12:13]
	s_delay_alu instid0(SALU_CYCLE_1)
	s_mul_hi_u32 s27, s12, s15
	s_mul_i32 s26, s12, s15
	s_mul_hi_u32 s22, s12, s14
	s_mul_i32 s9, s13, s14
	s_add_nc_u64 s[22:23], s[22:23], s[26:27]
	s_mul_hi_u32 s7, s13, s14
	s_mul_hi_u32 s21, s13, s15
	s_add_co_u32 s9, s22, s9
	s_wait_alu 0xfffe
	s_add_co_ci_u32 s24, s23, s7
	s_mul_i32 s14, s13, s15
	s_add_co_ci_u32 s15, s21, 0
	s_mov_b32 s23, s8
	s_add_nc_u64 s[14:15], s[24:25], s[14:15]
	s_delay_alu instid0(SALU_CYCLE_1) | instskip(SKIP_1) | instid1(SALU_CYCLE_1)
	s_add_co_u32 s7, s12, s14
	s_cselect_b32 s9, -1, 0
	s_cmp_lg_u32 s9, 0
	s_add_co_ci_u32 s9, s13, s15
	s_ashr_i32 s12, s3, 31
	s_delay_alu instid0(SALU_CYCLE_1) | instskip(NEXT) | instid1(SALU_CYCLE_1)
	s_mov_b32 s13, s12
	s_add_nc_u64 s[14:15], s[2:3], s[12:13]
	s_delay_alu instid0(SALU_CYCLE_1) | instskip(NEXT) | instid1(SALU_CYCLE_1)
	s_xor_b64 s[14:15], s[14:15], s[12:13]
	s_mul_hi_u32 s27, s14, s9
	s_mul_i32 s26, s14, s9
	s_wait_alu 0xfffe
	s_mul_hi_u32 s22, s14, s7
	s_mul_hi_u32 s21, s15, s7
	s_mul_i32 s7, s15, s7
	s_add_nc_u64 s[22:23], s[22:23], s[26:27]
	s_mul_hi_u32 s3, s15, s9
	s_wait_alu 0xfffe
	s_add_co_u32 s7, s22, s7
	s_add_co_ci_u32 s24, s23, s21
	s_mul_i32 s26, s15, s9
	s_add_co_ci_u32 s27, s3, 0
	s_delay_alu instid0(SALU_CYCLE_1) | instskip(NEXT) | instid1(SALU_CYCLE_1)
	s_add_nc_u64 s[22:23], s[24:25], s[26:27]
	s_mul_u64 s[24:25], s[10:11], s[22:23]
	s_add_nc_u64 s[26:27], s[22:23], 1
	s_sub_co_u32 s3, s14, s24
	s_cselect_b32 s7, -1, 0
	s_sub_co_i32 s9, s15, s25
	s_wait_alu 0xfffe
	s_cmp_lg_u32 s7, 0
	s_add_nc_u64 s[28:29], s[22:23], 2
	s_sub_co_ci_u32 s9, s9, s11
	s_sub_co_u32 s14, s3, s10
	s_cselect_b32 s21, -1, 0
	s_delay_alu instid0(SALU_CYCLE_1) | instskip(SKIP_1) | instid1(SALU_CYCLE_1)
	s_cmp_lg_u32 s21, 0
	s_sub_co_ci_u32 s9, s9, 0
	s_cmp_ge_u32 s9, s11
	s_cselect_b32 s21, -1, 0
	s_cmp_ge_u32 s14, s10
	s_cselect_b32 s14, -1, 0
	s_cmp_eq_u32 s9, s11
	s_cselect_b32 s9, s14, s21
	s_delay_alu instid0(SALU_CYCLE_1)
	s_cmp_lg_u32 s9, 0
	s_cselect_b32 s9, s28, s26
	s_cselect_b32 s14, s29, s27
	s_cmp_lg_u32 s7, 0
	s_sub_co_ci_u32 s7, s15, s25
	s_wait_alu 0xfffe
	s_cmp_ge_u32 s7, s11
	s_cselect_b32 s15, -1, 0
	s_cmp_ge_u32 s3, s10
	s_cselect_b32 s3, -1, 0
	s_cmp_eq_u32 s7, s11
	s_cselect_b32 s3, s3, s15
	s_delay_alu instid0(SALU_CYCLE_1) | instskip(SKIP_3) | instid1(SALU_CYCLE_1)
	s_cmp_lg_u32 s3, 0
	s_cselect_b32 s11, s14, s23
	s_cselect_b32 s10, s9, s22
	s_xor_b64 s[12:13], s[12:13], 0
	s_xor_b64 s[10:11], s[10:11], s[12:13]
	s_delay_alu instid0(SALU_CYCLE_1)
	s_sub_nc_u64 s[10:11], s[10:11], s[12:13]
	s_load_b96 s[12:14], s[0:1], 0x44
	s_and_not1_b32 vcc_lo, exec_lo, s8
	s_cbranch_vccnz .LBB7_6
.LBB7_5:
	v_cvt_f32_u32_e32 v1, s16
	s_sub_co_i32 s7, 0, s16
	s_delay_alu instid0(VALU_DEP_1) | instskip(NEXT) | instid1(TRANS32_DEP_1)
	v_rcp_iflag_f32_e32 v1, v1
	v_mul_f32_e32 v1, 0x4f7ffffe, v1
	s_delay_alu instid0(VALU_DEP_1) | instskip(NEXT) | instid1(VALU_DEP_1)
	v_cvt_u32_f32_e32 v1, v1
	v_readfirstlane_b32 s3, v1
	s_wait_alu 0xfffe
	s_mul_i32 s7, s7, s3
	s_wait_alu 0xfffe
	s_mul_hi_u32 s7, s3, s7
	s_wait_alu 0xfffe
	s_add_co_i32 s3, s3, s7
	s_delay_alu instid0(SALU_CYCLE_1) | instskip(NEXT) | instid1(SALU_CYCLE_1)
	s_mul_hi_u32 s3, s2, s3
	s_mul_i32 s7, s3, s16
	s_wait_alu 0xfffe
	s_sub_co_i32 s2, s2, s7
	s_add_co_i32 s7, s3, 1
	s_sub_co_i32 s8, s2, s16
	s_cmp_ge_u32 s2, s16
	s_wait_alu 0xfffe
	s_cselect_b32 s3, s7, s3
	s_cselect_b32 s2, s8, s2
	s_add_co_i32 s7, s3, 1
	s_cmp_ge_u32 s2, s16
	s_wait_alu 0xfffe
	s_cselect_b32 s10, s7, s3
.LBB7_6:
	s_mov_b32 s21, 0
	s_wait_kmcnt 0x0
	s_mov_b32 s22, s12
	s_mov_b32 s23, s21
	s_cmp_eq_u32 s20, s10
	s_mul_u64 s[2:3], s[20:21], s[22:23]
	s_cselect_b32 s7, -1, 0
	s_add_co_i32 s2, s3, s20
	s_mov_b32 s11, s21
	s_lshr_b32 s12, s2, s13
	s_mul_u64 s[2:3], s[10:11], s[22:23]
	s_mul_i32 s2, s12, s14
	s_delay_alu instid0(SALU_CYCLE_1) | instskip(SKIP_2) | instid1(SALU_CYCLE_1)
	s_cmp_eq_u32 s2, s20
	s_cselect_b32 s2, -1, 0
	s_add_co_i32 s3, s3, s10
	s_lshr_b32 s3, s3, s13
	s_delay_alu instid0(SALU_CYCLE_1)
	s_cmp_eq_u32 s12, s3
	s_mul_i32 s3, s3, s14
	s_cselect_b32 s8, -1, 0
	s_cmp_lg_u32 s3, s10
	s_cselect_b32 s3, -1, 0
	s_wait_alu 0xfffe
	s_or_b32 s2, s7, s2
	s_and_b32 s3, s8, s3
	s_delay_alu instid0(SALU_CYCLE_1) | instskip(NEXT) | instid1(SALU_CYCLE_1)
	s_or_b32 s2, s2, s3
	s_and_b32 vcc_lo, exec_lo, s2
	s_cbranch_vccnz .LBB7_24
; %bb.7:
	s_load_b256 s[24:31], s[0:1], 0x20
	s_mov_b32 s3, s21
	s_wait_kmcnt 0x0
	s_mov_b32 s2, s24
	s_delay_alu instid0(SALU_CYCLE_1) | instskip(NEXT) | instid1(SALU_CYCLE_1)
	s_mul_u64 s[2:3], s[20:21], s[2:3]
	s_add_co_i32 s2, s3, s20
	s_delay_alu instid0(SALU_CYCLE_1) | instskip(SKIP_2) | instid1(SALU_CYCLE_1)
	s_lshr_b32 s7, s2, s25
	s_load_b32 s2, s[0:1], 0x40
	s_mul_i32 s3, s7, s26
	s_sub_co_i32 s3, s20, s3
	s_delay_alu instid0(SALU_CYCLE_1) | instskip(NEXT) | instid1(SALU_CYCLE_1)
	s_mul_hi_u32 s8, s3, s27
	s_add_co_i32 s8, s3, s8
	s_delay_alu instid0(SALU_CYCLE_1) | instskip(NEXT) | instid1(SALU_CYCLE_1)
	s_lshr_b32 s8, s8, s28
	s_mul_i32 s9, s8, s29
	s_delay_alu instid0(SALU_CYCLE_1) | instskip(NEXT) | instid1(SALU_CYCLE_1)
	s_sub_co_i32 s9, s3, s9
	s_mul_hi_u32 s3, s9, s30
	s_delay_alu instid0(SALU_CYCLE_1) | instskip(NEXT) | instid1(SALU_CYCLE_1)
	s_add_co_i32 s3, s9, s3
	s_lshr_b32 s24, s3, s31
	s_mov_b32 s3, s21
	s_wait_kmcnt 0x0
	s_mul_i32 s2, s24, s2
	s_lshl_b32 s21, s24, 1
	s_sub_co_i32 s2, s9, s2
	s_delay_alu instid0(SALU_CYCLE_1) | instskip(SKIP_2) | instid1(SALU_CYCLE_1)
	s_mul_u64 s[10:11], s[2:3], s[22:23]
	s_lshr_b32 s3, ttmp7, 16
	s_add_co_i32 s2, s2, s11
	s_lshr_b32 s15, s2, s13
	s_and_b32 s2, ttmp7, 0xffff
	s_lshl_b32 s9, s15, 3
	s_delay_alu instid0(SALU_CYCLE_1) | instskip(NEXT) | instid1(SALU_CYCLE_1)
	s_add_co_i32 s9, s9, s2
	s_cmp_lt_i32 s9, s4
	s_cselect_b32 s9, -1, 0
	s_add_co_i32 s10, s21, s3
	s_delay_alu instid0(SALU_CYCLE_1) | instskip(SKIP_1) | instid1(SALU_CYCLE_1)
	s_cmp_lt_i32 s10, s6
	s_cselect_b32 s10, -1, 0
	s_and_b32 s9, s9, s10
	s_delay_alu instid0(SALU_CYCLE_1)
	s_and_not1_b32 vcc_lo, exec_lo, s9
	s_cbranch_vccnz .LBB7_24
; %bb.8:
	s_mul_i32 s4, s7, s4
	s_mul_i32 s6, s8, s6
	s_add_co_i32 s4, s4, s2
	s_load_b128 s[8:11], s[0:1], 0x0
	s_mul_i32 s4, s4, s5
	s_mul_i32 s1, s5, s15
	s_add_co_i32 s4, s4, s3
	s_lshl_b32 s1, s1, 9
	s_add_co_i32 s0, s4, s6
	s_lshl_b32 s15, s2, 1
	s_add_co_i32 s0, s0, s21
	s_add_co_i32 s15, s15, s3
	s_lshl_b32 s0, s0, 6
	v_cvt_f32_u32_e32 v4, s16
	s_add_co_i32 s1, s1, s0
	s_add_co_i32 s34, ttmp9, -1
	v_or_b32_e32 v1, s1, v0
	s_add_nc_u64 s[0:1], s[16:17], 0
	v_rcp_iflag_f32_e32 v4, v4
	s_wait_alu 0xfffe
	s_xor_b64 s[6:7], s[0:1], 0
	s_lshl_b32 s0, ttmp9, 4
	v_ashrrev_i32_e32 v2, 31, v1
	s_wait_alu 0xfffe
	s_cvt_f32_u32 s1, s6
	s_cvt_f32_u32 s2, s7
	s_add_co_i32 s0, s15, s0
	v_lshl_or_b32 v0, s15, 6, v0
	v_lshlrev_b64_e32 v[1:2], 2, v[1:2]
	s_wait_alu 0xfffe
	s_fmamk_f32 s2, s2, 0x4f800000, s1
	s_ashr_i32 s1, s0, 31
	s_sub_nc_u64 s[30:31], 0, s[6:7]
	s_wait_alu 0xfffe
	s_lshl_b64 s[0:1], s[0:1], 3
	v_s_rcp_f32 s2, s2
	s_wait_kmcnt 0x0
	v_add_co_u32 v1, vcc_lo, s8, v1
	s_delay_alu instid0(VALU_DEP_1)
	v_add_co_ci_u32_e64 v2, null, s9, v2, vcc_lo
	s_wait_alu 0xfffe
	s_add_nc_u64 s[0:1], s[10:11], s[0:1]
	s_mov_b32 s8, 0
	s_load_b64 s[26:27], s[0:1], 0x0
	global_load_b32 v3, v[1:2], off
	s_mul_f32 s2, s2, 0x5f7ffffc
	v_mul_f32_e32 v4, 0x4f7ffffe, v4
	s_lshl_b32 s0, s16, 6
	s_wait_alu 0xfffe
	s_mul_f32 s1, s2, 0x2f800000
	s_wait_alu 0xfffe
	s_delay_alu instid0(SALU_CYCLE_2)
	s_trunc_f32 s3, s1
	s_mov_b32 s1, s8
	s_wait_alu 0xfffe
	s_lshl_b64 s[0:1], s[0:1], 2
	s_fmamk_f32 s2, s3, 0xcf800000, s2
	s_cvt_u32_f32 s29, s3
	s_wait_alu 0xfffe
	s_add_nc_u64 s[24:25], s[10:11], s[0:1]
	s_cvt_u32_f32 s28, s2
	s_wait_kmcnt 0x0
	v_mov_b32_e32 v5, s27
	v_cvt_u32_f32_e32 v4, v4
.LBB7_9:                                ; =>This Inner Loop Header: Depth=1
	s_wait_alu 0xfffe
	s_ashr_i32 s35, s34, 31
	s_mov_b32 s2, -1
	s_wait_alu 0xfffe
	s_mul_u64 s[0:1], s[34:35], s[18:19]
                                        ; implicit-def: $sgpr38_sgpr39
	s_wait_alu 0xfffe
	s_mov_b32 s9, s1
	s_wait_alu 0xfffe
	s_cmp_lg_u64 s[8:9], 0
	s_cbranch_scc0 .LBB7_11
; %bb.10:                               ;   in Loop: Header=BB7_9 Depth=1
	s_mul_u64 s[2:3], s[30:31], s[28:29]
	s_mov_b32 s37, s8
	s_wait_alu 0xfffe
	s_mul_hi_u32 s5, s28, s3
	s_mul_i32 s4, s28, s3
	s_mul_hi_u32 s36, s28, s2
	s_mul_hi_u32 s9, s29, s2
	s_wait_alu 0xfffe
	s_add_nc_u64 s[4:5], s[36:37], s[4:5]
	s_mul_i32 s2, s29, s2
	s_mul_hi_u32 s17, s29, s3
	s_wait_alu 0xfffe
	s_add_co_u32 s2, s4, s2
	s_add_co_ci_u32 s2, s5, s9
	s_add_co_ci_u32 s5, s17, 0
	s_mul_i32 s4, s29, s3
	s_mov_b32 s3, s8
	s_mov_b32 s39, s8
	s_wait_alu 0xfffe
	s_add_nc_u64 s[2:3], s[2:3], s[4:5]
	s_wait_alu 0xfffe
	s_add_co_u32 s2, s28, s2
	s_cselect_b32 s4, -1, 0
	s_wait_alu 0xfffe
	s_cmp_lg_u32 s4, 0
	s_add_co_ci_u32 s3, s29, s3
	s_wait_alu 0xfffe
	s_mul_u64 s[4:5], s[30:31], s[2:3]
	s_wait_alu 0xfffe
	s_mul_hi_u32 s37, s2, s5
	s_mul_i32 s36, s2, s5
	s_mul_hi_u32 s38, s2, s4
	s_mul_hi_u32 s9, s3, s4
	s_mul_i32 s4, s3, s4
	s_wait_alu 0xfffe
	s_add_nc_u64 s[36:37], s[38:39], s[36:37]
	s_mul_hi_u32 s17, s3, s5
	s_wait_alu 0xfffe
	s_add_co_u32 s4, s36, s4
	s_add_co_ci_u32 s4, s37, s9
	s_add_co_ci_u32 s37, s17, 0
	s_mul_i32 s36, s3, s5
	s_mov_b32 s5, s8
	s_wait_alu 0xfffe
	s_add_nc_u64 s[4:5], s[4:5], s[36:37]
	s_mov_b32 s37, s8
	s_wait_alu 0xfffe
	s_add_co_u32 s9, s2, s4
	s_cselect_b32 s2, -1, 0
	s_wait_alu 0xfffe
	s_cmp_lg_u32 s2, 0
	s_add_co_ci_u32 s17, s3, s5
	s_ashr_i32 s2, s1, 31
	s_wait_alu 0xfffe
	s_mov_b32 s3, s2
	s_wait_alu 0xfffe
	s_add_nc_u64 s[4:5], s[0:1], s[2:3]
	s_wait_alu 0xfffe
	s_xor_b64 s[4:5], s[4:5], s[2:3]
	s_wait_alu 0xfffe
	s_mul_hi_u32 s39, s4, s17
	s_mul_i32 s38, s4, s17
	s_mul_hi_u32 s36, s4, s9
	s_mul_i32 s21, s5, s9
	s_wait_alu 0xfffe
	s_add_nc_u64 s[36:37], s[36:37], s[38:39]
	s_mul_hi_u32 s9, s5, s9
	s_mul_hi_u32 s1, s5, s17
	s_wait_alu 0xfffe
	s_add_co_u32 s21, s36, s21
	s_add_co_ci_u32 s36, s37, s9
	s_add_co_ci_u32 s39, s1, 0
	s_mul_i32 s38, s5, s17
	s_mov_b32 s37, s8
	s_wait_alu 0xfffe
	s_add_nc_u64 s[36:37], s[36:37], s[38:39]
	s_wait_alu 0xfffe
	s_mul_u64 s[38:39], s[6:7], s[36:37]
	s_add_nc_u64 s[40:41], s[36:37], 1
	s_sub_co_u32 s1, s4, s38
	s_cselect_b32 s4, -1, 0
	s_sub_co_i32 s9, s5, s39
	s_wait_alu 0xfffe
	s_cmp_lg_u32 s4, 0
	s_add_nc_u64 s[42:43], s[36:37], 2
	s_sub_co_ci_u32 s9, s9, s7
	s_sub_co_u32 s17, s1, s6
	s_cselect_b32 s21, -1, 0
	s_delay_alu instid0(SALU_CYCLE_1)
	s_cmp_lg_u32 s21, 0
	s_wait_alu 0xfffe
	s_sub_co_ci_u32 s9, s9, 0
	s_wait_alu 0xfffe
	s_cmp_ge_u32 s9, s7
	s_cselect_b32 s21, -1, 0
	s_cmp_ge_u32 s17, s6
	s_cselect_b32 s17, -1, 0
	s_cmp_eq_u32 s9, s7
	s_wait_alu 0xfffe
	s_cselect_b32 s9, s17, s21
	s_wait_alu 0xfffe
	s_cmp_lg_u32 s9, 0
	s_cselect_b32 s9, s42, s40
	s_cselect_b32 s17, s43, s41
	s_cmp_lg_u32 s4, 0
	s_sub_co_ci_u32 s4, s5, s39
	s_wait_alu 0xfffe
	s_cmp_ge_u32 s4, s7
	s_cselect_b32 s5, -1, 0
	s_cmp_ge_u32 s1, s6
	s_cselect_b32 s1, -1, 0
	s_cmp_eq_u32 s4, s7
	s_wait_alu 0xfffe
	s_cselect_b32 s1, s1, s5
	s_wait_alu 0xfffe
	s_cmp_lg_u32 s1, 0
	s_cselect_b32 s5, s17, s37
	s_cselect_b32 s4, s9, s36
	s_xor_b64 s[2:3], s[2:3], 0
	s_wait_alu 0xfffe
	s_xor_b64 s[4:5], s[4:5], s[2:3]
	s_wait_alu 0xfffe
	s_sub_nc_u64 s[38:39], s[4:5], s[2:3]
	s_mov_b32 s2, 0
.LBB7_11:                               ;   in Loop: Header=BB7_9 Depth=1
	s_wait_alu 0xfffe
	s_and_not1_b32 vcc_lo, exec_lo, s2
	s_wait_alu 0xfffe
	s_cbranch_vccnz .LBB7_13
; %bb.12:                               ;   in Loop: Header=BB7_9 Depth=1
	v_readfirstlane_b32 s1, v4
	s_sub_co_i32 s2, 0, s16
	s_wait_alu 0xfffe
	s_mul_i32 s2, s2, s1
	s_wait_alu 0xfffe
	s_mul_hi_u32 s2, s1, s2
	s_wait_alu 0xfffe
	s_add_co_i32 s1, s1, s2
	s_wait_alu 0xfffe
	s_mul_hi_u32 s1, s0, s1
	s_wait_alu 0xfffe
	s_mul_i32 s2, s1, s16
	s_wait_alu 0xfffe
	s_sub_co_i32 s0, s0, s2
	s_add_co_i32 s2, s1, 1
	s_wait_alu 0xfffe
	s_sub_co_i32 s3, s0, s16
	s_cmp_ge_u32 s0, s16
	s_cselect_b32 s1, s2, s1
	s_wait_alu 0xfffe
	s_cselect_b32 s0, s3, s0
	s_add_co_i32 s2, s1, 1
	s_wait_alu 0xfffe
	s_cmp_ge_u32 s0, s16
	s_cselect_b32 s38, s2, s1
.LBB7_13:                               ;   in Loop: Header=BB7_9 Depth=1
	v_readfirstlane_b32 s9, v0
	s_cmp_lg_u32 s20, s38
	s_mov_b32 s0, -1
                                        ; implicit-def: $sgpr21
                                        ; implicit-def: $vgpr6
                                        ; implicit-def: $vgpr7
                                        ; implicit-def: $sgpr17
                                        ; implicit-def: $sgpr27
	s_cbranch_scc1 .LBB7_16
; %bb.14:                               ;   in Loop: Header=BB7_9 Depth=1
	s_wait_alu 0xfffe
	s_and_not1_b32 vcc_lo, exec_lo, s0
	s_wait_alu 0xfffe
	s_cbranch_vccz .LBB7_19
.LBB7_15:                               ;   in Loop: Header=BB7_9 Depth=1
	s_and_not1_b32 vcc_lo, exec_lo, s21
	s_wait_alu 0xfffe
	s_cbranch_vccnz .LBB7_20
	s_branch .LBB7_23
.LBB7_16:                               ;   in Loop: Header=BB7_9 Depth=1
	s_add_co_i32 s0, s34, s16
	s_mov_b32 s1, s8
	s_wait_alu 0xfffe
	s_lshl_b32 s0, s0, 4
	v_max_num_f32_e64 v6, s26, s26
	s_wait_alu 0xfffe
	s_add_co_i32 s0, s0, s15
	s_mov_b32 s39, s8
	s_wait_alu 0xfffe
	s_lshl_b64 s[0:1], s[0:1], 3
	s_mul_u64 s[40:41], s[38:39], s[22:23]
	s_wait_alu 0xfffe
	s_add_nc_u64 s[0:1], s[10:11], s[0:1]
	s_mov_b32 s27, s20
	s_load_b64 s[36:37], s[0:1], 0x0
	v_readfirstlane_b32 s0, v6
	s_wait_kmcnt 0x0
	v_max_num_f32_e64 v7, s36, s36
	s_delay_alu instid0(VALU_DEP_1) | instskip(SKIP_2) | instid1(SALU_CYCLE_2)
	v_readfirstlane_b32 s1, v7
	s_max_num_f32 s9, s0, s1
	s_wait_alu 0xfffe
	s_sub_f32 s33, s26, s9
	s_sub_f32 s35, s36, s9
	s_wait_alu 0xfffe
	s_delay_alu instid0(SALU_CYCLE_1)
	s_cmp_nlt_f32 s33, 0xc2ce8ed0
	s_cselect_b32 s0, -1, 0
	s_cmp_ngt_f32 s33, 0x42b17218
	s_cselect_b32 s1, -1, 0
	s_cmp_ge_f32 s33, 0xc1a00000
	s_cselect_b32 s2, -1, 0
	s_cmp_nlt_f32 s35, 0xc2ce8ed0
	s_cselect_b32 s3, -1, 0
	s_cmp_ngt_f32 s35, 0x42b17218
	s_cselect_b32 s4, -1, 0
	s_cmp_ge_f32 s35, 0xc1a00000
	s_cselect_b32 s5, -1, 0
	s_add_co_i32 s17, s41, s38
	s_wait_alu 0xfffe
	s_lshr_b32 s17, s17, s13
	s_wait_alu 0xfffe
	s_mul_i32 s21, s17, s14
	s_delay_alu instid0(SALU_CYCLE_1)
	s_cmp_eq_u32 s21, s38
	s_cselect_b32 s21, -1, 0
	s_cmp_lt_u32 s17, s12
	s_cselect_b32 s17, -1, 0
	s_wait_alu 0xfffe
	s_or_b32 s17, s17, s21
	s_mov_b32 s21, -1
	s_wait_alu 0xfffe
	s_and_b32 vcc_lo, exec_lo, s17
	s_mov_b32 s17, s34
	s_wait_alu 0xfffe
	s_cbranch_vccnz .LBB7_18
; %bb.17:                               ;   in Loop: Header=BB7_9 Depth=1
	s_add_co_i32 s17, s34, -1
	s_mov_b32 s21, 0
	s_mov_b32 s27, s38
.LBB7_18:                               ;   in Loop: Header=BB7_9 Depth=1
	v_lshl_add_u32 v6, s34, 10, v0
	s_mul_f32 s36, s35, 0x3fb8aa3b
	s_mul_f32 s38, s33, 0x3fb8aa3b
	s_wait_alu 0xfffe
	s_delay_alu instid0(SALU_CYCLE_1)
	s_xor_b32 s39, s36, 0x80000000
	v_ashrrev_i32_e32 v7, 31, v6
	s_rndne_f32 s40, s36
	s_fmamk_f32 s39, s35, 0x3fb8aa3b, s39
	s_xor_b32 s41, s38, 0x80000000
	s_rndne_f32 s42, s38
	v_lshlrev_b64_e32 v[6:7], 2, v[6:7]
	s_sub_f32 s36, s36, s40
	s_fmamk_f32 s35, s35, 0x32a5705f, s39
	s_fmamk_f32 s39, s33, 0x3fb8aa3b, s41
	s_sub_f32 s38, s38, s42
	s_delay_alu instid0(VALU_DEP_1)
	v_add_co_u32 v6, vcc_lo, s24, v6
	s_wait_alu 0xfffd
	v_add_co_ci_u32_e64 v7, null, s25, v7, vcc_lo
	s_wait_alu 0xfffe
	s_add_f32 s35, s36, s35
	s_fmamk_f32 s33, s33, 0x32a5705f, s39
	s_cvt_i32_f32 s36, s40
	global_load_b32 v6, v[6:7], off
	s_wait_alu 0xfffe
	v_s_exp_f32 s35, s35
	s_add_f32 s33, s38, s33
	s_wait_alu 0xfffe
	s_delay_alu instid0(SALU_CYCLE_2) | instskip(NEXT) | instid1(TRANS32_DEP_2)
	v_s_exp_f32 s33, s33
	v_ldexp_f32 v7, s35, s36
	s_cvt_i32_f32 s35, s42
	s_wait_alu 0xf1fe
	s_delay_alu instid0(TRANS32_DEP_1) | instid1(SALU_CYCLE_2)
	v_ldexp_f32 v8, s33, s35
	s_delay_alu instid0(VALU_DEP_2) | instskip(NEXT) | instid1(VALU_DEP_2)
	v_cndmask_b32_e64 v7, 0, v7, s3
	v_cndmask_b32_e64 v8, 0, v8, s0
	s_delay_alu instid0(VALU_DEP_2) | instskip(NEXT) | instid1(VALU_DEP_2)
	v_cndmask_b32_e64 v7, 0x7f800000, v7, s4
	v_cndmask_b32_e64 v8, 0x7f800000, v8, s1
	;; [unrolled: 3-line block ×3, first 2 shown]
	s_wait_loadcnt 0x0
	s_delay_alu instid0(VALU_DEP_2) | instskip(SKIP_1) | instid1(VALU_DEP_1)
	v_mul_f32_e32 v6, v6, v7
	v_mul_f32_e32 v7, s37, v7
	v_fmac_f32_e32 v7, v5, v8
	s_delay_alu instid0(VALU_DEP_3)
	v_fmac_f32_e32 v6, v3, v8
	s_cbranch_execnz .LBB7_15
.LBB7_19:                               ;   in Loop: Header=BB7_9 Depth=1
	s_wait_loadcnt 0x0
	v_dual_mov_b32 v7, v5 :: v_dual_mov_b32 v6, v3
	s_add_co_i32 s17, s34, -1
	s_mov_b32 s27, s20
	s_mov_b32 s9, s26
	s_cbranch_execz .LBB7_23
.LBB7_20:                               ;   in Loop: Header=BB7_9 Depth=1
	v_mov_b32_e32 v5, v7
	s_wait_loadcnt 0x0
	v_mov_b32_e32 v3, v6
	s_wait_alu 0xfffe
	s_mov_b32 s20, s27
	s_mov_b32 s34, s17
	;; [unrolled: 1-line block ×3, first 2 shown]
	s_branch .LBB7_9
.LBB7_21:
                                        ; implicit-def: $sgpr20_sgpr21
	s_branch .LBB7_2
.LBB7_22:
                                        ; implicit-def: $sgpr10_sgpr11
	s_load_b96 s[12:14], s[0:1], 0x44
	s_branch .LBB7_5
.LBB7_23:
	v_div_scale_f32 v0, null, v7, v7, v6
	s_wait_loadcnt 0x0
	s_delay_alu instid0(VALU_DEP_1) | instskip(NEXT) | instid1(TRANS32_DEP_1)
	v_rcp_f32_e32 v3, v0
	v_fma_f32 v4, -v0, v3, 1.0
	s_delay_alu instid0(VALU_DEP_1) | instskip(SKIP_1) | instid1(VALU_DEP_1)
	v_fmac_f32_e32 v3, v4, v3
	v_div_scale_f32 v4, vcc_lo, v6, v7, v6
	v_mul_f32_e32 v5, v4, v3
	s_delay_alu instid0(VALU_DEP_1) | instskip(NEXT) | instid1(VALU_DEP_1)
	v_fma_f32 v8, -v0, v5, v4
	v_fmac_f32_e32 v5, v8, v3
	s_delay_alu instid0(VALU_DEP_1) | instskip(SKIP_1) | instid1(VALU_DEP_1)
	v_fma_f32 v0, -v0, v5, v4
	s_wait_alu 0xfffd
	v_div_fmas_f32 v0, v0, v3, v5
	s_delay_alu instid0(VALU_DEP_1)
	v_div_fixup_f32 v0, v0, v7, v6
	global_store_b32 v[1:2], v0, off
.LBB7_24:
	s_endpgm
	.section	.rodata,"a",@progbits
	.p2align	6, 0x0
	.amdhsa_kernel _ZL33flash_attn_stream_k_fixup_generalILi64ELi8ELi2EEvPfPK15HIP_vector_typeIfLj2EEiiiiS1_IjLj3EES5_S5_S5_
		.amdhsa_group_segment_fixed_size 0
		.amdhsa_private_segment_fixed_size 0
		.amdhsa_kernarg_size 336
		.amdhsa_user_sgpr_count 2
		.amdhsa_user_sgpr_dispatch_ptr 0
		.amdhsa_user_sgpr_queue_ptr 0
		.amdhsa_user_sgpr_kernarg_segment_ptr 1
		.amdhsa_user_sgpr_dispatch_id 0
		.amdhsa_user_sgpr_private_segment_size 0
		.amdhsa_wavefront_size32 1
		.amdhsa_uses_dynamic_stack 0
		.amdhsa_enable_private_segment 0
		.amdhsa_system_sgpr_workgroup_id_x 1
		.amdhsa_system_sgpr_workgroup_id_y 1
		.amdhsa_system_sgpr_workgroup_id_z 1
		.amdhsa_system_sgpr_workgroup_info 0
		.amdhsa_system_vgpr_workitem_id 0
		.amdhsa_next_free_vgpr 9
		.amdhsa_next_free_sgpr 44
		.amdhsa_reserve_vcc 1
		.amdhsa_float_round_mode_32 0
		.amdhsa_float_round_mode_16_64 0
		.amdhsa_float_denorm_mode_32 3
		.amdhsa_float_denorm_mode_16_64 3
		.amdhsa_fp16_overflow 0
		.amdhsa_workgroup_processor_mode 1
		.amdhsa_memory_ordered 1
		.amdhsa_forward_progress 1
		.amdhsa_inst_pref_size 28
		.amdhsa_round_robin_scheduling 0
		.amdhsa_exception_fp_ieee_invalid_op 0
		.amdhsa_exception_fp_denorm_src 0
		.amdhsa_exception_fp_ieee_div_zero 0
		.amdhsa_exception_fp_ieee_overflow 0
		.amdhsa_exception_fp_ieee_underflow 0
		.amdhsa_exception_fp_ieee_inexact 0
		.amdhsa_exception_int_div_zero 0
	.end_amdhsa_kernel
	.section	.text._ZL33flash_attn_stream_k_fixup_generalILi64ELi8ELi2EEvPfPK15HIP_vector_typeIfLj2EEiiiiS1_IjLj3EES5_S5_S5_,"axG",@progbits,_ZL33flash_attn_stream_k_fixup_generalILi64ELi8ELi2EEvPfPK15HIP_vector_typeIfLj2EEiiiiS1_IjLj3EES5_S5_S5_,comdat
.Lfunc_end7:
	.size	_ZL33flash_attn_stream_k_fixup_generalILi64ELi8ELi2EEvPfPK15HIP_vector_typeIfLj2EEiiiiS1_IjLj3EES5_S5_S5_, .Lfunc_end7-_ZL33flash_attn_stream_k_fixup_generalILi64ELi8ELi2EEvPfPK15HIP_vector_typeIfLj2EEiiiiS1_IjLj3EES5_S5_S5_
                                        ; -- End function
	.set _ZL33flash_attn_stream_k_fixup_generalILi64ELi8ELi2EEvPfPK15HIP_vector_typeIfLj2EEiiiiS1_IjLj3EES5_S5_S5_.num_vgpr, 9
	.set _ZL33flash_attn_stream_k_fixup_generalILi64ELi8ELi2EEvPfPK15HIP_vector_typeIfLj2EEiiiiS1_IjLj3EES5_S5_S5_.num_agpr, 0
	.set _ZL33flash_attn_stream_k_fixup_generalILi64ELi8ELi2EEvPfPK15HIP_vector_typeIfLj2EEiiiiS1_IjLj3EES5_S5_S5_.numbered_sgpr, 44
	.set _ZL33flash_attn_stream_k_fixup_generalILi64ELi8ELi2EEvPfPK15HIP_vector_typeIfLj2EEiiiiS1_IjLj3EES5_S5_S5_.num_named_barrier, 0
	.set _ZL33flash_attn_stream_k_fixup_generalILi64ELi8ELi2EEvPfPK15HIP_vector_typeIfLj2EEiiiiS1_IjLj3EES5_S5_S5_.private_seg_size, 0
	.set _ZL33flash_attn_stream_k_fixup_generalILi64ELi8ELi2EEvPfPK15HIP_vector_typeIfLj2EEiiiiS1_IjLj3EES5_S5_S5_.uses_vcc, 1
	.set _ZL33flash_attn_stream_k_fixup_generalILi64ELi8ELi2EEvPfPK15HIP_vector_typeIfLj2EEiiiiS1_IjLj3EES5_S5_S5_.uses_flat_scratch, 0
	.set _ZL33flash_attn_stream_k_fixup_generalILi64ELi8ELi2EEvPfPK15HIP_vector_typeIfLj2EEiiiiS1_IjLj3EES5_S5_S5_.has_dyn_sized_stack, 0
	.set _ZL33flash_attn_stream_k_fixup_generalILi64ELi8ELi2EEvPfPK15HIP_vector_typeIfLj2EEiiiiS1_IjLj3EES5_S5_S5_.has_recursion, 0
	.set _ZL33flash_attn_stream_k_fixup_generalILi64ELi8ELi2EEvPfPK15HIP_vector_typeIfLj2EEiiiiS1_IjLj3EES5_S5_S5_.has_indirect_call, 0
	.section	.AMDGPU.csdata,"",@progbits
; Kernel info:
; codeLenInByte = 3548
; TotalNumSgprs: 46
; NumVgprs: 9
; ScratchSize: 0
; MemoryBound: 0
; FloatMode: 240
; IeeeMode: 1
; LDSByteSize: 0 bytes/workgroup (compile time only)
; SGPRBlocks: 0
; VGPRBlocks: 1
; NumSGPRsForWavesPerEU: 46
; NumVGPRsForWavesPerEU: 9
; Occupancy: 16
; WaveLimiterHint : 0
; COMPUTE_PGM_RSRC2:SCRATCH_EN: 0
; COMPUTE_PGM_RSRC2:USER_SGPR: 2
; COMPUTE_PGM_RSRC2:TRAP_HANDLER: 0
; COMPUTE_PGM_RSRC2:TGID_X_EN: 1
; COMPUTE_PGM_RSRC2:TGID_Y_EN: 1
; COMPUTE_PGM_RSRC2:TGID_Z_EN: 1
; COMPUTE_PGM_RSRC2:TIDIG_COMP_CNT: 0
	.section	.text._ZL26flash_attn_combine_resultsILi64EEvPKfPK15HIP_vector_typeIfLj2EEPfi,"axG",@progbits,_ZL26flash_attn_combine_resultsILi64EEvPKfPK15HIP_vector_typeIfLj2EEPfi,comdat
	.globl	_ZL26flash_attn_combine_resultsILi64EEvPKfPK15HIP_vector_typeIfLj2EEPfi ; -- Begin function _ZL26flash_attn_combine_resultsILi64EEvPKfPK15HIP_vector_typeIfLj2EEPfi
	.p2align	8
	.type	_ZL26flash_attn_combine_resultsILi64EEvPKfPK15HIP_vector_typeIfLj2EEPfi,@function
_ZL26flash_attn_combine_resultsILi64EEvPKfPK15HIP_vector_typeIfLj2EEPfi: ; @_ZL26flash_attn_combine_resultsILi64EEvPKfPK15HIP_vector_typeIfLj2EEPfi
; %bb.0:
	s_clause 0x2
	s_load_b64 s[2:3], s[0:1], 0x20
	s_load_b96 s[8:10], s[0:1], 0x10
	s_load_b128 s[4:7], s[0:1], 0x0
	s_lshr_b32 s0, ttmp7, 16
	v_lshlrev_b32_e32 v5, 2, v0
	s_mov_b32 s12, exec_lo
	s_wait_kmcnt 0x0
	s_mul_i32 s0, s2, s0
	s_and_b32 s2, ttmp7, 0xffff
	s_add_co_i32 s0, s0, ttmp9
	s_lshl_b32 s1, s10, 1
	s_mul_i32 s11, s0, s3
	s_delay_alu instid0(SALU_CYCLE_1) | instskip(NEXT) | instid1(SALU_CYCLE_1)
	s_add_co_i32 s11, s11, s2
	s_mul_i32 s2, s11, s10
	v_cmpx_gt_i32_e64 s1, v0
	s_cbranch_execz .LBB8_3
; %bb.1:
	s_ashr_i32 s3, s2, 31
	v_dual_mov_b32 v4, v0 :: v_dual_add_nc_u32 v3, 0, v5
	s_lshl_b64 s[14:15], s[2:3], 3
	s_mov_b32 s3, 0
	s_add_nc_u64 s[6:7], s[6:7], s[14:15]
	s_delay_alu instid0(SALU_CYCLE_1)
	v_add_co_u32 v1, s0, s6, v5
	s_wait_alu 0xf1ff
	v_add_co_ci_u32_e64 v2, null, s7, 0, s0
.LBB8_2:                                ; =>This Inner Loop Header: Depth=1
	global_load_b32 v6, v[1:2], off
	v_add_nc_u32_e32 v4, 64, v4
	v_add_co_u32 v1, vcc_lo, 0x100, v1
	s_wait_alu 0xfffd
	v_add_co_ci_u32_e64 v2, null, 0, v2, vcc_lo
	s_delay_alu instid0(VALU_DEP_3)
	v_cmp_le_i32_e64 s0, s1, v4
	s_or_b32 s3, s0, s3
	s_wait_loadcnt 0x0
	ds_store_b32 v3, v6
	v_add_nc_u32_e32 v3, 0x100, v3
	s_and_not1_b32 exec_lo, exec_lo, s3
	s_cbranch_execnz .LBB8_2
.LBB8_3:
	s_or_b32 exec_lo, exec_lo, s12
	v_mov_b32_e32 v1, 0
	s_wait_dscnt 0x0
	s_barrier_signal -1
	s_barrier_wait -1
	global_inv scope:SCOPE_SE
	ds_load_b32 v6, v1
	s_cmp_lt_i32 s10, 2
	s_cbranch_scc1 .LBB8_11
; %bb.4:
	s_add_co_i32 s1, s10, -2
	s_add_co_i32 s0, s10, -1
	s_wait_alu 0xfffe
	s_cmp_lt_u32 s1, 7
	s_cbranch_scc1 .LBB8_8
; %bb.5:
	s_mov_b32 s3, 0
	s_add_co_i32 s1, 0, 8
	s_and_b32 s6, s0, -8
.LBB8_6:                                ; =>This Inner Loop Header: Depth=1
	s_wait_alu 0xfffe
	v_mov_b32_e32 v9, s1
	s_mov_b32 s7, s3
	s_add_co_i32 s3, s3, 8
	s_add_co_i32 s1, s1, 64
	s_cmp_eq_u32 s6, s3
	ds_load_2addr_b32 v[1:2], v9 offset1:2
	ds_load_2addr_b32 v[3:4], v9 offset0:4 offset1:6
	ds_load_2addr_b32 v[7:8], v9 offset0:8 offset1:10
	;; [unrolled: 1-line block ×3, first 2 shown]
	s_wait_dscnt 0x3
	v_max3_num_f32 v1, v6, v1, v2
	s_wait_dscnt 0x2
	s_delay_alu instid0(VALU_DEP_1) | instskip(SKIP_1) | instid1(VALU_DEP_1)
	v_max3_num_f32 v1, v1, v3, v4
	s_wait_dscnt 0x1
	v_max3_num_f32 v1, v1, v7, v8
	s_wait_dscnt 0x0
	s_delay_alu instid0(VALU_DEP_1)
	v_max3_num_f32 v6, v1, v9, v10
	s_cbranch_scc0 .LBB8_6
; %bb.7:
	s_wait_alu 0xfffe
	s_add_co_i32 s1, s7, 9
	s_and_b32 s0, s0, 7
	s_wait_alu 0xfffe
	s_cmp_eq_u32 s0, 0
	s_cbranch_scc0 .LBB8_9
	s_branch .LBB8_11
.LBB8_8:
	s_mov_b32 s1, 1
	s_and_b32 s0, s0, 7
	s_wait_alu 0xfffe
	s_cmp_eq_u32 s0, 0
	s_cbranch_scc1 .LBB8_11
.LBB8_9:
	s_lshl_b32 s1, s1, 3
	s_wait_alu 0xfffe
	s_add_co_i32 s1, s1, 0
.LBB8_10:                               ; =>This Inner Loop Header: Depth=1
	s_wait_dscnt 0x0
	s_wait_alu 0xfffe
	s_delay_alu instid0(VALU_DEP_1)
	v_dual_mov_b32 v1, s1 :: v_dual_max_num_f32 v2, v6, v6
	s_add_co_i32 s0, s0, -1
	s_add_co_i32 s1, s1, 8
	s_wait_alu 0xfffe
	s_cmp_lg_u32 s0, 0
	ds_load_b32 v1, v1
	s_wait_dscnt 0x0
	v_max_num_f32_e32 v1, v1, v1
	s_delay_alu instid0(VALU_DEP_1)
	v_max_num_f32_e32 v6, v2, v1
	s_cbranch_scc1 .LBB8_10
.LBB8_11:
	s_cmp_lt_i32 s10, 1
	s_cbranch_scc1 .LBB8_16
; %bb.12:
	s_lshl_b32 s0, s2, 6
	s_wait_alu 0xfffe
	s_ashr_i32 s1, s0, 31
	s_wait_alu 0xfffe
	s_lshl_b64 s[0:1], s[0:1], 2
	s_cmp_lt_u32 s10, 8
	s_wait_alu 0xfffe
	s_add_nc_u64 s[6:7], s[4:5], s[0:1]
	s_cbranch_scc1 .LBB8_17
; %bb.13:
	v_or_b32_e32 v1, 0x1c0, v0
	v_dual_mov_b32 v4, 0 :: v_dual_mov_b32 v7, 0
	v_mov_b32_e32 v8, 0
	s_and_b32 s12, s10, 0x7ffffff8
	s_mov_b32 s13, 0
	s_mov_b32 s14, 0
.LBB8_14:                               ; =>This Inner Loop Header: Depth=1
	v_dual_mov_b32 v2, v4 :: v_dual_add_nc_u32 v3, 0xfffffe40, v1
	v_mov_b32_e32 v21, s14
	s_add_co_i32 s13, s13, 8
	s_add_co_i32 s14, s14, 64
	s_delay_alu instid0(VALU_DEP_2) | instskip(SKIP_3) | instid1(VALU_DEP_2)
	v_lshlrev_b64_e32 v[9:10], 2, v[3:4]
	v_add_nc_u32_e32 v3, 0xfffffe80, v1
	v_lshlrev_b64_e32 v[11:12], 2, v[1:2]
	s_cmp_eq_u32 s12, s13
	v_lshlrev_b64_e32 v[13:14], 2, v[3:4]
	s_wait_alu 0xfffe
	v_add_co_u32 v9, vcc_lo, s6, v9
	s_wait_alu 0xfffd
	v_add_co_ci_u32_e64 v10, null, s7, v10, vcc_lo
	v_add_nc_u32_e32 v3, 0xfffffec0, v1
	v_add_co_u32 v13, vcc_lo, s6, v13
	global_load_b32 v25, v[9:10], off
	s_wait_alu 0xfffd
	v_add_co_ci_u32_e64 v14, null, s7, v14, vcc_lo
	v_lshlrev_b64_e32 v[15:16], 2, v[3:4]
	v_add_nc_u32_e32 v3, 0xffffff00, v1
	global_load_b32 v26, v[13:14], off
	v_lshlrev_b64_e32 v[9:10], 2, v[3:4]
	v_add_nc_u32_e32 v3, 0xffffff40, v1
	v_add_co_u32 v13, vcc_lo, s6, v15
	s_wait_alu 0xfffd
	v_add_co_ci_u32_e64 v14, null, s7, v16, vcc_lo
	s_delay_alu instid0(VALU_DEP_4)
	v_add_co_u32 v9, vcc_lo, s6, v9
	v_lshlrev_b64_e32 v[15:16], 2, v[3:4]
	v_add_nc_u32_e32 v3, 0xffffff80, v1
	s_wait_alu 0xfffd
	v_add_co_ci_u32_e64 v10, null, s7, v10, vcc_lo
	s_clause 0x1
	global_load_b32 v27, v[13:14], off
	global_load_b32 v28, v[9:10], off
	v_lshlrev_b64_e32 v[13:14], 2, v[3:4]
	v_subrev_nc_u32_e32 v3, 64, v1
	v_add_co_u32 v9, vcc_lo, s6, v15
	s_wait_alu 0xfffd
	v_add_co_ci_u32_e64 v10, null, s7, v16, vcc_lo
	s_delay_alu instid0(VALU_DEP_4)
	v_add_co_u32 v13, vcc_lo, s6, v13
	v_lshlrev_b64_e32 v[2:3], 2, v[3:4]
	s_wait_alu 0xfffd
	v_add_co_ci_u32_e64 v14, null, s7, v14, vcc_lo
	s_clause 0x1
	global_load_b32 v29, v[9:10], off
	global_load_b32 v30, v[13:14], off
	v_add_co_u32 v2, vcc_lo, s6, v2
	s_wait_alu 0xfffd
	v_add_co_ci_u32_e64 v3, null, s7, v3, vcc_lo
	v_add_co_u32 v9, vcc_lo, s6, v11
	s_wait_alu 0xfffd
	v_add_co_ci_u32_e64 v10, null, s7, v12, vcc_lo
	s_clause 0x1
	global_load_b32 v2, v[2:3], off
	global_load_b32 v3, v[9:10], off
	ds_load_2addr_b64 v[9:12], v21 offset1:1
	ds_load_2addr_b64 v[13:16], v21 offset0:2 offset1:3
	ds_load_2addr_b64 v[17:20], v21 offset0:4 offset1:5
	;; [unrolled: 1-line block ×3, first 2 shown]
	v_add_nc_u32_e32 v1, 0x200, v1
	s_wait_dscnt 0x1
	v_sub_f32_e32 v19, v19, v6
	v_sub_f32_e32 v11, v11, v6
	s_wait_dscnt 0x0
	v_sub_f32_e32 v23, v23, v6
	s_delay_alu instid0(VALU_DEP_3) | instskip(NEXT) | instid1(VALU_DEP_3)
	v_dual_sub_f32 v13, v13, v6 :: v_dual_mul_f32 v36, 0x3fb8aa3b, v19
	v_mul_f32_e32 v32, 0x3fb8aa3b, v11
	s_delay_alu instid0(VALU_DEP_2) | instskip(SKIP_1) | instid1(VALU_DEP_4)
	v_dual_mul_f32 v38, 0x3fb8aa3b, v23 :: v_dual_mul_f32 v33, 0x3fb8aa3b, v13
	v_cmp_ngt_f32_e32 vcc_lo, 0xc2ce8ed0, v13
	v_xor_b32_e32 v49, 0x80000000, v36
	s_delay_alu instid0(VALU_DEP_4) | instskip(SKIP_4) | instid1(VALU_DEP_4)
	v_xor_b32_e32 v41, 0x80000000, v32
	v_rndne_f32_e32 v42, v32
	v_xor_b32_e32 v43, 0x80000000, v33
	v_rndne_f32_e32 v44, v33
	v_xor_b32_e32 v53, 0x80000000, v38
	v_dual_fmac_f32 v41, 0x3fb8aa3b, v11 :: v_dual_sub_f32 v32, v32, v42
	s_delay_alu instid0(VALU_DEP_4) | instskip(NEXT) | instid1(VALU_DEP_4)
	v_fmac_f32_e32 v43, 0x3fb8aa3b, v13
	v_sub_f32_e32 v33, v33, v44
	v_cvt_i32_f32_e32 v42, v42
	s_delay_alu instid0(VALU_DEP_4)
	v_fmac_f32_e32 v41, 0x32a5705f, v11
	v_sub_f32_e32 v15, v15, v6
	v_fmac_f32_e32 v43, 0x32a5705f, v13
	v_cvt_i32_f32_e32 v44, v44
	v_rndne_f32_e32 v54, v38
	v_dual_add_f32 v32, v32, v41 :: v_dual_sub_f32 v9, v9, v6
	v_mul_f32_e32 v34, 0x3fb8aa3b, v15
	v_add_f32_e32 v33, v33, v43
	v_cmp_ngt_f32_e64 s0, 0xc2ce8ed0, v15
	s_delay_alu instid0(VALU_DEP_4)
	v_exp_f32_e32 v32, v32
	v_mul_f32_e32 v31, 0x3fb8aa3b, v9
	v_xor_b32_e32 v45, 0x80000000, v34
	v_rndne_f32_e32 v46, v34
	v_exp_f32_e32 v33, v33
	v_cmp_ngt_f32_e64 s5, 0xc2ce8ed0, v9
	v_xor_b32_e32 v39, 0x80000000, v31
	v_rndne_f32_e32 v40, v31
	v_dual_fmac_f32 v45, 0x3fb8aa3b, v15 :: v_dual_sub_f32 v34, v34, v46
	s_delay_alu instid0(TRANS32_DEP_2) | instskip(NEXT) | instid1(VALU_DEP_4)
	v_ldexp_f32 v32, v32, v42
	v_fmac_f32_e32 v39, 0x3fb8aa3b, v9
	s_delay_alu instid0(VALU_DEP_4)
	v_sub_f32_e32 v31, v31, v40
	v_cvt_i32_f32_e32 v40, v40
	v_fmac_f32_e32 v45, 0x32a5705f, v15
	v_sub_f32_e32 v17, v17, v6
	v_fmac_f32_e32 v39, 0x32a5705f, v9
	v_ldexp_f32 v33, v33, v44
	v_cvt_i32_f32_e32 v46, v46
	v_add_f32_e32 v34, v34, v45
	v_cmp_ngt_f32_e64 s1, 0xc2ce8ed0, v17
	v_dual_add_f32 v31, v31, v39 :: v_dual_sub_f32 v38, v38, v54
	v_rndne_f32_e32 v50, v36
	s_delay_alu instid0(VALU_DEP_4) | instskip(SKIP_1) | instid1(VALU_DEP_3)
	v_exp_f32_e32 v34, v34
	v_fmac_f32_e32 v49, 0x3fb8aa3b, v19
	v_exp_f32_e32 v31, v31
	v_cvt_i32_f32_e32 v54, v54
	v_sub_f32_e32 v36, v36, v50
	v_cvt_i32_f32_e32 v50, v50
	v_fmac_f32_e32 v49, 0x32a5705f, v19
	s_delay_alu instid0(TRANS32_DEP_2) | instskip(NEXT) | instid1(VALU_DEP_2)
	v_ldexp_f32 v34, v34, v46
	v_add_f32_e32 v36, v36, v49
	s_delay_alu instid0(TRANS32_DEP_1) | instskip(SKIP_1) | instid1(VALU_DEP_3)
	v_ldexp_f32 v31, v31, v40
	v_cmp_ngt_f32_e64 s2, 0xc2ce8ed0, v19
	v_exp_f32_e32 v36, v36
	s_wait_alu 0xf1ff
	s_delay_alu instid0(VALU_DEP_2) | instskip(SKIP_2) | instid1(VALU_DEP_1)
	v_cndmask_b32_e64 v31, 0, v31, s5
	v_cmp_ngt_f32_e64 s5, 0xc2ce8ed0, v11
	s_wait_alu 0xf1ff
	v_cndmask_b32_e64 v32, 0, v32, s5
	v_cmp_nlt_f32_e64 s5, 0x42b17218, v9
	s_delay_alu instid0(TRANS32_DEP_1) | instskip(SKIP_1) | instid1(VALU_DEP_2)
	v_ldexp_f32 v36, v36, v50
	s_wait_alu 0xf1ff
	v_cndmask_b32_e64 v9, 0x7f800000, v31, s5
	s_wait_alu 0xfffd
	v_cndmask_b32_e32 v31, 0, v33, vcc_lo
	v_cmp_nlt_f32_e32 vcc_lo, 0x42b17218, v11
	s_wait_alu 0xfffd
	v_dual_fmac_f32 v8, v9, v10 :: v_dual_cndmask_b32 v11, 0x7f800000, v32
	v_cmp_nlt_f32_e32 vcc_lo, 0x42b17218, v13
	s_delay_alu instid0(VALU_DEP_2)
	v_fmac_f32_e32 v8, v11, v12
	s_wait_alu 0xfffd
	v_cndmask_b32_e32 v10, 0x7f800000, v31, vcc_lo
	v_cmp_nlt_f32_e32 vcc_lo, 0x42b17218, v15
	v_fmac_f32_e32 v53, 0x3fb8aa3b, v23
	v_cmp_ngt_f32_e64 s4, 0xc2ce8ed0, v23
	s_delay_alu instid0(VALU_DEP_2) | instskip(NEXT) | instid1(VALU_DEP_1)
	v_dual_fmac_f32 v8, v10, v14 :: v_dual_fmac_f32 v53, 0x32a5705f, v23
	v_dual_sub_f32 v21, v21, v6 :: v_dual_add_f32 v38, v38, v53
	s_delay_alu instid0(VALU_DEP_1) | instskip(NEXT) | instid1(VALU_DEP_2)
	v_cmp_ngt_f32_e64 s3, 0xc2ce8ed0, v21
	v_exp_f32_e32 v38, v38
	s_delay_alu instid0(TRANS32_DEP_1) | instskip(SKIP_4) | instid1(VALU_DEP_1)
	v_ldexp_f32 v38, v38, v54
	s_wait_loadcnt 0x7
	v_fmac_f32_e32 v7, v25, v9
	v_cndmask_b32_e64 v9, 0, v34, s0
	s_wait_alu 0xfffd
	v_cndmask_b32_e32 v9, 0x7f800000, v9, vcc_lo
	v_mul_f32_e32 v35, 0x3fb8aa3b, v17
	s_wait_loadcnt 0x6
	v_fmac_f32_e32 v7, v26, v11
	v_cmp_nlt_f32_e32 vcc_lo, 0x42b17218, v17
	v_fmac_f32_e32 v8, v9, v16
	v_xor_b32_e32 v47, 0x80000000, v35
	v_rndne_f32_e32 v48, v35
	s_delay_alu instid0(VALU_DEP_2) | instskip(NEXT) | instid1(VALU_DEP_2)
	v_fmac_f32_e32 v47, 0x3fb8aa3b, v17
	v_sub_f32_e32 v35, v35, v48
	v_cvt_i32_f32_e32 v48, v48
	s_wait_loadcnt 0x5
	v_fmac_f32_e32 v7, v27, v10
	v_fmac_f32_e32 v47, 0x32a5705f, v17
	v_cndmask_b32_e64 v10, 0, v36, s2
	s_wait_loadcnt 0x4
	s_delay_alu instid0(VALU_DEP_3) | instskip(NEXT) | instid1(VALU_DEP_3)
	v_fmac_f32_e32 v7, v28, v9
	v_add_f32_e32 v35, v35, v47
	s_delay_alu instid0(VALU_DEP_1) | instskip(NEXT) | instid1(TRANS32_DEP_1)
	v_exp_f32_e32 v35, v35
	v_ldexp_f32 v35, v35, v48
	s_delay_alu instid0(VALU_DEP_1) | instskip(SKIP_1) | instid1(VALU_DEP_1)
	v_cndmask_b32_e64 v11, 0, v35, s1
	s_wait_alu 0xfffd
	v_cndmask_b32_e32 v11, 0x7f800000, v11, vcc_lo
	v_mul_f32_e32 v37, 0x3fb8aa3b, v21
	v_cmp_nlt_f32_e32 vcc_lo, 0x42b17218, v19
	s_delay_alu instid0(VALU_DEP_3) | instskip(NEXT) | instid1(VALU_DEP_3)
	v_fmac_f32_e32 v8, v11, v18
	v_xor_b32_e32 v51, 0x80000000, v37
	v_rndne_f32_e32 v52, v37
	s_wait_loadcnt 0x3
	s_wait_alu 0xfffd
	v_dual_cndmask_b32 v10, 0x7f800000, v10 :: v_dual_fmac_f32 v7, v29, v11
	v_cmp_nlt_f32_e32 vcc_lo, 0x42b17218, v21
	v_fmac_f32_e32 v51, 0x3fb8aa3b, v21
	v_sub_f32_e32 v37, v37, v52
	v_cvt_i32_f32_e32 v52, v52
	s_wait_alu 0xf1ff
	v_cndmask_b32_e64 v11, 0, v38, s4
	v_dual_fmac_f32 v8, v10, v20 :: v_dual_fmac_f32 v51, 0x32a5705f, v21
	s_wait_loadcnt 0x2
	v_fmac_f32_e32 v7, v30, v10
	s_delay_alu instid0(VALU_DEP_2) | instskip(NEXT) | instid1(VALU_DEP_1)
	v_add_f32_e32 v37, v37, v51
	v_exp_f32_e32 v37, v37
	s_delay_alu instid0(TRANS32_DEP_1) | instskip(NEXT) | instid1(VALU_DEP_1)
	v_ldexp_f32 v37, v37, v52
	v_cndmask_b32_e64 v9, 0, v37, s3
	s_wait_alu 0xfffd
	s_delay_alu instid0(VALU_DEP_1) | instskip(SKIP_1) | instid1(VALU_DEP_2)
	v_cndmask_b32_e32 v9, 0x7f800000, v9, vcc_lo
	v_cmp_nlt_f32_e32 vcc_lo, 0x42b17218, v23
	v_fmac_f32_e32 v8, v9, v22
	s_wait_loadcnt 0x1
	s_wait_alu 0xfffd
	v_dual_cndmask_b32 v10, 0x7f800000, v11 :: v_dual_fmac_f32 v7, v2, v9
	s_wait_loadcnt 0x0
	s_delay_alu instid0(VALU_DEP_1)
	v_dual_fmac_f32 v8, v10, v24 :: v_dual_fmac_f32 v7, v3, v10
	s_cbranch_scc0 .LBB8_14
; %bb.15:
	s_and_b32 s0, s10, 7
	s_wait_alu 0xfffe
	s_cmp_eq_u32 s0, 0
	s_cbranch_scc0 .LBB8_18
	s_branch .LBB8_20
.LBB8_16:
	v_mov_b32_e32 v0, 0x7fc00000
	s_branch .LBB8_21
.LBB8_17:
	v_dual_mov_b32 v7, 0 :: v_dual_mov_b32 v8, 0
	s_mov_b32 s12, 0
	s_and_b32 s0, s10, 7
	s_wait_alu 0xfffe
	s_cmp_eq_u32 s0, 0
	s_cbranch_scc1 .LBB8_20
.LBB8_18:
	v_lshl_or_b32 v0, s12, 6, v0
	v_mov_b32_e32 v1, 0
	s_lshl_b32 s1, s12, 3
	s_wait_alu 0xfffe
	s_add_co_i32 s1, s1, 0
.LBB8_19:                               ; =>This Inner Loop Header: Depth=1
	s_delay_alu instid0(VALU_DEP_1) | instskip(SKIP_2) | instid1(VALU_DEP_2)
	v_lshlrev_b64_e32 v[2:3], 2, v[0:1]
	s_add_co_i32 s0, s0, -1
	v_add_nc_u32_e32 v0, 64, v0
	v_add_co_u32 v2, vcc_lo, s6, v2
	s_wait_alu 0xfffd
	s_delay_alu instid0(VALU_DEP_3)
	v_add_co_ci_u32_e64 v3, null, s7, v3, vcc_lo
	global_load_b32 v4, v[2:3], off
	s_wait_alu 0xfffe
	v_mov_b32_e32 v2, s1
	s_add_co_i32 s1, s1, 8
	s_cmp_lg_u32 s0, 0
	ds_load_b64 v[2:3], v2
	s_wait_dscnt 0x0
	v_sub_f32_e32 v2, v2, v6
	s_delay_alu instid0(VALU_DEP_1) | instskip(SKIP_1) | instid1(VALU_DEP_2)
	v_mul_f32_e32 v9, 0x3fb8aa3b, v2
	v_cmp_ngt_f32_e32 vcc_lo, 0xc2ce8ed0, v2
	v_xor_b32_e32 v10, 0x80000000, v9
	v_rndne_f32_e32 v11, v9
	s_delay_alu instid0(VALU_DEP_1) | instskip(NEXT) | instid1(VALU_DEP_1)
	v_dual_fmac_f32 v10, 0x3fb8aa3b, v2 :: v_dual_sub_f32 v9, v9, v11
	v_fmac_f32_e32 v10, 0x32a5705f, v2
	s_delay_alu instid0(VALU_DEP_1) | instskip(SKIP_1) | instid1(VALU_DEP_2)
	v_add_f32_e32 v9, v9, v10
	v_cvt_i32_f32_e32 v10, v11
	v_exp_f32_e32 v9, v9
	s_delay_alu instid0(TRANS32_DEP_1) | instskip(SKIP_1) | instid1(VALU_DEP_1)
	v_ldexp_f32 v9, v9, v10
	s_wait_alu 0xfffd
	v_cndmask_b32_e32 v9, 0, v9, vcc_lo
	v_cmp_nlt_f32_e32 vcc_lo, 0x42b17218, v2
	s_wait_alu 0xfffd
	s_delay_alu instid0(VALU_DEP_2) | instskip(SKIP_1) | instid1(VALU_DEP_1)
	v_cndmask_b32_e32 v2, 0x7f800000, v9, vcc_lo
	s_wait_loadcnt 0x0
	v_dual_fmac_f32 v8, v2, v3 :: v_dual_fmac_f32 v7, v4, v2
	s_cbranch_scc1 .LBB8_19
.LBB8_20:
	s_delay_alu instid0(VALU_DEP_1) | instskip(NEXT) | instid1(VALU_DEP_1)
	v_div_scale_f32 v0, null, v8, v8, v7
	v_rcp_f32_e32 v1, v0
	s_delay_alu instid0(TRANS32_DEP_1) | instskip(NEXT) | instid1(VALU_DEP_1)
	v_fma_f32 v2, -v0, v1, 1.0
	v_fmac_f32_e32 v1, v2, v1
	v_div_scale_f32 v2, vcc_lo, v7, v8, v7
	s_delay_alu instid0(VALU_DEP_1) | instskip(NEXT) | instid1(VALU_DEP_1)
	v_mul_f32_e32 v3, v2, v1
	v_fma_f32 v4, -v0, v3, v2
	s_delay_alu instid0(VALU_DEP_1) | instskip(NEXT) | instid1(VALU_DEP_1)
	v_fmac_f32_e32 v3, v4, v1
	v_fma_f32 v0, -v0, v3, v2
	s_wait_alu 0xfffd
	s_delay_alu instid0(VALU_DEP_1) | instskip(NEXT) | instid1(VALU_DEP_1)
	v_div_fmas_f32 v0, v0, v1, v3
	v_div_fixup_f32 v0, v0, v8, v7
.LBB8_21:
	s_lshl_b32 s0, s11, 6
	s_wait_alu 0xfffe
	s_ashr_i32 s1, s0, 31
	s_wait_alu 0xfffe
	s_lshl_b64 s[0:1], s[0:1], 2
	s_wait_alu 0xfffe
	s_add_nc_u64 s[0:1], s[8:9], s[0:1]
	global_store_b32 v5, v0, s[0:1]
	s_endpgm
	.section	.rodata,"a",@progbits
	.p2align	6, 0x0
	.amdhsa_kernel _ZL26flash_attn_combine_resultsILi64EEvPKfPK15HIP_vector_typeIfLj2EEPfi
		.amdhsa_group_segment_fixed_size 0
		.amdhsa_private_segment_fixed_size 0
		.amdhsa_kernarg_size 288
		.amdhsa_user_sgpr_count 2
		.amdhsa_user_sgpr_dispatch_ptr 0
		.amdhsa_user_sgpr_queue_ptr 0
		.amdhsa_user_sgpr_kernarg_segment_ptr 1
		.amdhsa_user_sgpr_dispatch_id 0
		.amdhsa_user_sgpr_private_segment_size 0
		.amdhsa_wavefront_size32 1
		.amdhsa_uses_dynamic_stack 0
		.amdhsa_enable_private_segment 0
		.amdhsa_system_sgpr_workgroup_id_x 1
		.amdhsa_system_sgpr_workgroup_id_y 1
		.amdhsa_system_sgpr_workgroup_id_z 1
		.amdhsa_system_sgpr_workgroup_info 0
		.amdhsa_system_vgpr_workitem_id 0
		.amdhsa_next_free_vgpr 55
		.amdhsa_next_free_sgpr 16
		.amdhsa_reserve_vcc 1
		.amdhsa_float_round_mode_32 0
		.amdhsa_float_round_mode_16_64 0
		.amdhsa_float_denorm_mode_32 3
		.amdhsa_float_denorm_mode_16_64 3
		.amdhsa_fp16_overflow 0
		.amdhsa_workgroup_processor_mode 1
		.amdhsa_memory_ordered 1
		.amdhsa_forward_progress 1
		.amdhsa_inst_pref_size 20
		.amdhsa_round_robin_scheduling 0
		.amdhsa_exception_fp_ieee_invalid_op 0
		.amdhsa_exception_fp_denorm_src 0
		.amdhsa_exception_fp_ieee_div_zero 0
		.amdhsa_exception_fp_ieee_overflow 0
		.amdhsa_exception_fp_ieee_underflow 0
		.amdhsa_exception_fp_ieee_inexact 0
		.amdhsa_exception_int_div_zero 0
	.end_amdhsa_kernel
	.section	.text._ZL26flash_attn_combine_resultsILi64EEvPKfPK15HIP_vector_typeIfLj2EEPfi,"axG",@progbits,_ZL26flash_attn_combine_resultsILi64EEvPKfPK15HIP_vector_typeIfLj2EEPfi,comdat
.Lfunc_end8:
	.size	_ZL26flash_attn_combine_resultsILi64EEvPKfPK15HIP_vector_typeIfLj2EEPfi, .Lfunc_end8-_ZL26flash_attn_combine_resultsILi64EEvPKfPK15HIP_vector_typeIfLj2EEPfi
                                        ; -- End function
	.set _ZL26flash_attn_combine_resultsILi64EEvPKfPK15HIP_vector_typeIfLj2EEPfi.num_vgpr, 55
	.set _ZL26flash_attn_combine_resultsILi64EEvPKfPK15HIP_vector_typeIfLj2EEPfi.num_agpr, 0
	.set _ZL26flash_attn_combine_resultsILi64EEvPKfPK15HIP_vector_typeIfLj2EEPfi.numbered_sgpr, 16
	.set _ZL26flash_attn_combine_resultsILi64EEvPKfPK15HIP_vector_typeIfLj2EEPfi.num_named_barrier, 0
	.set _ZL26flash_attn_combine_resultsILi64EEvPKfPK15HIP_vector_typeIfLj2EEPfi.private_seg_size, 0
	.set _ZL26flash_attn_combine_resultsILi64EEvPKfPK15HIP_vector_typeIfLj2EEPfi.uses_vcc, 1
	.set _ZL26flash_attn_combine_resultsILi64EEvPKfPK15HIP_vector_typeIfLj2EEPfi.uses_flat_scratch, 0
	.set _ZL26flash_attn_combine_resultsILi64EEvPKfPK15HIP_vector_typeIfLj2EEPfi.has_dyn_sized_stack, 0
	.set _ZL26flash_attn_combine_resultsILi64EEvPKfPK15HIP_vector_typeIfLj2EEPfi.has_recursion, 0
	.set _ZL26flash_attn_combine_resultsILi64EEvPKfPK15HIP_vector_typeIfLj2EEPfi.has_indirect_call, 0
	.section	.AMDGPU.csdata,"",@progbits
; Kernel info:
; codeLenInByte = 2548
; TotalNumSgprs: 18
; NumVgprs: 55
; ScratchSize: 0
; MemoryBound: 0
; FloatMode: 240
; IeeeMode: 1
; LDSByteSize: 0 bytes/workgroup (compile time only)
; SGPRBlocks: 0
; VGPRBlocks: 6
; NumSGPRsForWavesPerEU: 18
; NumVGPRsForWavesPerEU: 55
; Occupancy: 16
; WaveLimiterHint : 0
; COMPUTE_PGM_RSRC2:SCRATCH_EN: 0
; COMPUTE_PGM_RSRC2:USER_SGPR: 2
; COMPUTE_PGM_RSRC2:TRAP_HANDLER: 0
; COMPUTE_PGM_RSRC2:TGID_X_EN: 1
; COMPUTE_PGM_RSRC2:TGID_Y_EN: 1
; COMPUTE_PGM_RSRC2:TGID_Z_EN: 1
; COMPUTE_PGM_RSRC2:TIDIG_COMP_CNT: 0
	.section	.text._ZL18flash_attn_ext_f16ILi80ELi80ELi8ELi2ELb0ELb0EEvPKcS1_S1_S1_S1_PKiPfP15HIP_vector_typeIfLj2EEffffjfiS5_IjLj3EEiiiiiiiiiiiliiliiiiil,"axG",@progbits,_ZL18flash_attn_ext_f16ILi80ELi80ELi8ELi2ELb0ELb0EEvPKcS1_S1_S1_S1_PKiPfP15HIP_vector_typeIfLj2EEffffjfiS5_IjLj3EEiiiiiiiiiiiliiliiiiil,comdat
	.globl	_ZL18flash_attn_ext_f16ILi80ELi80ELi8ELi2ELb0ELb0EEvPKcS1_S1_S1_S1_PKiPfP15HIP_vector_typeIfLj2EEffffjfiS5_IjLj3EEiiiiiiiiiiiliiliiiiil ; -- Begin function _ZL18flash_attn_ext_f16ILi80ELi80ELi8ELi2ELb0ELb0EEvPKcS1_S1_S1_S1_PKiPfP15HIP_vector_typeIfLj2EEffffjfiS5_IjLj3EEiiiiiiiiiiiliiliiiiil
	.p2align	8
	.type	_ZL18flash_attn_ext_f16ILi80ELi80ELi8ELi2ELb0ELb0EEvPKcS1_S1_S1_S1_PKiPfP15HIP_vector_typeIfLj2EEffffjfiS5_IjLj3EEiiiiiiiiiiiliiliiiiil,@function
_ZL18flash_attn_ext_f16ILi80ELi80ELi8ELi2ELb0ELb0EEvPKcS1_S1_S1_S1_PKiPfP15HIP_vector_typeIfLj2EEffffjfiS5_IjLj3EEiiiiiiiiiiiliiliiiiil: ; @_ZL18flash_attn_ext_f16ILi80ELi80ELi8ELi2ELb0ELb0EEvPKcS1_S1_S1_S1_PKiPfP15HIP_vector_typeIfLj2EEffffjfiS5_IjLj3EEiiiiiiiiiiiliiliiiiil
; %bb.0:
	s_clause 0x1
	s_load_b64 s[2:3], s[0:1], 0x80
	s_load_b128 s[24:27], s[0:1], 0x64
	s_mov_b32 s50, ttmp9
	s_mov_b32 s51, 0
	s_wait_kmcnt 0x0
	s_abs_i32 s4, s3
	s_abs_i32 s7, s25
	s_cvt_f32_u32 s5, s4
	s_sub_co_i32 s6, 0, s4
	s_delay_alu instid0(SALU_CYCLE_2) | instskip(NEXT) | instid1(TRANS32_DEP_1)
	v_rcp_iflag_f32_e32 v1, s5
	v_readfirstlane_b32 s5, v1
	s_mul_f32 s5, s5, 0x4f7ffffe
	s_wait_alu 0xfffe
	s_delay_alu instid0(SALU_CYCLE_2) | instskip(SKIP_1) | instid1(SALU_CYCLE_2)
	s_cvt_u32_f32 s5, s5
	s_wait_alu 0xfffe
	s_mul_i32 s6, s6, s5
	s_delay_alu instid0(SALU_CYCLE_1) | instskip(NEXT) | instid1(SALU_CYCLE_1)
	s_mul_hi_u32 s6, s5, s6
	s_add_co_i32 s5, s5, s6
	s_xor_b32 s6, s25, s3
	s_wait_alu 0xfffe
	s_mul_hi_u32 s5, s7, s5
	s_ashr_i32 s6, s6, 31
	s_wait_alu 0xfffe
	s_mul_i32 s8, s5, s4
	s_delay_alu instid0(SALU_CYCLE_1)
	s_sub_co_i32 s7, s7, s8
	s_add_co_i32 s8, s5, 1
	s_sub_co_i32 s9, s7, s4
	s_cmp_ge_u32 s7, s4
	s_cselect_b32 s5, s8, s5
	s_cselect_b32 s7, s9, s7
	s_wait_alu 0xfffe
	s_add_co_i32 s8, s5, 1
	s_cmp_ge_u32 s7, s4
	s_cselect_b32 s4, s8, s5
	s_add_co_i32 s2, s2, 31
	s_wait_alu 0xfffe
	s_xor_b32 s4, s4, s6
	s_add_co_i32 s5, s24, 7
	s_ashr_i32 s7, s2, 31
	s_wait_alu 0xfffe
	s_sub_co_i32 s33, s4, s6
	s_lshr_b32 s42, s5, 3
	s_lshr_b32 s4, s7, 27
	s_add_co_i32 s5, s33, 1
	s_wait_alu 0xfffe
	s_add_co_i32 s2, s2, s4
	s_lshr_b32 s4, s5, 31
	s_ashr_i32 s98, s2, 5
	s_wait_alu 0xfffe
	s_add_co_i32 s5, s5, s4
	s_mul_i32 s96, s42, s98
	s_wait_alu 0xfffe
	s_ashr_i32 s2, s5, 1
	s_mov_b32 s4, s51
	s_mul_i32 s95, s96, s2
	s_delay_alu instid0(SALU_CYCLE_1) | instskip(NEXT) | instid1(SALU_CYCLE_1)
	s_mul_i32 s97, s95, s3
	s_mul_i32 s2, s97, s26
	s_delay_alu instid0(SALU_CYCLE_1) | instskip(NEXT) | instid1(SALU_CYCLE_1)
	s_ashr_i32 s3, s2, 31
	s_mul_u64 s[6:7], s[2:3], s[50:51]
	s_load_b32 s50, s[0:1], 0xd0
	s_mov_b32 s5, s7
	s_wait_alu 0xfffe
	s_cmp_lg_u64 s[4:5], 0
	s_wait_kmcnt 0x0
	s_add_nc_u64 s[4:5], s[50:51], 0
	s_cbranch_scc0 .LBB9_364
; %bb.1:
	s_wait_alu 0xfffe
	s_xor_b64 s[8:9], s[4:5], 0
	s_mov_b32 s15, s51
	s_cvt_f32_u32 s10, s8
	s_cvt_f32_u32 s11, s9
	s_sub_nc_u64 s[12:13], 0, s[8:9]
	s_mov_b32 s19, s51
	s_delay_alu instid0(SALU_CYCLE_1) | instskip(NEXT) | instid1(SALU_CYCLE_3)
	s_fmamk_f32 s10, s11, 0x4f800000, s10
	v_s_rcp_f32 s10, s10
	s_delay_alu instid0(TRANS32_DEP_1) | instskip(SKIP_1) | instid1(SALU_CYCLE_2)
	s_mul_f32 s10, s10, 0x5f7ffffc
	s_wait_alu 0xfffe
	s_mul_f32 s11, s10, 0x2f800000
	s_wait_alu 0xfffe
	s_delay_alu instid0(SALU_CYCLE_2) | instskip(SKIP_1) | instid1(SALU_CYCLE_2)
	s_trunc_f32 s11, s11
	s_wait_alu 0xfffe
	s_fmamk_f32 s10, s11, 0xcf800000, s10
	s_cvt_u32_f32 s11, s11
	s_wait_alu 0xfffe
	s_delay_alu instid0(SALU_CYCLE_1) | instskip(SKIP_1) | instid1(SALU_CYCLE_2)
	s_cvt_u32_f32 s10, s10
	s_wait_alu 0xfffe
	s_mul_u64 s[16:17], s[12:13], s[10:11]
	s_delay_alu instid0(SALU_CYCLE_1)
	s_mul_hi_u32 s21, s10, s17
	s_mul_i32 s20, s10, s17
	s_mul_hi_u32 s14, s10, s16
	s_mul_i32 s22, s11, s16
	s_add_nc_u64 s[14:15], s[14:15], s[20:21]
	s_mul_hi_u32 s18, s11, s16
	s_mul_hi_u32 s23, s11, s17
	s_add_co_u32 s14, s14, s22
	s_add_co_ci_u32 s18, s15, s18
	s_mul_i32 s16, s11, s17
	s_add_co_ci_u32 s17, s23, 0
	s_delay_alu instid0(SALU_CYCLE_1) | instskip(SKIP_3) | instid1(SALU_CYCLE_1)
	s_add_nc_u64 s[14:15], s[18:19], s[16:17]
	s_mov_b32 s17, s51
	s_add_co_u32 s10, s10, s14
	s_cselect_b32 s14, -1, 0
	s_cmp_lg_u32 s14, 0
	s_add_co_ci_u32 s11, s11, s15
	s_mov_b32 s15, s51
	s_wait_alu 0xfffe
	s_mul_u64 s[12:13], s[12:13], s[10:11]
	s_delay_alu instid0(SALU_CYCLE_1)
	s_mul_hi_u32 s19, s10, s13
	s_mul_i32 s18, s10, s13
	s_mul_hi_u32 s14, s10, s12
	s_mul_i32 s20, s11, s12
	s_add_nc_u64 s[14:15], s[14:15], s[18:19]
	s_mul_hi_u32 s16, s11, s12
	s_mul_hi_u32 s21, s11, s13
	s_mul_i32 s12, s11, s13
	s_add_co_u32 s13, s14, s20
	s_add_co_ci_u32 s16, s15, s16
	s_add_co_ci_u32 s13, s21, 0
	s_mov_b32 s15, s51
	s_add_nc_u64 s[12:13], s[16:17], s[12:13]
	s_delay_alu instid0(SALU_CYCLE_1)
	s_add_co_u32 s16, s10, s12
	s_cselect_b32 s10, -1, 0
	s_wait_alu 0xfffe
	s_cmp_lg_u32 s10, 0
	s_add_co_ci_u32 s20, s11, s13
	s_ashr_i32 s10, s7, 31
	s_wait_alu 0xfffe
	s_mov_b32 s11, s10
	s_wait_alu 0xfffe
	s_add_nc_u64 s[12:13], s[6:7], s[10:11]
	s_delay_alu instid0(SALU_CYCLE_1) | instskip(NEXT) | instid1(SALU_CYCLE_1)
	s_xor_b64 s[12:13], s[12:13], s[10:11]
	s_mul_hi_u32 s19, s12, s20
	s_mul_i32 s18, s12, s20
	s_mul_hi_u32 s14, s12, s16
	s_mul_hi_u32 s21, s13, s16
	s_mul_i32 s16, s13, s16
	s_add_nc_u64 s[14:15], s[14:15], s[18:19]
	s_mul_hi_u32 s7, s13, s20
	s_add_co_u32 s14, s14, s16
	s_add_co_ci_u32 s16, s15, s21
	s_mul_i32 s18, s13, s20
	s_add_co_ci_u32 s19, s7, 0
	s_delay_alu instid0(SALU_CYCLE_1) | instskip(NEXT) | instid1(SALU_CYCLE_1)
	s_add_nc_u64 s[14:15], s[16:17], s[18:19]
	s_mul_u64 s[16:17], s[8:9], s[14:15]
	s_delay_alu instid0(SALU_CYCLE_1)
	s_sub_co_u32 s7, s12, s16
	s_cselect_b32 s12, -1, 0
	s_sub_co_i32 s16, s13, s17
	s_cmp_lg_u32 s12, 0
	s_sub_co_ci_u32 s16, s16, s9
	s_sub_co_u32 s18, s7, s8
	s_cselect_b32 s19, -1, 0
	s_delay_alu instid0(SALU_CYCLE_1) | instskip(SKIP_1) | instid1(SALU_CYCLE_1)
	s_cmp_lg_u32 s19, 0
	s_sub_co_ci_u32 s16, s16, 0
	s_cmp_ge_u32 s16, s9
	s_cselect_b32 s20, -1, 0
	s_cmp_ge_u32 s18, s8
	s_add_nc_u64 s[18:19], s[14:15], 1
	s_cselect_b32 s21, -1, 0
	s_cmp_eq_u32 s16, s9
	s_cselect_b32 s16, s21, s20
	s_add_nc_u64 s[20:21], s[14:15], 2
	s_cmp_lg_u32 s16, 0
	s_cselect_b32 s16, s20, s18
	s_cselect_b32 s18, s21, s19
	s_cmp_lg_u32 s12, 0
	s_sub_co_ci_u32 s12, s13, s17
	s_delay_alu instid0(SALU_CYCLE_1)
	s_cmp_ge_u32 s12, s9
	s_cselect_b32 s13, -1, 0
	s_cmp_ge_u32 s7, s8
	s_cselect_b32 s7, -1, 0
	s_cmp_eq_u32 s12, s9
	s_cselect_b32 s7, s7, s13
	s_delay_alu instid0(SALU_CYCLE_1)
	s_cmp_lg_u32 s7, 0
	s_cselect_b32 s9, s18, s15
	s_cselect_b32 s8, s16, s14
	s_xor_b64 s[10:11], s[10:11], 0
	s_wait_alu 0xfffe
	s_xor_b64 s[8:9], s[8:9], s[10:11]
	s_delay_alu instid0(SALU_CYCLE_1)
	s_sub_nc_u64 s[48:49], s[8:9], s[10:11]
	s_load_b64 s[46:47], s[0:1], 0x74
	v_cvt_f32_u32_e32 v1, s50
	s_and_not1_b32 vcc_lo, exec_lo, s51
	s_cbranch_vccnz .LBB9_3
.LBB9_2:
	s_delay_alu instid0(VALU_DEP_1) | instskip(SKIP_1) | instid1(TRANS32_DEP_1)
	v_rcp_iflag_f32_e32 v2, v1
	s_sub_co_i32 s8, 0, s50
	v_mul_f32_e32 v2, 0x4f7ffffe, v2
	s_delay_alu instid0(VALU_DEP_1) | instskip(NEXT) | instid1(VALU_DEP_1)
	v_cvt_u32_f32_e32 v2, v2
	v_readfirstlane_b32 s7, v2
	s_mul_i32 s8, s8, s7
	s_delay_alu instid0(SALU_CYCLE_1) | instskip(NEXT) | instid1(SALU_CYCLE_1)
	s_mul_hi_u32 s8, s7, s8
	s_add_co_i32 s7, s7, s8
	s_delay_alu instid0(SALU_CYCLE_1) | instskip(NEXT) | instid1(SALU_CYCLE_1)
	s_mul_hi_u32 s7, s6, s7
	s_mul_i32 s8, s7, s50
	s_delay_alu instid0(SALU_CYCLE_1)
	s_sub_co_i32 s6, s6, s8
	s_add_co_i32 s8, s7, 1
	s_sub_co_i32 s9, s6, s50
	s_cmp_ge_u32 s6, s50
	s_cselect_b32 s7, s8, s7
	s_cselect_b32 s6, s9, s6
	s_add_co_i32 s8, s7, 1
	s_cmp_ge_u32 s6, s50
	s_cselect_b32 s48, s8, s7
.LBB9_3:
	s_add_co_i32 s6, ttmp9, 1
	s_mov_b32 s7, 0
	s_delay_alu instid0(SALU_CYCLE_1) | instskip(SKIP_2) | instid1(SALU_CYCLE_1)
	s_mul_u64 s[2:3], s[2:3], s[6:7]
	s_mov_b32 s8, s7
	s_mov_b32 s9, s3
	s_cmp_lg_u64 s[8:9], 0
	s_cbranch_scc0 .LBB9_365
; %bb.4:
	s_xor_b64 s[4:5], s[4:5], 0
	s_wait_alu 0xfffe
	s_cvt_f32_u32 s6, s4
	s_cvt_f32_u32 s8, s5
	s_sub_nc_u64 s[10:11], 0, s[4:5]
	s_delay_alu instid0(SALU_CYCLE_2) | instskip(NEXT) | instid1(SALU_CYCLE_3)
	s_fmamk_f32 s6, s8, 0x4f800000, s6
	v_s_rcp_f32 s6, s6
	s_delay_alu instid0(TRANS32_DEP_1) | instskip(SKIP_1) | instid1(SALU_CYCLE_2)
	s_mul_f32 s6, s6, 0x5f7ffffc
	s_wait_alu 0xfffe
	s_mul_f32 s8, s6, 0x2f800000
	s_delay_alu instid0(SALU_CYCLE_3) | instskip(NEXT) | instid1(SALU_CYCLE_3)
	s_trunc_f32 s8, s8
	s_fmamk_f32 s6, s8, 0xcf800000, s6
	s_cvt_u32_f32 s9, s8
	s_wait_alu 0xfffe
	s_delay_alu instid0(SALU_CYCLE_1) | instskip(NEXT) | instid1(SALU_CYCLE_3)
	s_cvt_u32_f32 s8, s6
	s_mul_u64 s[12:13], s[10:11], s[8:9]
	s_delay_alu instid0(SALU_CYCLE_1)
	s_mul_hi_u32 s15, s8, s13
	s_mul_i32 s14, s8, s13
	s_mul_hi_u32 s6, s8, s12
	s_mul_i32 s17, s9, s12
	s_wait_alu 0xfffe
	s_add_nc_u64 s[14:15], s[6:7], s[14:15]
	s_mul_hi_u32 s16, s9, s12
	s_mul_hi_u32 s18, s9, s13
	s_add_co_u32 s6, s14, s17
	s_add_co_ci_u32 s6, s15, s16
	s_mul_i32 s12, s9, s13
	s_add_co_ci_u32 s13, s18, 0
	s_wait_alu 0xfffe
	s_add_nc_u64 s[12:13], s[6:7], s[12:13]
	s_delay_alu instid0(SALU_CYCLE_1) | instskip(SKIP_4) | instid1(SALU_CYCLE_1)
	s_add_co_u32 s8, s8, s12
	s_cselect_b32 s6, -1, 0
	s_wait_alu 0xfffe
	s_cmp_lg_u32 s6, 0
	s_add_co_ci_u32 s9, s9, s13
	s_mul_u64 s[10:11], s[10:11], s[8:9]
	s_wait_alu 0xfffe
	s_mul_hi_u32 s13, s8, s11
	s_mul_i32 s12, s8, s11
	s_mul_hi_u32 s6, s8, s10
	s_mul_i32 s15, s9, s10
	s_wait_alu 0xfffe
	s_add_nc_u64 s[12:13], s[6:7], s[12:13]
	s_mul_hi_u32 s14, s9, s10
	s_mul_hi_u32 s16, s9, s11
	s_add_co_u32 s6, s12, s15
	s_add_co_ci_u32 s6, s13, s14
	s_mul_i32 s10, s9, s11
	s_add_co_ci_u32 s11, s16, 0
	s_wait_alu 0xfffe
	s_add_nc_u64 s[10:11], s[6:7], s[10:11]
	s_wait_alu 0xfffe
	s_add_co_u32 s14, s8, s10
	s_cselect_b32 s6, -1, 0
	s_wait_alu 0xfffe
	s_cmp_lg_u32 s6, 0
	s_add_co_ci_u32 s15, s9, s11
	s_ashr_i32 s8, s3, 31
	s_delay_alu instid0(SALU_CYCLE_1) | instskip(NEXT) | instid1(SALU_CYCLE_1)
	s_mov_b32 s9, s8
	s_add_nc_u64 s[10:11], s[2:3], s[8:9]
	s_wait_alu 0xfffe
	s_xor_b64 s[10:11], s[10:11], s[8:9]
	s_wait_alu 0xfffe
	s_mul_hi_u32 s13, s10, s15
	s_mul_i32 s12, s10, s15
	s_mul_hi_u32 s6, s10, s14
	s_mul_i32 s17, s11, s14
	s_wait_alu 0xfffe
	s_add_nc_u64 s[12:13], s[6:7], s[12:13]
	s_mul_hi_u32 s16, s11, s14
	s_mul_hi_u32 s3, s11, s15
	s_add_co_u32 s6, s12, s17
	s_add_co_ci_u32 s6, s13, s16
	s_mul_i32 s14, s11, s15
	s_add_co_ci_u32 s15, s3, 0
	s_wait_alu 0xfffe
	s_add_nc_u64 s[12:13], s[6:7], s[14:15]
	s_delay_alu instid0(SALU_CYCLE_1) | instskip(NEXT) | instid1(SALU_CYCLE_1)
	s_mul_u64 s[14:15], s[4:5], s[12:13]
	s_sub_co_u32 s3, s10, s14
	s_cselect_b32 s6, -1, 0
	s_sub_co_i32 s10, s11, s15
	s_wait_alu 0xfffe
	s_cmp_lg_u32 s6, 0
	s_sub_co_ci_u32 s10, s10, s5
	s_sub_co_u32 s14, s3, s4
	s_cselect_b32 s16, -1, 0
	s_delay_alu instid0(SALU_CYCLE_1)
	s_cmp_lg_u32 s16, 0
	s_add_nc_u64 s[16:17], s[12:13], 1
	s_wait_alu 0xfffe
	s_sub_co_ci_u32 s10, s10, 0
	s_wait_alu 0xfffe
	s_cmp_ge_u32 s10, s5
	s_cselect_b32 s18, -1, 0
	s_cmp_ge_u32 s14, s4
	s_cselect_b32 s14, -1, 0
	s_cmp_eq_u32 s10, s5
	s_cselect_b32 s10, s14, s18
	s_add_nc_u64 s[18:19], s[12:13], 2
	s_wait_alu 0xfffe
	s_cmp_lg_u32 s10, 0
	s_cselect_b32 s10, s18, s16
	s_cselect_b32 s14, s19, s17
	s_cmp_lg_u32 s6, 0
	s_sub_co_ci_u32 s6, s11, s15
	s_wait_alu 0xfffe
	s_cmp_ge_u32 s6, s5
	s_cselect_b32 s11, -1, 0
	s_cmp_ge_u32 s3, s4
	s_cselect_b32 s3, -1, 0
	s_cmp_eq_u32 s6, s5
	s_wait_alu 0xfffe
	s_cselect_b32 s3, s3, s11
	s_delay_alu instid0(SALU_CYCLE_1)
	s_cmp_lg_u32 s3, 0
	s_cselect_b32 s5, s14, s13
	s_cselect_b32 s4, s10, s12
	s_xor_b64 s[8:9], s[8:9], 0
	s_wait_alu 0xfffe
	s_xor_b64 s[4:5], s[4:5], s[8:9]
	s_wait_alu 0xfffe
	s_sub_nc_u64 s[54:55], s[4:5], s[8:9]
	s_load_b64 s[38:39], s[0:1], 0x5c
	s_and_not1_b32 vcc_lo, exec_lo, s7
	s_cbranch_vccnz .LBB9_6
.LBB9_5:
	v_rcp_iflag_f32_e32 v1, v1
	s_sub_co_i32 s4, 0, s50
	s_delay_alu instid0(TRANS32_DEP_1) | instskip(NEXT) | instid1(VALU_DEP_1)
	v_mul_f32_e32 v1, 0x4f7ffffe, v1
	v_cvt_u32_f32_e32 v1, v1
	s_delay_alu instid0(VALU_DEP_1)
	v_readfirstlane_b32 s3, v1
	s_wait_alu 0xfffe
	s_mul_i32 s4, s4, s3
	s_wait_alu 0xfffe
	s_mul_hi_u32 s4, s3, s4
	s_wait_alu 0xfffe
	s_add_co_i32 s3, s3, s4
	s_delay_alu instid0(SALU_CYCLE_1) | instskip(NEXT) | instid1(SALU_CYCLE_1)
	s_mul_hi_u32 s3, s2, s3
	s_mul_i32 s4, s3, s50
	s_wait_alu 0xfffe
	s_sub_co_i32 s2, s2, s4
	s_add_co_i32 s4, s3, 1
	s_sub_co_i32 s5, s2, s50
	s_cmp_ge_u32 s2, s50
	s_wait_alu 0xfffe
	s_cselect_b32 s3, s4, s3
	s_cselect_b32 s2, s5, s2
	s_add_co_i32 s4, s3, 1
	s_cmp_ge_u32 s2, s50
	s_wait_alu 0xfffe
	s_cselect_b32 s54, s4, s3
.LBB9_6:
	s_abs_i32 s55, s98
                                        ; implicit-def: $vgpr255 : SGPR spill to VGPR lane
	s_ashr_i32 s35, s27, 3
	s_cvt_f32_u32 s2, s55
	s_wait_kmcnt 0x0
	s_ashr_i32 s51, s46, 3
	s_ashr_i32 s93, s98, 31
	v_bfe_u32 v84, v0, 10, 10
	v_rcp_iflag_f32_e32 v1, s2
	s_clause 0x6
	s_load_b512 s[8:23], s[0:1], 0x0
	s_load_b32 s2, s[0:1], 0x40
	s_load_b64 s[6:7], s[0:1], 0x8c
	s_load_b128 s[28:31], s[0:1], 0x98
	s_load_b64 s[4:5], s[0:1], 0xa8
	s_load_b64 s[58:59], s[0:1], 0xb8
	;; [unrolled: 1-line block ×3, first 2 shown]
	s_ashr_i32 s1, s48, 31
	v_bfe_u32 v86, v0, 10, 1
	v_and_b32_e32 v52, 0x3ff, v0
	v_lshrrev_b32_e32 v95, 10, v0
	v_lshlrev_b32_e32 v87, 2, v84
	v_lshlrev_b32_e32 v85, 3, v84
	;; [unrolled: 1-line block ×3, first 2 shown]
	v_readfirstlane_b32 s3, v1
	v_add_nc_u32_e32 v94, 2, v84
	v_add_nc_u32_e32 v93, 4, v84
	;; [unrolled: 1-line block ×4, first 2 shown]
	s_mul_f32 s0, s3, 0x4f7ffffe
	s_abs_i32 s3, s48
	v_add_nc_u32_e32 v90, 10, v84
	v_add_nc_u32_e32 v89, 12, v84
	s_cvt_u32_f32 s0, s0
	s_wait_kmcnt 0x0
	s_ashr_i32 s26, s6, 2
	v_writelane_b32 v255, s4, 0
	s_ashr_i32 s40, s59, 1
	v_add_nc_u32_e32 v88, 14, v84
	s_mov_b32 s57, 0
	s_cvt_f16_f32 s27, s2
	v_writelane_b32 v255, s5, 1
	s_sub_co_i32 s4, 0, s55
	s_mov_b32 s5, s7
	s_wait_alu 0xfffe
	s_mul_i32 s4, s4, s0
	s_mov_b32 s53, s57
	s_wait_alu 0xfffe
	s_mul_hi_u32 s4, s0, s4
	s_wait_alu 0xfffe
	s_add_co_i32 s52, s0, s4
	v_writelane_b32 v255, s4, 2
	s_mul_hi_u32 s0, s3, s52
	s_delay_alu instid0(SALU_CYCLE_1) | instskip(SKIP_2) | instid1(SALU_CYCLE_1)
	s_mul_i32 s0, s0, s55
	v_writelane_b32 v255, s5, 3
	s_sub_co_i32 s0, s3, s0
	s_sub_co_i32 s3, s0, s55
	v_writelane_b32 v255, s28, 4
	s_ashr_i32 s36, s30, 2
	s_cmp_ge_u32 s0, s55
	s_wait_alu 0xfffe
	s_cselect_b32 s0, s3, s0
	v_writelane_b32 v255, s29, 5
	s_sub_co_i32 s3, s0, s55
	s_cmp_ge_u32 s0, s55
	s_wait_alu 0xfffe
	s_cselect_b32 s0, s3, s0
	s_sub_co_i32 s3, s54, s48
	s_xor_b32 s0, s0, s1
	v_writelane_b32 v255, s30, 6
	s_sub_co_i32 s67, s0, s1
	v_cmp_eq_u32_e64 s0, 0, v86
	s_wait_alu 0xfffe
	s_add_co_i32 s1, s3, s67
	s_delay_alu instid0(SALU_CYCLE_1)
	s_min_i32 s34, s98, s1
	s_cmp_gt_i32 s54, s48
	v_writelane_b32 v255, s31, 7
	s_cselect_b32 s3, -1, 0
	s_cmp_le_i32 s54, s48
	s_cselect_b32 s4, -1, 0
	s_cmp_gt_i32 s98, s1
	s_cselect_b32 s1, -1, 0
	s_wait_alu 0xfffe
	s_or_b32 s1, s1, s4
	s_delay_alu instid0(SALU_CYCLE_1)
	s_and_b32 vcc_lo, exec_lo, s1
	s_cbranch_vccz .LBB9_9
; %bb.7:
	s_and_not1_b32 vcc_lo, exec_lo, s3
	s_cbranch_vccz .LBB9_320
.LBB9_8:
	s_endpgm
.LBB9_9:
	v_and_b32_e32 v5, 0x1f0, v85
	v_dual_mov_b32 v159, 0 :: v_dual_lshlrev_b32 v2, 2, v52
	v_lshlrev_b32_e32 v25, 4, v84
	v_bfe_u32 v7, v0, 1, 9
	v_lshlrev_b32_e32 v10, 1, v52
	v_and_or_b32 v11, v0, 14, v5
	v_add_nc_u32_e32 v96, 0, v2
	v_and_b32_e32 v9, 15, v0
	v_add_nc_u32_e32 v13, v7, v25
	v_and_b32_e32 v101, 30, v10
	v_and_b32_e32 v14, 16, v25
	;; [unrolled: 1-line block ×4, first 2 shown]
	v_lshrrev_b32_e32 v17, 1, v11
	v_and_b32_e32 v11, 28, v2
	v_and_b32_e32 v2, 30, v7
	v_mad_u32_u24 v1, 0xb0, v5, 0
	v_mul_u32_u24_e32 v12, 0xb0, v9
	v_and_b32_e32 v26, 48, v0
	v_add_nc_u16 v16, v14, v15
	v_or_b32_e32 v18, 6, v2
	v_or_b32_e32 v2, 7, v2
	v_mad_u32_u24 v19, 0xb0, v13, 0
	v_lshlrev_b32_e32 v21, 2, v10
	v_mad_u32_u24 v14, 0xb0, v14, 0
	v_bfe_u32 v105, v95, 1, 9
	v_bfe_u32 v24, v0, 3, 7
	v_add3_u32 v99, v1, v12, v26
	v_mul_u32_u24_e32 v15, 0xb0, v15
	v_mul_u32_u24_e32 v18, 0xb0, v18
	;; [unrolled: 1-line block ×3, first 2 shown]
	v_add3_u32 v102, v19, v21, 0x80
	v_lshlrev_b32_e32 v19, 1, v9
	v_add3_u32 v106, v14, v12, v26
	v_and_b32_e32 v12, 0x400, v0
	v_add_nc_u32_e32 v27, 1, v105
	v_lshrrev_b16 v16, 1, v16
	v_writelane_b32 v255, s50, 8
	v_add_nc_u32_e32 v6, v87, v24
	v_add3_u32 v108, v14, v15, v19
	v_add3_u32 v109, v14, v18, v19
	;; [unrolled: 1-line block ×3, first 2 shown]
	v_cmp_ne_u32_e64 s43, 0, v12
	v_lshlrev_b32_e32 v12, 1, v27
	v_and_b32_e32 v14, 15, v27
	v_add_nc_u32_e32 v29, 3, v105
	v_and_b32_e32 v16, 0xffff, v16
	v_writelane_b32 v255, s51, 9
	v_and_b32_e32 v97, 7, v0
	v_mad_u32_u24 v20, 0xb0, v6, 0
	v_and_or_b32 v30, 0x60, v12, v14
	v_lshlrev_b32_e32 v14, 1, v29
	v_and_b32_e32 v15, 15, v29
	v_add_nc_u32_e32 v35, 6, v105
	v_mul_u32_u24_e32 v17, 0x50, v17
	v_lshlrev_b32_e32 v16, 2, v16
	v_add_nc_u32_e32 v2, v83, v24
	v_add_nc_u32_e32 v31, 4, v105
	v_writelane_b32 v255, s27, 10
	v_lshlrev_b32_e32 v8, 2, v97
	v_add_nc_u32_e32 v23, 0x580, v20
	v_add_nc_u32_e32 v28, 2, v105
	v_and_or_b32 v34, 0x60, v14, v15
	v_lshlrev_b32_e32 v14, 1, v35
	v_and_b32_e32 v15, 15, v35
	v_add_nc_u32_e32 v69, 9, v105
	s_mov_b32 s4, s58
	s_cmp_eq_u64 s[16:17], 0
	v_add3_u32 v107, 0, v17, v16
	v_lshlrev_b32_e32 v16, 1, v31
	v_and_b32_e32 v17, 15, v31
	v_add_nc_u32_e32 v37, 7, v105
	v_add_nc_u32_e32 v54, 4, v2
	v_bfe_u32 v4, v0, 4, 6
	s_wait_alu 0xfffe
	v_writelane_b32 v255, s4, 11
	v_and_b32_e32 v114, 1, v0
	v_add_nc_u16 v0, v87, v24
	s_cselect_b32 s50, -1, 0
	s_cmp_lg_u64 s[18:19], 0
	v_add_nc_u32_e32 v98, 0, v8
	v_add_nc_u32_e32 v111, v20, v8
	;; [unrolled: 1-line block ×3, first 2 shown]
	v_lshlrev_b32_e32 v8, 1, v28
	v_and_b32_e32 v12, 15, v28
	v_add_nc_u32_e32 v33, 5, v105
	s_cselect_b32 s7, -1, 0
	v_and_or_b32 v42, 0x60, v14, v15
	v_lshlrev_b32_e32 v14, 1, v69
	v_and_b32_e32 v15, 15, v69
	v_add_nc_u32_e32 v47, 12, v105
	s_abs_i32 s104, s96
	v_and_or_b32 v36, 0x60, v16, v17
	v_lshlrev_b32_e32 v16, 1, v37
	v_and_b32_e32 v17, 15, v37
	v_add_nc_u32_e32 v44, 10, v105
	v_lshlrev_b32_e32 v18, 1, v54
	v_and_b32_e32 v19, 15, v54
	v_writelane_b32 v255, s5, 12
	s_cvt_f32_u32 s4, s104
	v_lshrrev_b16 v0, 1, v0
	v_and_or_b32 v32, 0x60, v8, v12
	v_lshlrev_b32_e32 v8, 1, v33
	v_and_b32_e32 v12, 15, v33
	v_add_nc_u32_e32 v39, 8, v105
	v_and_or_b32 v46, 0x60, v14, v15
	v_lshlrev_b32_e32 v14, 1, v47
	v_and_b32_e32 v15, 15, v47
	v_add_nc_u32_e32 v72, 15, v105
	;; [unrolled: 4-line block ×3, first 2 shown]
	v_and_or_b32 v59, 0x3e0, v18, v19
	s_wait_alu 0xfffe
	v_rcp_iflag_f32_e32 v19, s4
	v_and_b32_e32 v116, 0xffff, v0
	v_or_b32_e32 v0, v25, v52
	v_and_or_b32 v38, 0x60, v8, v12
	v_lshlrev_b32_e32 v8, 1, v39
	v_and_b32_e32 v12, 15, v39
	v_add_nc_u32_e32 v70, 11, v105
	v_mul_lo_u32 v18, s36, v13
	s_abs_i32 s102, s97
	v_and_or_b32 v51, 0x60, v14, v15
	v_lshlrev_b32_e32 v14, 1, v72
	v_and_b32_e32 v15, 15, v72
	v_mul_lo_u32 v1, s26, v6
	v_and_or_b32 v48, 0x60, v16, v17
	v_lshlrev_b32_e32 v16, 1, v71
	v_and_b32_e32 v17, 15, v71
	s_cvt_f32_u32 s3, s102
	v_mul_u32_u24_e32 v118, 0xb0, v0
	v_add_nc_u16 v0, v83, v24
	v_and_or_b32 v45, 0x60, v8, v12
	v_lshlrev_b32_e32 v8, 1, v70
	v_and_b32_e32 v12, 15, v70
	v_add_nc_u32_e32 v49, 14, v105
	v_and_or_b32 v56, 0x60, v14, v15
	s_abs_i32 s103, s95
	s_wait_alu 0xfffe
	v_rcp_iflag_f32_e32 v15, s3
	v_and_or_b32 v53, 0x60, v16, v17
	v_lshlrev_b32_e32 v16, 1, v2
	v_and_b32_e32 v17, 15, v2
	v_readfirstlane_b32 s49, v19
	v_ashrrev_i32_e32 v19, 31, v18
	s_lshl_b32 s2, s26, 3
	s_cvt_f32_u32 s3, s103
	v_lshrrev_b16 v0, 1, v0
	v_and_or_b32 v50, 0x60, v8, v12
	v_lshlrev_b32_e32 v8, 1, v49
	v_and_b32_e32 v12, 15, v49
	s_wait_alu 0xfffe
	v_add_nc_u32_e32 v5, s2, v1
	v_add_nc_u32_e32 v60, 12, v2
	v_mul_lo_u32 v3, s26, v13
	s_abs_i32 vcc_hi, s58
	v_lshlrev_b32_e32 v22, 2, v11
	v_and_or_b32 v58, 0x1e0, v16, v17
	v_rcp_iflag_f32_e32 v16, s3
	v_mul_u32_u24_e32 v130, 0xb0, v42
	v_mul_u32_u24_e32 v131, 0xb0, v43
	v_lshlrev_b64_e32 v[42:43], 2, v[18:19]
	s_cvt_f32_u32 s5, vcc_hi
	v_and_b32_e32 v144, 0xffff, v0
	v_lshlrev_b32_e32 v0, 4, v114
	v_and_or_b32 v55, 0x60, v8, v12
	v_mul_lo_u32 v12, s36, v6
	v_add_nc_u32_e32 v7, s2, v5
	v_lshlrev_b32_e32 v14, 1, v60
	v_and_b32_e32 v17, 15, v60
	v_or_b32_e32 v40, v85, v52
	v_readfirstlane_b32 s3, v15
	v_add_nc_u32_e32 v103, v20, v22
	s_wait_alu 0xfffe
	v_rcp_iflag_f32_e32 v20, s5
	v_add_co_u32 v18, vcc_lo, v0, v42
	v_add_nc_u32_e32 v100, v4, v83
	v_ashrrev_i32_e32 v4, 31, v3
	s_lshl_b32 s56, ttmp9, 4
	v_and_or_b32 v62, 0x3e0, v14, v17
	v_add_nc_u32_e32 v14, s2, v7
	s_lshl_b32 s2, s36, 3
	v_lshlrev_b32_e32 v40, 3, v40
	v_add_co_ci_u32_e64 v19, null, 0, v43, vcc_lo
	s_lshl_b64 s[4:5], s[56:57], 3
	s_mul_f32 s3, s3, 0x4f7ffffe
	v_readfirstlane_b32 s6, v16
	s_wait_alu 0xfffe
	v_add_nc_u32_e32 v16, s2, v12
	s_add_nc_u64 s[4:5], s[22:23], s[4:5]
	v_add_nc_u32_e32 v64, v25, v52
	v_or_b32_e32 v25, v25, v9
	v_lshlrev_b32_e32 v152, 2, v9
	v_add_co_u32 v9, vcc_lo, s12, v18
	v_mul_u32_u24_e32 v133, 0xb0, v45
	v_lshrrev_b32_e32 v135, 1, v44
	v_lshlrev_b64_e32 v[44:45], 2, v[3:4]
	s_wait_alu 0xfffe
	v_add_co_u32 v40, s4, s4, v40
	s_cvt_u32_f32 s3, s3
	s_wait_alu 0xfffd
	v_add_co_ci_u32_e64 v18, null, s13, v19, vcc_lo
	v_readfirstlane_b32 s62, v20
	v_add_nc_u32_e32 v20, s2, v16
	v_add_co_ci_u32_e64 v41, null, s5, 0, s4
	s_sub_co_i32 s4, 0, s102
	s_mul_f32 s5, s6, 0x4f7ffffe
	v_add_co_u32 v153, vcc_lo, 0x80, v9
	v_add_nc_u32_e32 v57, 8, v2
	s_wait_alu 0xfffe
	s_mul_i32 s4, s4, s3
	s_wait_alu 0xfffd
	v_add_co_ci_u32_e64 v154, null, 0, v18, vcc_lo
	v_add_co_u32 v0, vcc_lo, v0, v44
	v_ashrrev_i32_e32 v13, 31, v12
	s_wait_alu 0xfffe
	s_mul_hi_u32 s4, s3, s4
	s_cvt_u32_f32 s5, s5
	v_add_nc_u32_e32 v104, v23, v22
	v_add_nc_u32_e32 v22, s2, v20
	s_wait_alu 0xfffd
	v_add_co_ci_u32_e64 v3, null, 0, v45, vcc_lo
	v_ashrrev_i32_e32 v17, 31, v16
	v_lshrrev_b32_e32 v24, 1, v47
	s_wait_alu 0xfffe
	s_add_co_i32 s58, s3, s4
	s_sub_co_i32 s3, 0, s103
	v_lshlrev_b32_e32 v2, 1, v57
	v_and_b32_e32 v8, 15, v57
	v_ashrrev_i32_e32 v21, 31, v20
	s_wait_alu 0xfffe
	s_mul_i32 s3, s3, s5
	v_add_co_u32 v0, vcc_lo, s10, v0
	v_mul_u32_u24_e32 v134, 0xb0, v46
	v_lshlrev_b64_e32 v[46:47], 2, v[12:13]
	v_ashrrev_i32_e32 v23, 31, v22
	s_wait_alu 0xfffe
	s_mul_hi_u32 s3, s5, s3
	s_mul_f32 s4, s49, 0x4f7ffffe
	s_wait_alu 0xfffd
	v_add_co_ci_u32_e64 v3, null, s11, v3, vcc_lo
	v_mul_u32_u24_e32 v136, 0xb0, v48
	scratch_store_b32 off, v24, off         ; 4-byte Folded Spill
	v_lshrrev_b32_e32 v24, 1, v49
	v_lshlrev_b64_e32 v[48:49], 2, v[16:17]
	v_and_or_b32 v61, 0x3e0, v2, v8
	v_ashrrev_i32_e32 v2, 31, v1
	s_wait_alu 0xfffe
	s_add_co_i32 s60, s5, s3
	s_mul_f32 s3, s62, 0x4f7ffffe
	v_mul_u32_u24_e32 v137, 0xb0, v50
	v_mul_u32_u24_e32 v139, 0xb0, v51
	v_lshlrev_b64_e32 v[50:51], 2, v[20:21]
	v_add_co_u32 v155, vcc_lo, 0x80, v0
	v_mul_u32_u24_e32 v113, 0xb0, v6
	v_add_nc_u32_e32 v63, 8, v6
	v_ashrrev_i32_e32 v6, 31, v5
	s_cvt_u32_f32 s4, s4
	v_mul_u32_u24_e32 v140, 0xb0, v55
	v_lshrrev_b32_e32 v146, 1, v54
	v_lshlrev_b64_e32 v[54:55], 2, v[22:23]
	s_wait_alu 0xfffd
	v_add_co_ci_u32_e64 v156, null, 0, v3, vcc_lo
	v_add_co_u32 v183, vcc_lo, s12, v46
	v_ashrrev_i32_e32 v8, 31, v7
	s_sub_co_i32 s5, 0, s104
	s_wait_alu 0xfffe
	s_cvt_u32_f32 s3, s3
	v_mul_u32_u24_e32 v142, 0xb0, v56
	v_lshrrev_b32_e32 v148, 1, v57
	v_lshlrev_b64_e32 v[56:57], 2, v[1:2]
	s_wait_alu 0xfffd
	v_add_co_ci_u32_e64 v184, null, s13, v47, vcc_lo
	v_add_co_u32 v185, vcc_lo, s12, v48
	v_ashrrev_i32_e32 v15, 31, v14
	v_mul_u32_u24_e32 v138, 0xb0, v53
	s_mul_i32 s5, s5, s4
	s_sub_co_i32 s6, 0, vcc_hi
	v_bfe_u32 v53, v52, 3, 1
	v_mul_u32_u24_e32 v145, 0xb0, v58
	v_mul_u32_u24_e32 v147, 0xb0, v59
	v_lshlrev_b64_e32 v[58:59], 2, v[5:6]
	v_add_co_ci_u32_e64 v186, null, s13, v49, vcc_lo
	v_add_co_u32 v187, vcc_lo, s12, v50
	s_wait_alu 0xfffe
	s_mul_hi_u32 s5, s4, s5
	s_mul_i32 s6, s6, s3
	v_add_nc_u32_e32 v115, 0, v26
	v_bfe_u32 v26, v84, 1, 4
	v_mul_u32_u24_e32 v149, 0xb0, v61
	v_lshrrev_b32_e32 v150, 1, v60
	v_lshlrev_b64_e32 v[60:61], 2, v[7:8]
	s_wait_alu 0xfffd
	v_add_co_ci_u32_e64 v188, null, s13, v51, vcc_lo
	v_add_co_u32 v189, vcc_lo, s12, v54
	v_writelane_b32 v255, s51, 13
	s_ashr_i32 s41, s40, 31
	s_wait_alu 0xfffe
	s_add_co_i32 s62, s4, s5
	s_mul_hi_u32 s4, s3, s6
	v_lshrrev_b32_e32 v117, 1, v63
	v_mul_u32_u24_e32 v151, 0xb0, v62
	v_mul_lo_u32 v4, s51, v53
	v_lshlrev_b64_e32 v[62:63], 2, v[14:15]
	s_wait_alu 0xfffd
	v_add_co_ci_u32_e64 v190, null, s13, v55, vcc_lo
	v_add_co_u32 v191, vcc_lo, s10, v56
	s_wait_alu 0xfffe
	s_add_co_i32 s64, s3, s4
	s_lshl_b64 s[4:5], s[40:41], 1
	s_wait_alu 0xfffd
	v_add_co_ci_u32_e64 v192, null, s11, v57, vcc_lo
	v_add_co_u32 v193, vcc_lo, s10, v58
	v_and_or_b32 v26, v95, 32, v26
	s_wait_alu 0xfffe
	v_writelane_b32 v255, s4, 14
	s_wait_alu 0xfffd
	v_add_co_ci_u32_e64 v194, null, s11, v59, vcc_lo
	v_add_co_u32 v195, vcc_lo, s10, v60
	v_mad_co_u64_u32 v[73:74], null, v86, s51, v[52:53]
	s_wait_alu 0xfffd
	v_add_co_ci_u32_e64 v196, null, s11, v61, vcc_lo
	v_add_co_u32 v197, vcc_lo, s10, v62
	v_cmp_gt_u32_e64 s2, 16, v52
	v_mul_u32_u24_e32 v119, 0xb0, v64
	v_mul_u32_u24_e32 v120, 0xb0, v25
	;; [unrolled: 1-line block ×4, first 2 shown]
	v_lshrrev_b32_e32 v123, 1, v28
	v_mul_u32_u24_e32 v124, 0xb0, v32
	v_mul_u32_u24_e32 v125, 0xb0, v34
	v_lshrrev_b32_e32 v126, 1, v31
	v_mul_u32_u24_e32 v127, 0xb0, v36
	v_mul_u32_u24_e32 v128, 0xb0, v38
	v_lshrrev_b32_e32 v129, 1, v35
	v_lshrrev_b32_e32 v132, 1, v39
	v_lshlrev_b32_e32 v157, 2, v10
	v_lshlrev_b32_e32 v158, 2, v11
	v_add3_u32 v64, v4, v97, 32
	v_mul_u32_u24_e32 v160, 0x50, v100
	v_add_nc_u32_e32 v161, 4, v100
	v_lshl_add_u32 v162, v101, 1, 0
	v_add_nc_u32_e32 v163, 0x580, v104
	v_add_nc_u32_e32 v164, 0xb00, v104
	v_mul_u32_u24_e32 v165, 0xb0, v84
	v_lshrrev_b32_e32 v166, 1, v94
	v_lshrrev_b32_e32 v167, 1, v93
	;; [unrolled: 1-line block ×7, first 2 shown]
	v_bfe_u32 v173, v95, 2, 8
	v_lshrrev_b32_e32 v174, 1, v27
	v_and_b32_e32 v65, 1, v27
	v_lshrrev_b32_e32 v175, 1, v29
	v_and_b32_e32 v66, 1, v29
	;; [unrolled: 2-line block ×8, first 2 shown]
	v_lshlrev_b32_e32 v182, 4, v97
	s_wait_alu 0xfffd
	v_add_co_ci_u32_e64 v198, null, s11, v63, vcc_lo
	v_mbcnt_lo_u32_b32 v199, -1, 0
	v_writelane_b32 v255, s5, 15
	v_bfe_u32 v74, v84, 1, 1
	s_and_b32 s101, 0xffff, s27
	s_ashr_i32 s27, s26, 31
	s_ashr_i32 s37, s36, 31
	s_mul_i32 s101, s101, 0x10001
	s_ashr_i32 s100, s97, 31
	s_mov_b32 s59, s57
	s_ashr_i32 s99, s95, 31
	s_mov_b32 s61, s57
	;; [unrolled: 2-line block ×3, first 2 shown]
	s_mov_b32 s65, s57
	s_wait_alu 0xfffe
	s_lshl_b64 s[68:69], s[36:37], 7
	s_lshl_b64 s[70:71], s[26:27], 7
	scratch_store_b32 off, v24, off offset:4 ; 4-byte Folded Spill
	s_branch .LBB9_12
.LBB9_10:                               ;   in Loop: Header=BB9_12 Depth=1
	s_wait_alu 0xfffe
	s_or_b32 exec_lo, exec_lo, s6
	s_wait_loadcnt 0x0
	s_wait_storecnt 0x0
	s_barrier_signal -1
	s_barrier_wait -1
.LBB9_11:                               ;   in Loop: Header=BB9_12 Depth=1
	s_add_co_i32 s3, s48, s98
	s_mov_b32 s67, 0
	s_wait_alu 0xfffe
	s_abs_i32 s56, s3
	s_wait_storecnt 0x0
	global_inv scope:SCOPE_SE
	s_wait_alu 0xfffe
	s_mul_u64 s[4:5], s[56:57], s[52:53]
	s_wait_alu 0xfffe
	s_mul_i32 s4, s5, s55
	s_ashr_i32 s5, s3, 31
	s_wait_alu 0xfffe
	s_sub_co_i32 s4, s56, s4
	s_wait_alu 0xfffe
	s_sub_co_i32 s6, s4, s55
	s_cmp_ge_u32 s4, s55
	s_wait_alu 0xfffe
	s_cselect_b32 s4, s6, s4
	s_wait_alu 0xfffe
	s_sub_co_i32 s6, s4, s55
	s_cmp_ge_u32 s4, s55
	s_wait_alu 0xfffe
	s_cselect_b32 s4, s6, s4
	s_wait_alu 0xfffe
	s_xor_b32 s4, s4, s5
	s_wait_alu 0xfffe
	s_sub_co_i32 s4, s5, s4
	s_wait_alu 0xfffe
	s_add_co_i32 s48, s3, s4
	s_delay_alu instid0(SALU_CYCLE_1)
	s_sub_co_i32 s4, s54, s48
	s_wait_alu 0xfffe
	s_min_i32 s34, s98, s4
	s_cmp_gt_i32 s54, s48
	s_cselect_b32 s3, -1, 0
	s_cmp_le_i32 s98, s4
	s_cselect_b32 s4, -1, 0
	s_wait_alu 0xfffe
	s_and_b32 s4, s4, s3
	s_wait_alu 0xfffe
	s_and_b32 vcc_lo, exec_lo, s4
	s_wait_alu 0xfffe
	s_cbranch_vccz .LBB9_319
.LBB9_12:                               ; =>This Loop Header: Depth=1
                                        ;     Child Loop BB9_213 Depth 2
                                        ;     Child Loop BB9_59 Depth 2
	s_abs_i32 s56, s48
	s_ashr_i32 s3, s48, 31
	s_wait_alu 0xfffe
	s_mul_u64 s[4:5], s[56:57], s[58:59]
	s_xor_b32 s3, s3, s100
	s_wait_alu 0xfffe
	s_mul_i32 s4, s5, s102
	s_add_co_i32 s6, s5, 1
	s_wait_alu 0xfffe
	s_sub_co_i32 s4, s56, s4
	s_wait_alu 0xfffe
	s_sub_co_i32 s41, s4, s102
	s_cmp_ge_u32 s4, s102
	s_cselect_b32 s5, s6, s5
	s_wait_alu 0xfffe
	s_cselect_b32 s4, s41, s4
	s_add_co_i32 s6, s5, 1
	s_wait_alu 0xfffe
	s_cmp_ge_u32 s4, s102
	s_cselect_b32 s4, s6, s5
	s_wait_alu 0xfffe
	s_xor_b32 s4, s4, s3
	s_wait_alu 0xfffe
	s_sub_co_i32 s4, s4, s3
	s_wait_alu 0xfffe
	s_mul_i32 s3, s4, s97
	s_wait_alu 0xfffe
	s_sub_co_i32 s5, s48, s3
	s_wait_alu 0xfffe
	s_abs_i32 s56, s5
	s_ashr_i32 s3, s5, 31
	s_wait_alu 0xfffe
	s_mul_u64 s[72:73], s[56:57], s[60:61]
	s_xor_b32 s3, s3, s99
	s_wait_alu 0xfffe
	s_mul_i32 s6, s73, s103
	s_add_co_i32 s41, s73, 1
	s_wait_alu 0xfffe
	s_sub_co_i32 s6, s56, s6
	s_wait_alu 0xfffe
	s_sub_co_i32 s56, s6, s103
	s_cmp_ge_u32 s6, s103
	s_cselect_b32 s41, s41, s73
	s_wait_alu 0xfffe
	s_cselect_b32 s6, s56, s6
	s_add_co_i32 s56, s41, 1
	s_wait_alu 0xfffe
	s_cmp_ge_u32 s6, s103
	s_cselect_b32 s6, s56, s41
	s_wait_alu 0xfffe
	s_xor_b32 s6, s6, s3
	s_wait_alu 0xfffe
	s_sub_co_i32 s3, s6, s3
	s_wait_alu 0xfffe
	s_mul_i32 s6, s3, s95
	s_wait_alu 0xfffe
	s_sub_co_i32 s6, s5, s6
	s_wait_alu 0xfffe
	s_abs_i32 s56, s6
	s_ashr_i32 s5, s6, 31
	s_wait_alu 0xfffe
	s_mul_u64 s[72:73], s[56:57], s[62:63]
	s_xor_b32 s5, s5, s49
	s_wait_alu 0xfffe
	s_mul_i32 s41, s73, s104
	s_wait_alu 0xfffe
	s_sub_co_i32 s41, s56, s41
	s_add_co_i32 s56, s73, 1
	s_wait_alu 0xfffe
	s_sub_co_i32 s66, s41, s104
	s_cmp_ge_u32 s41, s104
	s_cselect_b32 s56, s56, s73
	s_wait_alu 0xfffe
	s_cselect_b32 s41, s66, s41
	s_add_co_i32 s66, s56, 1
	s_wait_alu 0xfffe
	s_cmp_ge_u32 s41, s104
	s_cselect_b32 s41, s66, s56
	s_wait_alu 0xfffe
	s_xor_b32 s41, s41, s5
	s_wait_alu 0xfffe
	s_sub_co_i32 s5, s41, s5
	s_wait_alu 0xfffe
	s_mul_i32 s41, s5, s96
	s_wait_alu 0xfffe
	s_sub_co_i32 s6, s6, s41
	s_wait_alu 0xfffe
	s_abs_i32 s56, s6
	s_ashr_i32 s6, s6, 31
	s_wait_alu 0xfffe
	s_mul_u64 s[72:73], s[56:57], s[52:53]
	s_xor_b32 s6, s6, s93
	s_wait_alu 0xfffe
	s_mul_i32 s41, s73, s55
	s_wait_alu 0xfffe
	s_sub_co_i32 s41, s56, s41
	s_add_co_i32 s56, s73, 1
	s_wait_alu 0xfffe
	s_sub_co_i32 s66, s41, s55
	s_cmp_ge_u32 s41, s55
	s_cselect_b32 s56, s56, s73
	s_wait_alu 0xfffe
	s_cselect_b32 s41, s66, s41
	s_add_co_i32 s66, s56, 1
	s_wait_alu 0xfffe
	s_cmp_ge_u32 s41, s55
	s_cselect_b32 s41, s66, s56
	s_and_not1_b32 vcc_lo, exec_lo, s7
	s_wait_alu 0xfffe
	s_xor_b32 s41, s41, s6
	s_wait_alu 0xfffe
	s_sub_co_i32 s94, s41, s6
	s_cbranch_vccnz .LBB9_14
; %bb.13:                               ;   in Loop: Header=BB9_12 Depth=1
	s_mul_i32 s6, s4, s42
	s_wait_alu 0xfffe
	s_add_co_i32 s72, s94, s6
	s_wait_alu 0xfffe
	s_ashr_i32 s73, s72, 31
	s_wait_alu 0xfffe
	s_lshl_b64 s[72:73], s[72:73], 2
	s_wait_alu 0xfffe
	s_add_nc_u64 s[72:73], s[18:19], s[72:73]
	global_load_b32 v0, v159, s[72:73]
	s_wait_loadcnt 0x0
	v_readfirstlane_b32 s6, v0
	s_ashr_i32 s41, s6, 31
	s_wait_alu 0xfffe
	s_lshr_b32 s41, s41, 27
	s_wait_alu 0xfffe
	s_add_co_i32 s6, s6, s41
	s_wait_alu 0xfffe
	s_ashr_i32 s6, s6, 5
	s_wait_alu 0xfffe
	s_min_i32 s34, s34, s6
.LBB9_14:                               ;   in Loop: Header=BB9_12 Depth=1
	s_abs_i32 s56, s4
	s_mul_i32 s6, s3, s33
	s_lshl_b32 s41, s5, 1
	s_wait_alu 0xfffe
	s_mul_u64 s[76:77], s[56:57], s[64:65]
	s_add_co_i32 s74, s41, s6
	s_mul_i32 s6, s77, vcc_hi
	v_readlane_b32 s76, v255, 2
	v_readlane_b32 s77, v255, 3
	s_mul_i32 s72, s4, s47
	s_mul_i32 s78, s74, s46
	s_wait_alu 0xfffe
	s_ashr_i32 s73, s72, 31
	s_sub_co_i32 s6, s56, s6
	s_mul_i32 s82, s3, s77
	s_ashr_i32 s79, s78, 31
	s_ashr_i32 s5, s4, 31
	;; [unrolled: 1-line block ×3, first 2 shown]
	s_wait_alu 0xfffe
	s_sub_co_i32 s56, s6, vcc_hi
	s_add_nc_u64 s[72:73], s[8:9], s[72:73]
	s_cmp_ge_u32 s6, vcc_hi
	s_wait_alu 0xfffe
	s_add_nc_u64 s[90:91], s[72:73], s[78:79]
	v_readlane_b32 s76, v255, 4
	s_cselect_b32 s6, s56, s6
	v_readlane_b32 s77, v255, 5
	s_wait_alu 0xfffe
	s_sub_co_i32 s56, s6, vcc_hi
	s_cmp_ge_u32 s6, vcc_hi
	v_readlane_b32 s79, v255, 7
	s_wait_alu 0xfffe
	s_cselect_b32 s6, s56, s6
	s_mul_u64 s[84:85], s[76:77], s[4:5]
	s_wait_alu 0xfffe
	s_xor_b32 s6, s6, s5
	s_add_nc_u64 s[72:73], s[10:11], s[84:85]
	s_mul_i32 s56, s24, s25
	v_readlane_b32 s28, v255, 0
	v_readlane_b32 s78, v255, 6
	;; [unrolled: 1-line block ×3, first 2 shown]
	s_mov_b32 s31, s79
	s_wait_alu 0xfffe
	s_add_nc_u64 s[78:79], s[72:73], s[82:83]
	s_sub_co_i32 s72, s6, s5
	s_mul_i32 s56, s56, s4
	s_wait_alu 0xfffe
	s_ashr_i32 s73, s72, 31
	s_add_co_i32 s6, s74, s56
	s_ashr_i32 s75, s74, 31
	s_wait_alu 0xfffe
	s_mul_u64 s[72:73], s[44:45], s[72:73]
	s_mul_i32 s56, s6, 40
	s_mul_u64 s[86:87], s[28:29], s[4:5]
	s_mul_i32 s88, s3, s31
	s_lshl_b64 s[74:75], s[74:75], 2
	v_or_b32_e32 v79, s41, v86
	s_wait_alu 0xfffe
	s_add_nc_u64 s[80:81], s[14:15], s[72:73]
	s_lshl_b64 s[72:73], s[56:57], 3
	s_add_nc_u64 s[4:5], s[12:13], s[86:87]
	s_ashr_i32 s89, s88, 31
	s_add_nc_u64 s[74:75], s[16:17], s[74:75]
	s_and_b32 s3, s50, exec_lo
	s_wait_alu 0xfffe
	s_add_nc_u64 s[72:73], s[20:21], s[72:73]
	s_cselect_b32 s75, 0, s75
	s_cselect_b32 s74, 0, s74
	s_cmp_lg_u32 s67, 0
	s_add_nc_u64 s[76:77], s[4:5], s[88:89]
	s_cbranch_scc0 .LBB9_61
; %bb.15:                               ;   in Loop: Header=BB9_12 Depth=1
	s_lshl_b32 s56, s94, 3
	v_cmp_le_i32_e64 s4, s33, v79
	s_wait_alu 0xfffe
	v_add_nc_u32_e32 v0, s56, v105
	v_cmp_gt_i32_e32 vcc_lo, s33, v79
	s_delay_alu instid0(VALU_DEP_2)
	v_cmp_le_i32_e64 s3, s24, v0
	s_or_b32 s3, s3, s4
	s_wait_alu 0xfffe
	s_and_saveexec_b32 s4, s3
	s_wait_alu 0xfffe
	s_xor_b32 s3, exec_lo, s4
; %bb.16:                               ;   in Loop: Header=BB9_12 Depth=1
	v_add_nc_u32_e32 v0, v96, v165
	ds_store_b32 v0, v159
                                        ; implicit-def: $vgpr0
; %bb.17:                               ;   in Loop: Header=BB9_12 Depth=1
	s_wait_alu 0xfffe
	s_and_not1_saveexec_b32 s4, s3
	s_cbranch_execz .LBB9_19
; %bb.18:                               ;   in Loop: Header=BB9_12 Depth=1
	v_mad_co_u64_u32 v[0:1], null, v0, s35, v[73:74]
	s_delay_alu instid0(VALU_DEP_1) | instskip(NEXT) | instid1(VALU_DEP_1)
	v_ashrrev_i32_e32 v1, 31, v0
	v_lshlrev_b64_e32 v[0:1], 3, v[0:1]
	s_delay_alu instid0(VALU_DEP_1) | instskip(SKIP_1) | instid1(VALU_DEP_2)
	v_add_co_u32 v0, s3, s90, v0
	s_wait_alu 0xf1ff
	v_add_co_ci_u32_e64 v1, null, s91, v1, s3
	global_load_b64 v[0:1], v[0:1], off
	s_wait_loadcnt 0x0
	v_cvt_f16_f32_e32 v0, v0
	v_cvt_f16_f32_e32 v1, v1
	s_delay_alu instid0(VALU_DEP_1) | instskip(SKIP_1) | instid1(VALU_DEP_2)
	v_pack_b32_f16 v0, v0, v1
	v_add_nc_u32_e32 v1, v96, v165
	v_pk_mul_f16 v0, v0, s101
	ds_store_b32 v1, v0
.LBB9_19:                               ;   in Loop: Header=BB9_12 Depth=1
	s_wait_alu 0xfffe
	s_or_b32 exec_lo, exec_lo, s4
	v_add_nc_u32_e32 v0, s56, v166
	s_xor_b32 s4, vcc_lo, -1
	s_delay_alu instid0(VALU_DEP_1)
	v_cmp_le_i32_e64 s3, s24, v0
	s_wait_alu 0xfffe
	s_or_b32 s3, s3, s4
	s_wait_alu 0xfffe
	s_and_saveexec_b32 s5, s3
	s_wait_alu 0xfffe
	s_xor_b32 s3, exec_lo, s5
; %bb.20:                               ;   in Loop: Header=BB9_12 Depth=1
	v_add_nc_u32_e32 v0, v96, v165
	ds_store_b32 v0, v159 offset:352
                                        ; implicit-def: $vgpr0
; %bb.21:                               ;   in Loop: Header=BB9_12 Depth=1
	s_wait_alu 0xfffe
	s_and_not1_saveexec_b32 s3, s3
	s_cbranch_execz .LBB9_23
; %bb.22:                               ;   in Loop: Header=BB9_12 Depth=1
	v_mad_co_u64_u32 v[0:1], null, v0, s35, v[73:74]
	s_delay_alu instid0(VALU_DEP_1) | instskip(NEXT) | instid1(VALU_DEP_1)
	v_ashrrev_i32_e32 v1, 31, v0
	v_lshlrev_b64_e32 v[0:1], 3, v[0:1]
	s_delay_alu instid0(VALU_DEP_1) | instskip(SKIP_1) | instid1(VALU_DEP_2)
	v_add_co_u32 v0, vcc_lo, s90, v0
	s_wait_alu 0xfffd
	v_add_co_ci_u32_e64 v1, null, s91, v1, vcc_lo
	global_load_b64 v[0:1], v[0:1], off
	s_wait_loadcnt 0x0
	v_cvt_f16_f32_e32 v0, v0
	v_cvt_f16_f32_e32 v1, v1
	s_delay_alu instid0(VALU_DEP_1) | instskip(SKIP_1) | instid1(VALU_DEP_2)
	v_pack_b32_f16 v0, v0, v1
	v_add_nc_u32_e32 v1, v96, v165
	v_pk_mul_f16 v0, v0, s101
	ds_store_b32 v1, v0 offset:352
.LBB9_23:                               ;   in Loop: Header=BB9_12 Depth=1
	s_wait_alu 0xfffe
	s_or_b32 exec_lo, exec_lo, s3
	v_add_nc_u32_e32 v0, s56, v167
	s_delay_alu instid0(VALU_DEP_1)
	v_cmp_le_i32_e32 vcc_lo, s24, v0
	s_or_b32 s3, vcc_lo, s4
	s_wait_alu 0xfffe
	s_and_saveexec_b32 s5, s3
	s_wait_alu 0xfffe
	s_xor_b32 s3, exec_lo, s5
; %bb.24:                               ;   in Loop: Header=BB9_12 Depth=1
	v_add_nc_u32_e32 v0, v96, v165
	ds_store_b32 v0, v159 offset:704
                                        ; implicit-def: $vgpr0
; %bb.25:                               ;   in Loop: Header=BB9_12 Depth=1
	s_wait_alu 0xfffe
	s_and_not1_saveexec_b32 s3, s3
	s_cbranch_execz .LBB9_27
; %bb.26:                               ;   in Loop: Header=BB9_12 Depth=1
	v_mad_co_u64_u32 v[0:1], null, v0, s35, v[73:74]
	s_delay_alu instid0(VALU_DEP_1) | instskip(NEXT) | instid1(VALU_DEP_1)
	v_ashrrev_i32_e32 v1, 31, v0
	v_lshlrev_b64_e32 v[0:1], 3, v[0:1]
	s_delay_alu instid0(VALU_DEP_1) | instskip(SKIP_1) | instid1(VALU_DEP_2)
	v_add_co_u32 v0, vcc_lo, s90, v0
	s_wait_alu 0xfffd
	v_add_co_ci_u32_e64 v1, null, s91, v1, vcc_lo
	global_load_b64 v[0:1], v[0:1], off
	s_wait_loadcnt 0x0
	v_cvt_f16_f32_e32 v0, v0
	v_cvt_f16_f32_e32 v1, v1
	s_delay_alu instid0(VALU_DEP_1) | instskip(SKIP_1) | instid1(VALU_DEP_2)
	v_pack_b32_f16 v0, v0, v1
	v_add_nc_u32_e32 v1, v96, v165
	v_pk_mul_f16 v0, v0, s101
	ds_store_b32 v1, v0 offset:704
.LBB9_27:                               ;   in Loop: Header=BB9_12 Depth=1
	s_wait_alu 0xfffe
	s_or_b32 exec_lo, exec_lo, s3
	v_add_nc_u32_e32 v0, s56, v168
	s_delay_alu instid0(VALU_DEP_1)
	v_cmp_le_i32_e32 vcc_lo, s24, v0
	s_or_b32 s3, vcc_lo, s4
	;; [unrolled: 37-line block ×6, first 2 shown]
	s_wait_alu 0xfffe
	s_and_saveexec_b32 s4, s3
	s_wait_alu 0xfffe
	s_xor_b32 s3, exec_lo, s4
; %bb.44:                               ;   in Loop: Header=BB9_12 Depth=1
	v_add_nc_u32_e32 v0, v96, v165
	ds_store_b32 v0, v159 offset:2464
                                        ; implicit-def: $vgpr0
; %bb.45:                               ;   in Loop: Header=BB9_12 Depth=1
	s_wait_alu 0xfffe
	s_and_not1_saveexec_b32 s3, s3
	s_cbranch_execz .LBB9_47
; %bb.46:                               ;   in Loop: Header=BB9_12 Depth=1
	v_mad_co_u64_u32 v[0:1], null, v0, s35, v[73:74]
	s_delay_alu instid0(VALU_DEP_1) | instskip(NEXT) | instid1(VALU_DEP_1)
	v_ashrrev_i32_e32 v1, 31, v0
	v_lshlrev_b64_e32 v[0:1], 3, v[0:1]
	s_delay_alu instid0(VALU_DEP_1) | instskip(SKIP_1) | instid1(VALU_DEP_2)
	v_add_co_u32 v0, vcc_lo, s90, v0
	s_wait_alu 0xfffd
	v_add_co_ci_u32_e64 v1, null, s91, v1, vcc_lo
	global_load_b64 v[0:1], v[0:1], off
	s_wait_loadcnt 0x0
	v_cvt_f16_f32_e32 v0, v0
	v_cvt_f16_f32_e32 v1, v1
	s_delay_alu instid0(VALU_DEP_1) | instskip(SKIP_1) | instid1(VALU_DEP_2)
	v_pack_b32_f16 v0, v0, v1
	v_add_nc_u32_e32 v1, v96, v165
	v_pk_mul_f16 v0, v0, s101
	ds_store_b32 v1, v0 offset:2464
.LBB9_47:                               ;   in Loop: Header=BB9_12 Depth=1
	s_wait_alu 0xfffe
	s_or_b32 exec_lo, exec_lo, s3
	v_or_b32_e32 v1, s41, v53
	v_add_nc_u32_e32 v0, s56, v116
	s_delay_alu instid0(VALU_DEP_2) | instskip(NEXT) | instid1(VALU_DEP_2)
	v_cmp_le_i32_e32 vcc_lo, s33, v1
	v_cmp_le_i32_e64 s4, s24, v0
	v_cmp_gt_i32_e64 s3, s33, v1
	s_or_b32 s4, s4, vcc_lo
	s_wait_alu 0xfffe
	s_and_saveexec_b32 s5, s4
	s_wait_alu 0xfffe
	s_xor_b32 s4, exec_lo, s5
; %bb.48:                               ;   in Loop: Header=BB9_12 Depth=1
	ds_store_b32 v111, v159 offset:128
                                        ; implicit-def: $vgpr0
; %bb.49:                               ;   in Loop: Header=BB9_12 Depth=1
	s_wait_alu 0xfffe
	s_and_not1_saveexec_b32 s4, s4
	s_cbranch_execz .LBB9_51
; %bb.50:                               ;   in Loop: Header=BB9_12 Depth=1
	v_mad_co_u64_u32 v[0:1], null, v0, s35, v[64:65]
	s_delay_alu instid0(VALU_DEP_1) | instskip(NEXT) | instid1(VALU_DEP_1)
	v_ashrrev_i32_e32 v1, 31, v0
	v_lshlrev_b64_e32 v[0:1], 3, v[0:1]
	s_delay_alu instid0(VALU_DEP_1) | instskip(SKIP_1) | instid1(VALU_DEP_2)
	v_add_co_u32 v0, vcc_lo, s90, v0
	s_wait_alu 0xfffd
	v_add_co_ci_u32_e64 v1, null, s91, v1, vcc_lo
	global_load_b64 v[0:1], v[0:1], off
	s_wait_loadcnt 0x0
	v_cvt_f16_f32_e32 v0, v0
	v_cvt_f16_f32_e32 v1, v1
	s_delay_alu instid0(VALU_DEP_1) | instskip(SKIP_1) | instid1(VALU_DEP_2)
	v_pack_b32_f16 v0, v0, v1
	v_add_nc_u32_e32 v1, v98, v113
	v_pk_mul_f16 v0, v0, s101
	ds_store_b32 v1, v0 offset:128
.LBB9_51:                               ;   in Loop: Header=BB9_12 Depth=1
	s_wait_alu 0xfffe
	s_or_b32 exec_lo, exec_lo, s4
	v_add_nc_u32_e32 v0, s56, v117
	s_xor_b32 s4, s3, -1
	s_delay_alu instid0(VALU_DEP_1)
	v_cmp_le_i32_e32 vcc_lo, s24, v0
	s_wait_alu 0xfffe
	s_or_b32 s4, vcc_lo, s4
	s_wait_alu 0xfffe
	s_and_saveexec_b32 s5, s4
	s_wait_alu 0xfffe
	s_xor_b32 s4, exec_lo, s5
; %bb.52:                               ;   in Loop: Header=BB9_12 Depth=1
	ds_store_b32 v112, v159 offset:128
                                        ; implicit-def: $vgpr0
; %bb.53:                               ;   in Loop: Header=BB9_12 Depth=1
	s_wait_alu 0xfffe
	s_and_not1_saveexec_b32 s4, s4
	s_cbranch_execz .LBB9_55
; %bb.54:                               ;   in Loop: Header=BB9_12 Depth=1
	v_mad_co_u64_u32 v[0:1], null, v0, s35, v[64:65]
	s_delay_alu instid0(VALU_DEP_1) | instskip(NEXT) | instid1(VALU_DEP_1)
	v_ashrrev_i32_e32 v1, 31, v0
	v_lshlrev_b64_e32 v[0:1], 3, v[0:1]
	s_delay_alu instid0(VALU_DEP_1) | instskip(SKIP_1) | instid1(VALU_DEP_2)
	v_add_co_u32 v0, vcc_lo, s90, v0
	s_wait_alu 0xfffd
	v_add_co_ci_u32_e64 v1, null, s91, v1, vcc_lo
	global_load_b64 v[0:1], v[0:1], off
	s_wait_loadcnt 0x0
	v_cvt_f16_f32_e32 v0, v0
	v_cvt_f16_f32_e32 v1, v1
	s_delay_alu instid0(VALU_DEP_1) | instskip(SKIP_1) | instid1(VALU_DEP_2)
	v_pack_b32_f16 v0, v0, v1
	v_add_nc_u32_e32 v1, v98, v113
	v_pk_mul_f16 v0, v0, s101
	ds_store_b32 v1, v0 offset:1536
.LBB9_55:                               ;   in Loop: Header=BB9_12 Depth=1
	s_wait_alu 0xfffe
	s_or_b32 exec_lo, exec_lo, s4
	s_wait_storecnt_dscnt 0x0
	s_barrier_signal -1
	s_barrier_wait -1
	global_inv scope:SCOPE_SE
	ds_load_b128 v[32:35], v99
	ds_load_b128 v[36:39], v99 offset:32
	ds_load_b128 v[28:31], v99 offset:64
	;; [unrolled: 1-line block ×4, first 2 shown]
	v_add_nc_u32_e32 v2, s56, v100
	v_add_nc_u32_e32 v1, s56, v161
	s_add_co_i32 s66, s34, -1
	s_mov_b32 s4, -1
	s_wait_alu 0xfffe
	s_cmp_lt_i32 s67, s66
	v_mul_hi_u32 v3, s38, v2
	v_mul_hi_u32 v0, s38, v1
	s_wait_loadcnt_dscnt 0x0
	s_barrier_signal -1
	s_barrier_wait -1
	global_inv scope:SCOPE_SE
                                        ; implicit-def: $vgpr77_vgpr78
                                        ; implicit-def: $vgpr75_vgpr76
                                        ; implicit-def: $vgpr82
                                        ; implicit-def: $vgpr200
	s_cbranch_scc1 .LBB9_57
; %bb.56:                               ;   in Loop: Header=BB9_12 Depth=1
	v_add_nc_u32_e32 v4, v2, v3
	v_dual_mov_b32 v200, 32 :: v_dual_add_nc_u32 v5, v1, v0
	v_xor_b32_e32 v82, 16, v199
	s_mov_b32 s4, 0
	s_delay_alu instid0(VALU_DEP_3) | instskip(NEXT) | instid1(VALU_DEP_3)
	v_lshrrev_b32_e32 v4, s39, v4
	v_lshrrev_b32_e32 v5, s39, v5
	s_delay_alu instid0(VALU_DEP_2) | instskip(NEXT) | instid1(VALU_DEP_2)
	v_mul_lo_u32 v4, v4, s24
	v_mul_lo_u32 v5, v5, s24
	s_delay_alu instid0(VALU_DEP_2) | instskip(NEXT) | instid1(VALU_DEP_2)
	v_sub_nc_u32_e32 v4, v2, v4
	v_sub_nc_u32_e32 v5, v1, v5
	s_delay_alu instid0(VALU_DEP_2) | instskip(NEXT) | instid1(VALU_DEP_2)
	v_mad_co_i64_i32 v[77:78], null, v4, s40, 0
	v_mad_co_i64_i32 v[75:76], null, v5, s40, 0
.LBB9_57:                               ;   in Loop: Header=BB9_12 Depth=1
	s_wait_alu 0xfffe
	s_and_not1_b32 vcc_lo, exec_lo, s4
	s_wait_alu 0xfffe
	s_cbranch_vccnz .LBB9_62
; %bb.58:                               ;   in Loop: Header=BB9_12 Depth=1
	v_dual_mov_b32 v200, 32 :: v_dual_add_nc_u32 v3, v2, v3
	v_dual_mov_b32 v81, 0xfeffffff :: v_dual_add_nc_u32 v0, v1, v0
	v_xor_b32_e32 v82, 16, v199
	s_delay_alu instid0(VALU_DEP_3) | instskip(SKIP_1) | instid1(VALU_DEP_4)
	v_lshrrev_b32_e32 v3, s39, v3
	v_readlane_b32 s4, v255, 0
	v_lshrrev_b32_e32 v5, s39, v0
	s_mov_b32 s28, s2
	v_cmp_gt_i32_e32 vcc_lo, 32, v82
	v_mul_lo_u32 v3, v3, s24
	s_mov_b32 s2, s95
	v_mul_lo_u32 v5, v5, s24
	s_mov_b32 s95, s97
	s_wait_alu 0xfffd
	v_cndmask_b32_e32 v6, v199, v82, vcc_lo
	v_mov_b32_e32 v0, 0
	s_mov_b32 s1, s96
	s_mov_b64 s[96:97], s[64:65]
	v_sub_nc_u32_e32 v2, v2, v3
	v_lshlrev_b32_e32 v203, 2, v6
	v_sub_nc_u32_e32 v1, v1, v5
	v_lshlrev_b32_e32 v4, 1, v101
	v_dual_mov_b32 v80, 0 :: v_dual_mov_b32 v17, v0
	v_mad_co_i64_i32 v[77:78], null, v2, s40, 0
	s_delay_alu instid0(VALU_DEP_4)
	v_mad_co_i64_i32 v[75:76], null, v1, s40, 0
	v_mov_b32_e32 v1, v0
	v_add_co_u32 v201, s4, s80, v4
	s_wait_alu 0xf1ff
	v_add_co_ci_u32_e64 v202, null, s81, 0, s4
	v_dual_mov_b32 v2, v0 :: v_dual_mov_b32 v19, v0
	v_dual_mov_b32 v3, v0 :: v_dual_mov_b32 v16, v0
	;; [unrolled: 1-line block ×8, first 2 shown]
	v_mov_b32_e32 v6, v0
	s_mov_b64 s[64:65], s[62:63]
	s_mov_b64 s[62:63], s[60:61]
	;; [unrolled: 1-line block ×3, first 2 shown]
	s_mov_b32 s58, s49
	s_mov_b32 s49, s99
	;; [unrolled: 1-line block ×5, first 2 shown]
	s_mov_b64 s[50:51], s[44:45]
	s_lshl_b32 s92, s67, 5
	v_readlane_b32 s5, v255, 1
.LBB9_59:                               ;   Parent Loop BB9_12 Depth=1
                                        ; =>  This Inner Loop Header: Depth=2
	s_ashr_i32 s93, s92, 31
	v_lshlrev_b64_e32 v[204:205], 1, v[77:78]
	s_lshl_b64 s[4:5], s[92:93], 1
	v_lshlrev_b64_e32 v[206:207], 1, v[75:76]
	s_wait_alu 0xfffe
	v_add_co_u32 v141, vcc_lo, v201, s4
	s_wait_alu 0xf1fd
	v_add_co_ci_u32_e64 v143, null, s5, v202, vcc_lo
	s_mul_u64 s[4:5], s[92:93], s[26:27]
	v_add_co_u32 v204, vcc_lo, v141, v204
	s_wait_alu 0xfffd
	v_add_co_ci_u32_e64 v205, null, v143, v205, vcc_lo
	v_add_co_u32 v206, vcc_lo, v141, v206
	s_wait_alu 0xfffd
	v_add_co_ci_u32_e64 v207, null, v143, v207, vcc_lo
	s_clause 0x1
	global_load_b32 v141, v[204:205], off
	global_load_b32 v143, v[206:207], off
	v_add_nc_u32_e32 v204, v162, v160
	s_wait_alu 0xfffe
	s_lshl_b64 s[4:5], s[4:5], 2
	s_add_co_i32 s67, s67, 1
	s_wait_alu 0xfffe
	s_add_nc_u64 s[4:5], s[78:79], s[4:5]
	v_add_nc_u32_e32 v204, 0x1400, v204
	s_wait_loadcnt 0x0
	ds_store_2addr_b32 v204, v141, v143 offset0:128 offset1:208
	s_wait_alu 0xfffe
	v_add_co_u32 v141, vcc_lo, s4, v44
	s_wait_alu 0xfffd
	v_add_co_ci_u32_e64 v143, null, s5, v45, vcc_lo
	s_delay_alu instid0(VALU_DEP_2) | instskip(SKIP_1) | instid1(VALU_DEP_2)
	v_add_co_u32 v204, vcc_lo, v141, v157
	s_wait_alu 0xfffd
	v_add_co_ci_u32_e64 v205, null, 0, v143, vcc_lo
	v_add_co_u32 v141, vcc_lo, s4, v56
	s_wait_alu 0xfffd
	v_add_co_ci_u32_e64 v143, null, s5, v57, vcc_lo
	s_delay_alu instid0(VALU_DEP_2) | instskip(SKIP_1) | instid1(VALU_DEP_2)
	v_add_co_u32 v208, vcc_lo, v141, v158
	s_wait_alu 0xfffd
	v_add_co_ci_u32_e64 v209, null, 0, v143, vcc_lo
	s_clause 0x1
	global_load_b128 v[204:207], v[204:205], off offset:128
	global_load_b128 v[208:211], v[208:209], off
	v_add_co_u32 v141, vcc_lo, s4, v58
	s_wait_alu 0xfffd
	v_add_co_ci_u32_e64 v143, null, s5, v59, vcc_lo
	s_wait_loadcnt 0x1
	ds_store_b128 v102, v[204:207]
	v_add_co_u32 v204, vcc_lo, v141, v158
	s_wait_alu 0xfffd
	v_add_co_ci_u32_e64 v205, null, 0, v143, vcc_lo
	v_add_co_u32 v141, vcc_lo, s4, v60
	s_wait_alu 0xfffd
	v_add_co_ci_u32_e64 v143, null, s5, v61, vcc_lo
	s_delay_alu instid0(VALU_DEP_2) | instskip(SKIP_1) | instid1(VALU_DEP_2)
	v_add_co_u32 v212, vcc_lo, v141, v158
	s_wait_alu 0xfffd
	v_add_co_ci_u32_e64 v213, null, 0, v143, vcc_lo
	s_clause 0x1
	global_load_b128 v[204:207], v[204:205], off
	global_load_b128 v[212:215], v[212:213], off
	v_add_co_u32 v141, vcc_lo, s4, v62
	s_wait_alu 0xfffd
	v_add_co_ci_u32_e64 v143, null, s5, v63, vcc_lo
	s_mul_u64 s[4:5], s[92:93], s[36:37]
	s_add_co_i32 s92, s92, 32
	s_wait_alu 0xfffe
	s_lshl_b64 s[4:5], s[4:5], 2
	s_cmp_lt_i32 s67, s66
	s_wait_alu 0xfffe
	s_add_nc_u64 s[4:5], s[76:77], s[4:5]
	s_wait_loadcnt 0x2
	ds_store_b128 v103, v[208:211]
	s_wait_loadcnt 0x1
	ds_store_b128 v104, v[204:207]
	v_add_co_u32 v204, vcc_lo, v141, v158
	s_wait_alu 0xfffd
	v_add_co_ci_u32_e64 v205, null, 0, v143, vcc_lo
	global_load_b128 v[204:207], v[204:205], off
	s_wait_loadcnt 0x1
	ds_store_b128 v163, v[212:215]
	s_wait_loadcnt 0x0
	ds_store_b128 v164, v[204:207]
	s_wait_dscnt 0x0
	s_barrier_signal -1
	s_barrier_wait -1
	global_inv scope:SCOPE_SE
	ds_load_b128 v[212:215], v106
	ds_load_b128 v[216:219], v106 offset:32
	s_wait_dscnt 0x1
	v_wmma_f32_16x16x16_f16 v[204:211], v[212:215], v[32:35], 0
	s_wait_dscnt 0x0
	s_delay_alu instid0(VALU_DEP_1)
	v_wmma_f32_16x16x16_f16 v[204:211], v[216:219], v[36:39], v[204:211]
	ds_load_b128 v[212:215], v106 offset:64
	ds_load_b128 v[216:219], v106 offset:96
	s_wait_dscnt 0x1
	v_wmma_f32_16x16x16_f16 v[204:211], v[212:215], v[28:31], v[204:211]
	ds_load_b128 v[212:215], v106 offset:128
	s_wait_loadcnt_dscnt 0x0
	s_barrier_signal -1
	s_barrier_wait -1
	v_wmma_f32_16x16x16_f16 v[204:211], v[216:219], v[24:27], v[204:211]
	global_inv scope:SCOPE_SE
	v_wmma_f32_16x16x16_f16 v[204:211], v[212:215], v[20:23], v[204:211]
	v_add_nc_u32_e32 v141, 0x1600, v107
	v_add_nc_u32_e32 v143, 0x1608, v107
	ds_load_2addr_b32 v[212:213], v141 offset1:1
	ds_load_2addr_b32 v[214:215], v143 offset1:1
	s_wait_dscnt 0x1
	v_lshrrev_b32_e32 v143, 16, v212
	v_cvt_f32_f16_e64 v141, v212
	s_wait_dscnt 0x0
	v_cvt_f32_f16_e64 v216, v214
	v_lshrrev_b32_e32 v214, 16, v214
	v_cvt_f32_f16_e64 v212, v213
	v_cvt_f32_f16_e64 v143, v143
	v_lshrrev_b32_e32 v213, 16, v213
	v_lshrrev_b32_e32 v217, 16, v215
	v_cvt_f32_f16_e64 v214, v214
	v_add_f32_e32 v141, v204, v141
	s_wait_alu 0xfffe
	v_add_co_u32 v204, vcc_lo, s4, v42
	v_add_f32_e32 v143, v205, v143
	s_wait_alu 0xfffd
	v_add_co_ci_u32_e64 v205, null, s5, v43, vcc_lo
	v_cvt_f32_f16_e64 v213, v213
	v_add_co_u32 v204, vcc_lo, v204, v157
	v_add_f32_e32 v218, v206, v212
	s_wait_alu 0xfffd
	v_add_co_ci_u32_e64 v205, null, 0, v205, vcc_lo
	v_add_co_u32 v206, vcc_lo, s4, v46
	v_add_f32_e32 v219, v207, v213
	s_wait_alu 0xfffd
	v_add_co_ci_u32_e64 v207, null, s5, v47, vcc_lo
	v_add_f32_e32 v216, v208, v216
	v_add_co_u32 v208, vcc_lo, v206, v158
	v_cvt_f32_f16_e64 v215, v215
	v_cvt_f32_f16_e64 v217, v217
	v_add_f32_e32 v220, v209, v214
	s_wait_alu 0xfffd
	v_add_co_ci_u32_e64 v209, null, 0, v207, vcc_lo
	v_add_f32_e32 v221, v210, v215
	v_add_f32_e32 v217, v211, v217
	s_clause 0x1
	global_load_b128 v[204:207], v[204:205], off offset:128
	global_load_b128 v[208:211], v[208:209], off
	s_wait_loadcnt 0x1
	ds_store_b128 v102, v[204:207]
	v_add_co_u32 v204, vcc_lo, s4, v48
	s_wait_alu 0xfffd
	v_add_co_ci_u32_e64 v205, null, s5, v49, vcc_lo
	s_delay_alu instid0(VALU_DEP_2) | instskip(SKIP_1) | instid1(VALU_DEP_2)
	v_add_co_u32 v204, vcc_lo, v204, v158
	s_wait_alu 0xfffd
	v_add_co_ci_u32_e64 v205, null, 0, v205, vcc_lo
	v_add_co_u32 v206, vcc_lo, s4, v50
	s_wait_alu 0xfffd
	v_add_co_ci_u32_e64 v207, null, s5, v51, vcc_lo
	s_delay_alu instid0(VALU_DEP_2) | instskip(SKIP_1) | instid1(VALU_DEP_2)
	v_add_co_u32 v212, vcc_lo, v206, v158
	s_wait_alu 0xfffd
	v_add_co_ci_u32_e64 v213, null, 0, v207, vcc_lo
	s_clause 0x1
	global_load_b128 v[204:207], v[204:205], off
	global_load_b128 v[212:215], v[212:213], off
	s_wait_loadcnt 0x2
	ds_store_b128 v103, v[208:211]
	s_wait_loadcnt 0x1
	ds_store_b128 v104, v[204:207]
	v_add_co_u32 v204, vcc_lo, s4, v54
	s_wait_alu 0xfffd
	v_add_co_ci_u32_e64 v205, null, s5, v55, vcc_lo
	v_mov_b32_e32 v208, v81
	s_delay_alu instid0(VALU_DEP_3) | instskip(SKIP_1) | instid1(VALU_DEP_3)
	v_add_co_u32 v204, vcc_lo, v204, v158
	s_wait_alu 0xfffd
	v_add_co_ci_u32_e64 v205, null, 0, v205, vcc_lo
	v_add_f32_e32 v81, 0x40051340, v141
	global_load_b128 v[204:207], v[204:205], off
	s_wait_loadcnt 0x1
	ds_store_b128 v163, v[212:215]
	s_wait_loadcnt 0x0
	ds_store_b128 v164, v[204:207]
	v_add_f32_e32 v204, 0x40051340, v143
	v_add_f32_e32 v205, 0x40051340, v219
	s_wait_dscnt 0x0
	s_barrier_signal -1
	s_barrier_wait -1
	v_max3_num_f32 v81, v208, v81, v204
	v_add_f32_e32 v204, 0x40051340, v218
	global_inv scope:SCOPE_SE
	v_max3_num_f32 v81, v81, v204, v205
	v_add_f32_e32 v204, 0x40051340, v216
	v_add_f32_e32 v205, 0x40051340, v220
	s_delay_alu instid0(VALU_DEP_1) | instskip(SKIP_2) | instid1(VALU_DEP_1)
	v_max3_num_f32 v81, v81, v204, v205
	v_add_f32_e32 v204, 0x40051340, v221
	v_add_f32_e32 v205, 0x40051340, v217
	v_max3_num_f32 v81, v81, v204, v205
	ds_bpermute_b32 v204, v203, v81
	s_wait_dscnt 0x0
	v_max_num_f32_e32 v204, v204, v204
	s_delay_alu instid0(VALU_DEP_1) | instskip(NEXT) | instid1(VALU_DEP_1)
	v_max_num_f32_e32 v81, v81, v204
	v_sub_f32_e32 v204, v216, v81
	s_delay_alu instid0(VALU_DEP_1) | instskip(NEXT) | instid1(VALU_DEP_1)
	v_mul_f32_e32 v205, 0x3fb8aa3b, v204
	v_fma_f32 v206, 0x3fb8aa3b, v204, -v205
	v_rndne_f32_e32 v207, v205
	s_delay_alu instid0(VALU_DEP_1) | instskip(SKIP_2) | instid1(VALU_DEP_3)
	v_dual_sub_f32 v205, v205, v207 :: v_dual_fmac_f32 v206, 0x32a5705f, v204
	v_cvt_i32_f32_e32 v207, v207
	v_cmp_ngt_f32_e64 s6, 0xc2ce8ed0, v204
	v_dual_add_f32 v205, v205, v206 :: v_dual_sub_f32 v206, v220, v81
	s_delay_alu instid0(VALU_DEP_1) | instskip(SKIP_1) | instid1(VALU_DEP_2)
	v_mul_f32_e32 v209, 0x3fb8aa3b, v206
	v_cmp_ngt_f32_e32 vcc_lo, 0xc2ce8ed0, v206
	v_fma_f32 v210, 0x3fb8aa3b, v206, -v209
	v_rndne_f32_e32 v211, v209
	s_delay_alu instid0(VALU_DEP_1) | instskip(SKIP_3) | instid1(VALU_DEP_4)
	v_dual_fmac_f32 v210, 0x32a5705f, v206 :: v_dual_sub_f32 v209, v209, v211
	v_sub_f32_e32 v143, v143, v81
	v_cvt_i32_f32_e32 v211, v211
	v_sub_f32_e32 v141, v141, v81
	v_dual_sub_f32 v208, v208, v81 :: v_dual_add_f32 v209, v209, v210
	v_sub_f32_e32 v210, v221, v81
	s_delay_alu instid0(VALU_DEP_1) | instskip(SKIP_1) | instid1(VALU_DEP_2)
	v_mul_f32_e32 v212, 0x3fb8aa3b, v210
	v_cmp_ngt_f32_e64 s4, 0xc2ce8ed0, v210
	v_fma_f32 v213, 0x3fb8aa3b, v210, -v212
	v_rndne_f32_e32 v214, v212
	s_delay_alu instid0(VALU_DEP_2) | instskip(NEXT) | instid1(VALU_DEP_2)
	v_fmac_f32_e32 v213, 0x32a5705f, v210
	v_sub_f32_e32 v212, v212, v214
	s_delay_alu instid0(VALU_DEP_1) | instskip(SKIP_2) | instid1(VALU_DEP_2)
	v_add_f32_e32 v212, v212, v213
	v_sub_f32_e32 v213, v217, v81
	v_exp_f32_e32 v205, v205
	v_exp_f32_e32 v212, v212
	s_delay_alu instid0(VALU_DEP_1) | instskip(SKIP_1) | instid1(VALU_DEP_2)
	v_mul_f32_e32 v215, 0x3fb8aa3b, v213
	v_cmp_ngt_f32_e64 s5, 0xc2ce8ed0, v213
	v_fma_f32 v216, 0x3fb8aa3b, v213, -v215
	v_rndne_f32_e32 v217, v215
	s_delay_alu instid0(TRANS32_DEP_2) | instskip(SKIP_1) | instid1(VALU_DEP_4)
	v_ldexp_f32 v205, v205, v207
	v_cvt_i32_f32_e32 v207, v214
	v_fmac_f32_e32 v216, 0x32a5705f, v213
	s_delay_alu instid0(VALU_DEP_4) | instskip(SKIP_1) | instid1(VALU_DEP_3)
	v_sub_f32_e32 v215, v215, v217
	v_exp_f32_e32 v209, v209
	v_ldexp_f32 v207, v212, v207
	s_wait_alu 0xf1ff
	v_cndmask_b32_e64 v205, 0, v205, s6
	v_cmp_nlt_f32_e64 s6, 0x42b17218, v204
	v_add_f32_e32 v215, v215, v216
	s_wait_alu 0xf1ff
	s_delay_alu instid0(VALU_DEP_2) | instskip(NEXT) | instid1(VALU_DEP_2)
	v_cndmask_b32_e64 v228, 0x7f800000, v205, s6
	v_exp_f32_e32 v212, v215
	s_delay_alu instid0(TRANS32_DEP_2) | instskip(SKIP_1) | instid1(VALU_DEP_3)
	v_ldexp_f32 v209, v209, v211
	v_cvt_i32_f32_e32 v211, v217
	v_cvt_f16_f32_e64 v204, v228
	s_wait_alu 0xfffd
	s_delay_alu instid0(VALU_DEP_3) | instskip(SKIP_3) | instid1(TRANS32_DEP_1)
	v_cndmask_b32_e32 v209, 0, v209, vcc_lo
	v_cmp_nlt_f32_e32 vcc_lo, 0x42b17218, v206
	v_cndmask_b32_e64 v206, 0, v207, s4
	v_cmp_nlt_f32_e64 s4, 0x42b17218, v210
	v_ldexp_f32 v211, v212, v211
	s_wait_alu 0xfffd
	v_cndmask_b32_e32 v231, 0x7f800000, v209, vcc_lo
	s_wait_alu 0xf1ff
	v_cndmask_b32_e64 v229, 0x7f800000, v206, s4
	v_cndmask_b32_e64 v207, 0, v211, s5
	v_cmp_nlt_f32_e64 s5, 0x42b17218, v213
	v_cvt_f16_f32_e64 v209, v231
	s_delay_alu instid0(VALU_DEP_4) | instskip(SKIP_1) | instid1(VALU_DEP_3)
	v_cvt_f16_f32_e64 v205, v229
	s_wait_alu 0xf1ff
	v_cndmask_b32_e64 v230, 0x7f800000, v207, s5
	s_delay_alu instid0(VALU_DEP_1) | instskip(NEXT) | instid1(VALU_DEP_1)
	v_cvt_f16_f32_e64 v206, v230
	v_perm_b32 v207, v206, v205, 0x5040100
	v_perm_b32 v206, v209, v204, 0x5040100
	v_sub_f32_e32 v204, v219, v81
	s_delay_alu instid0(VALU_DEP_1) | instskip(SKIP_1) | instid1(VALU_DEP_2)
	v_mul_f32_e32 v205, 0x3fb8aa3b, v204
	v_cmp_ngt_f32_e32 vcc_lo, 0xc2ce8ed0, v204
	v_fma_f32 v209, 0x3fb8aa3b, v204, -v205
	v_rndne_f32_e32 v210, v205
	s_delay_alu instid0(VALU_DEP_2) | instskip(NEXT) | instid1(VALU_DEP_2)
	v_fmac_f32_e32 v209, 0x32a5705f, v204
	v_sub_f32_e32 v205, v205, v210
	v_cvt_i32_f32_e32 v210, v210
	s_delay_alu instid0(VALU_DEP_2) | instskip(SKIP_1) | instid1(VALU_DEP_2)
	v_add_f32_e32 v205, v205, v209
	v_sub_f32_e32 v209, v218, v81
	v_exp_f32_e32 v205, v205
	s_delay_alu instid0(VALU_DEP_1) | instskip(SKIP_1) | instid1(VALU_DEP_2)
	v_mul_f32_e32 v211, 0x3fb8aa3b, v209
	v_cmp_ngt_f32_e64 s4, 0xc2ce8ed0, v209
	v_fma_f32 v212, 0x3fb8aa3b, v209, -v211
	v_rndne_f32_e32 v213, v211
	s_delay_alu instid0(TRANS32_DEP_1) | instskip(NEXT) | instid1(VALU_DEP_3)
	v_ldexp_f32 v205, v205, v210
	v_fmac_f32_e32 v212, 0x32a5705f, v209
	s_delay_alu instid0(VALU_DEP_3)
	v_sub_f32_e32 v211, v211, v213
	v_cvt_i32_f32_e32 v210, v213
	s_wait_alu 0xfffd
	v_cndmask_b32_e32 v205, 0, v205, vcc_lo
	v_cmp_nlt_f32_e32 vcc_lo, 0x42b17218, v204
	v_add_f32_e32 v211, v211, v212
	s_wait_alu 0xfffd
	s_delay_alu instid0(VALU_DEP_3) | instskip(NEXT) | instid1(VALU_DEP_2)
	v_cndmask_b32_e32 v233, 0x7f800000, v205, vcc_lo
	v_exp_f32_e32 v211, v211
	v_cmp_ngt_f32_e32 vcc_lo, 0xc2ce8ed0, v143
	s_delay_alu instid0(VALU_DEP_2) | instskip(NEXT) | instid1(TRANS32_DEP_1)
	v_cvt_f16_f32_e64 v205, v233
	v_ldexp_f32 v210, v211, v210
	s_wait_alu 0xf1ff
	s_delay_alu instid0(VALU_DEP_1) | instskip(SKIP_2) | instid1(VALU_DEP_1)
	v_cndmask_b32_e64 v204, 0, v210, s4
	v_cmp_nlt_f32_e64 s4, 0x42b17218, v209
	s_wait_alu 0xf1ff
	v_cndmask_b32_e64 v232, 0x7f800000, v204, s4
	v_cmp_ngt_f32_e64 s4, 0xc2ce8ed0, v141
	s_delay_alu instid0(VALU_DEP_2) | instskip(NEXT) | instid1(VALU_DEP_1)
	v_cvt_f16_f32_e64 v204, v232
	v_perm_b32 v205, v205, v204, 0x5040100
	v_mul_f32_e32 v204, 0x3fb8aa3b, v143
	s_delay_alu instid0(VALU_DEP_1) | instskip(SKIP_1) | instid1(VALU_DEP_1)
	v_fma_f32 v209, 0x3fb8aa3b, v143, -v204
	v_rndne_f32_e32 v210, v204
	v_dual_fmac_f32 v209, 0x32a5705f, v143 :: v_dual_sub_f32 v204, v204, v210
	v_cvt_i32_f32_e32 v210, v210
	s_delay_alu instid0(VALU_DEP_2) | instskip(SKIP_1) | instid1(VALU_DEP_2)
	v_add_f32_e32 v204, v204, v209
	v_mul_f32_e32 v209, 0x3fb8aa3b, v141
	v_exp_f32_e32 v204, v204
	s_delay_alu instid0(VALU_DEP_1) | instskip(SKIP_1) | instid1(VALU_DEP_2)
	v_fma_f32 v211, 0x3fb8aa3b, v141, -v209
	v_rndne_f32_e32 v212, v209
	v_fmac_f32_e32 v211, 0x32a5705f, v141
	s_delay_alu instid0(VALU_DEP_2) | instskip(NEXT) | instid1(TRANS32_DEP_1)
	v_sub_f32_e32 v209, v209, v212
	v_ldexp_f32 v204, v204, v210
	v_cvt_i32_f32_e32 v210, v212
	s_wait_alu 0xfffd
	s_delay_alu instid0(VALU_DEP_2) | instskip(SKIP_1) | instid1(VALU_DEP_2)
	v_dual_add_f32 v209, v209, v211 :: v_dual_cndmask_b32 v204, 0, v204
	v_cmp_nlt_f32_e32 vcc_lo, 0x42b17218, v143
	v_exp_f32_e32 v209, v209
	s_delay_alu instid0(TRANS32_DEP_1) | instskip(SKIP_1) | instid1(VALU_DEP_1)
	v_ldexp_f32 v209, v209, v210
	s_wait_alu 0xf1ff
	v_cndmask_b32_e64 v143, 0, v209, s4
	v_cmp_nlt_f32_e64 s4, 0x42b17218, v141
	s_wait_alu 0xf1ff
	s_delay_alu instid0(VALU_DEP_1) | instskip(SKIP_3) | instid1(VALU_DEP_3)
	v_cndmask_b32_e64 v141, 0x7f800000, v143, s4
	s_wait_alu 0xfffd
	v_cndmask_b32_e32 v143, 0x7f800000, v204, vcc_lo
	v_cmp_ngt_f32_e32 vcc_lo, 0xc2ce8ed0, v208
	v_cvt_f16_f32_e64 v204, v141
	s_delay_alu instid0(VALU_DEP_3) | instskip(SKIP_2) | instid1(VALU_DEP_3)
	v_cvt_f16_f32_e64 v209, v143
	v_add_f32_e32 v141, v141, v143
	v_mov_b32_e32 v143, v80
	v_perm_b32 v204, v209, v204, 0x5040100
	v_mul_f32_e32 v209, 0x3fb8aa3b, v208
	s_delay_alu instid0(VALU_DEP_4) | instskip(NEXT) | instid1(VALU_DEP_2)
	v_add_f32_e32 v141, v232, v141
	v_fma_f32 v210, 0x3fb8aa3b, v208, -v209
	v_rndne_f32_e32 v211, v209
	s_delay_alu instid0(VALU_DEP_2) | instskip(NEXT) | instid1(VALU_DEP_2)
	v_dual_add_f32 v141, v233, v141 :: v_dual_fmac_f32 v210, 0x32a5705f, v208
	v_sub_f32_e32 v209, v209, v211
	s_delay_alu instid0(VALU_DEP_2) | instskip(NEXT) | instid1(VALU_DEP_2)
	v_add_f32_e32 v141, v228, v141
	v_add_f32_e32 v209, v209, v210
	v_cvt_i32_f32_e32 v210, v211
	s_delay_alu instid0(VALU_DEP_3) | instskip(NEXT) | instid1(VALU_DEP_3)
	v_add_f32_e32 v141, v231, v141
	v_exp_f32_e32 v209, v209
	s_delay_alu instid0(VALU_DEP_1) | instskip(NEXT) | instid1(VALU_DEP_1)
	v_add_f32_e32 v141, v229, v141
	v_add_f32_e32 v80, v230, v141
	s_delay_alu instid0(TRANS32_DEP_1) | instskip(SKIP_1) | instid1(VALU_DEP_1)
	v_ldexp_f32 v209, v209, v210
	s_wait_alu 0xfffd
	v_cndmask_b32_e32 v209, 0, v209, vcc_lo
	v_cmp_nlt_f32_e32 vcc_lo, 0x42b17218, v208
	s_wait_alu 0xfffd
	s_delay_alu instid0(VALU_DEP_2) | instskip(SKIP_2) | instid1(VALU_DEP_2)
	v_cndmask_b32_e32 v209, 0x7f800000, v209, vcc_lo
	v_cmp_le_f32_e32 vcc_lo, 0xc1a00000, v208
	s_wait_alu 0xfffd
	v_cndmask_b32_e32 v234, 0, v209, vcc_lo
	s_delay_alu instid0(VALU_DEP_1) | instskip(SKIP_1) | instid1(VALU_DEP_2)
	v_cvt_f16_f32_e64 v208, v234
	v_fmac_f32_e32 v80, v143, v234
	v_and_b32_e32 v208, 0xffff, v208
	s_delay_alu instid0(VALU_DEP_1)
	v_mul_u32_u24_e32 v235, 0x10001, v208
	ds_load_u16 v210, v108 offset:768
	ds_load_u16 v211, v109 offset:64
	;; [unrolled: 1-line block ×13, first 2 shown]
	ds_load_u16 v220, v108
	ds_load_u16 v219, v109 offset:128
	s_wait_dscnt 0xe
	ds_load_u16_d16_hi v210, v108 offset:944
	ds_load_u16 v223, v109
	s_wait_dscnt 0xf
	ds_load_u16_d16_hi v211, v110 offset:64
	s_wait_dscnt 0xf
	ds_load_u16_d16_hi v208, v108 offset:240
	;; [unrolled: 2-line block ×3, first 2 shown]
	ds_load_u16 v222, v108 offset:704
	s_wait_dscnt 0xf
	ds_load_u16_d16_hi v212, v108 offset:272
	s_wait_dscnt 0xd
	ds_load_u16_d16_hi v221, v108 offset:528
	ds_load_u16_d16_hi v216, v108 offset:304
	s_wait_dscnt 0xe
	ds_load_u16_d16_hi v224, v108 offset:208
	s_wait_dscnt 0xc
	ds_load_u16_d16_hi v213, v108 offset:624
	ds_load_u16_d16_hi v217, v108 offset:656
	;; [unrolled: 1-line block ×5, first 2 shown]
	s_wait_dscnt 0xf
	ds_load_u16_d16_hi v219, v110 offset:128
	v_pk_mul_f16 v12, v12, v235
	v_pk_mul_f16 v13, v13, v235
	;; [unrolled: 1-line block ×5, first 2 shown]
	s_wait_dscnt 0xe
	ds_load_u16_d16_hi v223, v110
	ds_load_u16_d16_hi v220, v108 offset:176
	s_wait_dscnt 0xc
	ds_load_u16_d16_hi v222, v108 offset:880
	ds_load_u16 v215, v109 offset:96
	ds_load_u16 v218, v108 offset:832
	ds_load_u16 v227, v109 offset:32
	s_wait_dscnt 0x1
	ds_load_u16_d16_hi v218, v108 offset:1008
	s_wait_dscnt 0x1
	ds_load_u16_d16_hi v227, v110 offset:32
	ds_load_u16_d16_hi v215, v110 offset:96
	v_pk_mul_f16 v17, v17, v235
	v_pk_mul_f16 v18, v18, v235
	;; [unrolled: 1-line block ×15, first 2 shown]
	v_wmma_f16_16x16x16_f16 v[12:15], v[208:211], v[204:207], v[12:15]
	v_wmma_f16_16x16x16_f16 v[16:19], v[220:223], v[204:207], v[16:19]
	s_wait_loadcnt_dscnt 0x0
	v_wmma_f16_16x16x16_f16 v[0:3], v[224:227], v[204:207], v[0:3]
	v_wmma_f16_16x16x16_f16 v[8:11], v[212:215], v[204:207], v[8:11]
	;; [unrolled: 1-line block ×3, first 2 shown]
	s_barrier_signal -1
	s_barrier_wait -1
	global_inv scope:SCOPE_SE
	s_cbranch_scc1 .LBB9_59
; %bb.60:                               ;   in Loop: Header=BB9_12 Depth=1
	s_mov_b64 s[44:45], s[50:51]
	s_mov_b32 s50, s99
	s_mov_b32 s93, s7
	;; [unrolled: 1-line block ×5, first 2 shown]
	s_mov_b64 s[58:59], s[60:61]
	s_mov_b64 s[60:61], s[62:63]
	;; [unrolled: 1-line block ×4, first 2 shown]
	s_mov_b32 s96, s1
	s_mov_b32 s97, s95
	;; [unrolled: 1-line block ×4, first 2 shown]
	s_branch .LBB9_63
.LBB9_61:                               ;   in Loop: Header=BB9_12 Depth=1
	s_cbranch_execz .LBB9_11
	s_branch .LBB9_169
.LBB9_62:                               ;   in Loop: Header=BB9_12 Depth=1
	v_dual_mov_b32 v7, 0 :: v_dual_mov_b32 v80, 0
	s_delay_alu instid0(VALU_DEP_1)
	v_dual_mov_b32 v81, 0xfeffffff :: v_dual_mov_b32 v6, v7
	v_dual_mov_b32 v5, v7 :: v_dual_mov_b32 v4, v7
	;; [unrolled: 1-line block ×10, first 2 shown]
.LBB9_63:                               ;   in Loop: Header=BB9_12 Depth=1
	s_lshl_b32 s4, s67, 5
	v_lshlrev_b32_e32 v141, 1, v101
	s_wait_alu 0xfffe
	s_ashr_i32 s5, s4, 31
	v_lshlrev_b64_e32 v[77:78], 1, v[77:78]
	s_wait_alu 0xfffe
	s_lshl_b64 s[66:67], s[4:5], 1
	v_lshlrev_b64_e32 v[75:76], 1, v[75:76]
	s_wait_alu 0xfffe
	s_add_nc_u64 s[66:67], s[80:81], s[66:67]
	s_wait_alu 0xfffe
	v_add_co_u32 v141, s6, s66, v141
	s_wait_alu 0xf1ff
	v_add_co_ci_u32_e64 v143, null, s67, 0, s6
	s_mul_u64 s[66:67], s[26:27], s[4:5]
	v_add_co_u32 v77, vcc_lo, v141, v77
	s_wait_alu 0xfffd
	v_add_co_ci_u32_e64 v78, null, v143, v78, vcc_lo
	v_add_co_u32 v75, vcc_lo, v141, v75
	s_wait_alu 0xfffd
	v_add_co_ci_u32_e64 v76, null, v143, v76, vcc_lo
	s_clause 0x1
	global_load_b32 v77, v[77:78], off
	global_load_b32 v75, v[75:76], off
	v_add_nc_u32_e32 v76, v162, v160
	s_wait_alu 0xfffe
	s_lshl_b64 s[66:67], s[66:67], 2
	s_mul_u64 s[4:5], s[36:37], s[4:5]
	s_wait_alu 0xfffe
	s_add_nc_u64 s[66:67], s[78:79], s[66:67]
	s_lshl_b64 s[4:5], s[4:5], 2
	v_add_nc_u32_e32 v76, 0x1400, v76
	s_wait_alu 0xfffe
	s_add_nc_u64 s[4:5], s[76:77], s[4:5]
	s_cmp_lg_u64 s[74:75], 0
	s_wait_loadcnt 0x0
	ds_store_2addr_b32 v76, v77, v75 offset0:128 offset1:208
	v_add_co_u32 v75, vcc_lo, s66, v44
	s_wait_alu 0xfffd
	v_add_co_ci_u32_e64 v76, null, s67, v45, vcc_lo
	s_delay_alu instid0(VALU_DEP_2) | instskip(SKIP_1) | instid1(VALU_DEP_2)
	v_add_co_u32 v75, vcc_lo, v75, v157
	s_wait_alu 0xfffd
	v_add_co_ci_u32_e64 v76, null, 0, v76, vcc_lo
	v_add_co_u32 v77, vcc_lo, s66, v56
	s_wait_alu 0xfffd
	v_add_co_ci_u32_e64 v78, null, s67, v57, vcc_lo
	s_delay_alu instid0(VALU_DEP_2) | instskip(SKIP_1) | instid1(VALU_DEP_2)
	v_add_co_u32 v201, vcc_lo, v77, v158
	s_wait_alu 0xfffd
	v_add_co_ci_u32_e64 v202, null, 0, v78, vcc_lo
	s_clause 0x1
	global_load_b128 v[75:78], v[75:76], off offset:128
	global_load_b128 v[201:204], v[201:202], off
	s_wait_loadcnt 0x1
	ds_store_b128 v102, v[75:78]
	v_add_co_u32 v75, vcc_lo, s66, v58
	s_wait_alu 0xfffd
	v_add_co_ci_u32_e64 v76, null, s67, v59, vcc_lo
	s_delay_alu instid0(VALU_DEP_2) | instskip(SKIP_1) | instid1(VALU_DEP_2)
	v_add_co_u32 v75, vcc_lo, v75, v158
	s_wait_alu 0xfffd
	v_add_co_ci_u32_e64 v76, null, 0, v76, vcc_lo
	v_add_co_u32 v77, vcc_lo, s66, v60
	s_wait_alu 0xfffd
	v_add_co_ci_u32_e64 v78, null, s67, v61, vcc_lo
	s_delay_alu instid0(VALU_DEP_2) | instskip(SKIP_1) | instid1(VALU_DEP_2)
	v_add_co_u32 v205, vcc_lo, v77, v158
	s_wait_alu 0xfffd
	v_add_co_ci_u32_e64 v206, null, 0, v78, vcc_lo
	s_clause 0x1
	global_load_b128 v[75:78], v[75:76], off
	global_load_b128 v[205:208], v[205:206], off
	s_wait_loadcnt 0x2
	ds_store_b128 v103, v[201:204]
	s_wait_loadcnt 0x1
	ds_store_b128 v104, v[75:78]
	v_add_co_u32 v75, vcc_lo, s66, v62
	s_wait_alu 0xfffd
	v_add_co_ci_u32_e64 v76, null, s67, v63, vcc_lo
	s_delay_alu instid0(VALU_DEP_2) | instskip(SKIP_1) | instid1(VALU_DEP_2)
	v_add_co_u32 v75, vcc_lo, v75, v158
	s_wait_alu 0xfffd
	v_add_co_ci_u32_e64 v76, null, 0, v76, vcc_lo
	v_cmp_lt_i32_e32 vcc_lo, v82, v200
	global_load_b128 v[75:78], v[75:76], off
	s_wait_loadcnt 0x1
	ds_store_b128 v163, v[205:208]
	s_wait_loadcnt 0x0
	ds_store_b128 v164, v[75:78]
	s_wait_dscnt 0x0
	s_barrier_signal -1
	s_barrier_wait -1
	global_inv scope:SCOPE_SE
	ds_load_b128 v[75:78], v106
	ds_load_b128 v[209:212], v106 offset:32
	s_wait_dscnt 0x1
	v_wmma_f32_16x16x16_f16 v[201:208], v[75:78], v[32:35], 0
	s_wait_dscnt 0x0
	s_delay_alu instid0(VALU_DEP_1)
	v_wmma_f32_16x16x16_f16 v[201:208], v[209:212], v[36:39], v[201:208]
	ds_load_b128 v[32:35], v106 offset:64
	ds_load_b128 v[36:39], v106 offset:96
	s_wait_dscnt 0x1
	v_wmma_f32_16x16x16_f16 v[201:208], v[32:35], v[28:31], v[201:208]
	s_wait_dscnt 0x0
	s_delay_alu instid0(VALU_DEP_1)
	v_wmma_f32_16x16x16_f16 v[201:208], v[36:39], v[24:27], v[201:208]
	ds_load_b128 v[24:27], v106 offset:128
	s_wait_loadcnt_dscnt 0x0
	s_barrier_signal -1
	s_barrier_wait -1
	global_inv scope:SCOPE_SE
	v_wmma_f32_16x16x16_f16 v[201:208], v[24:27], v[20:23], v[201:208]
	v_add_nc_u32_e32 v20, 0x1600, v107
	v_add_nc_u32_e32 v22, 0x1608, v107
	ds_load_2addr_b32 v[20:21], v20 offset1:1
	ds_load_2addr_b32 v[22:23], v22 offset1:1
	s_wait_dscnt 0x1
	v_cvt_f32_f16_e32 v24, v20
	v_lshrrev_b32_e32 v20, 16, v20
	v_cvt_f32_f16_e32 v25, v21
	v_lshrrev_b32_e32 v21, 16, v21
	s_wait_dscnt 0x0
	v_cvt_f32_f16_e32 v26, v22
	v_lshrrev_b32_e32 v22, 16, v22
	v_cvt_f32_f16_e32 v20, v20
	v_lshrrev_b32_e32 v27, 16, v23
	v_cvt_f32_f16_e32 v28, v23
	v_cvt_f32_f16_e32 v29, v21
	v_cvt_f32_f16_e32 v22, v22
	v_add_f32_e32 v21, v201, v24
	v_dual_add_f32 v23, v202, v20 :: v_dual_add_f32 v36, v203, v25
	s_delay_alu instid0(VALU_DEP_4) | instskip(NEXT) | instid1(VALU_DEP_3)
	v_add_f32_e32 v37, v204, v29
	v_dual_add_f32 v39, v206, v22 :: v_dual_add_f32 v20, 0x40051340, v21
	s_delay_alu instid0(VALU_DEP_3) | instskip(SKIP_3) | instid1(VALU_DEP_4)
	v_add_f32_e32 v22, 0x40051340, v23
	v_cvt_f32_f16_e32 v27, v27
	v_add_f32_e32 v38, v205, v26
	v_dual_add_f32 v24, 0x40051340, v37 :: v_dual_add_f32 v75, v207, v28
	v_max3_num_f32 v20, v81, v20, v22
	v_add_f32_e32 v22, 0x40051340, v36
	v_add_f32_e32 v76, v208, v27
	s_delay_alu instid0(VALU_DEP_2) | instskip(SKIP_2) | instid1(VALU_DEP_1)
	v_max3_num_f32 v20, v20, v22, v24
	v_add_f32_e32 v22, 0x40051340, v38
	v_add_f32_e32 v24, 0x40051340, v39
	v_max3_num_f32 v20, v20, v22, v24
	v_add_f32_e32 v22, 0x40051340, v75
	v_add_f32_e32 v24, 0x40051340, v76
	s_delay_alu instid0(VALU_DEP_1) | instskip(SKIP_2) | instid1(VALU_DEP_1)
	v_max3_num_f32 v20, v20, v22, v24
	s_wait_alu 0xfffd
	v_cndmask_b32_e32 v22, v199, v82, vcc_lo
	v_lshlrev_b32_e32 v22, 2, v22
	ds_bpermute_b32 v24, v22, v20
	s_wait_dscnt 0x0
	v_max_num_f32_e32 v24, v24, v24
	s_delay_alu instid0(VALU_DEP_1) | instskip(NEXT) | instid1(VALU_DEP_1)
	v_max_num_f32_e32 v20, v20, v24
	v_sub_f32_e32 v24, v81, v20
	s_delay_alu instid0(VALU_DEP_1) | instskip(SKIP_1) | instid1(VALU_DEP_2)
	v_mul_f32_e32 v25, 0x3fb8aa3b, v24
	v_cmp_ngt_f32_e32 vcc_lo, 0xc2ce8ed0, v24
	v_fma_f32 v26, 0x3fb8aa3b, v24, -v25
	v_rndne_f32_e32 v27, v25
	s_delay_alu instid0(VALU_DEP_1) | instskip(NEXT) | instid1(VALU_DEP_1)
	v_dual_fmac_f32 v26, 0x32a5705f, v24 :: v_dual_sub_f32 v25, v25, v27
	v_add_f32_e32 v25, v25, v26
	v_cvt_i32_f32_e32 v26, v27
	s_delay_alu instid0(VALU_DEP_2) | instskip(NEXT) | instid1(TRANS32_DEP_1)
	v_exp_f32_e32 v25, v25
	v_ldexp_f32 v25, v25, v26
	s_wait_alu 0xfffd
	s_delay_alu instid0(VALU_DEP_1) | instskip(SKIP_2) | instid1(VALU_DEP_2)
	v_cndmask_b32_e32 v25, 0, v25, vcc_lo
	v_cmp_nlt_f32_e32 vcc_lo, 0x42b17218, v24
	s_wait_alu 0xfffd
	v_cndmask_b32_e32 v25, 0x7f800000, v25, vcc_lo
	v_cmp_le_f32_e32 vcc_lo, 0xc1a00000, v24
	s_wait_alu 0xfffd
	s_delay_alu instid0(VALU_DEP_2) | instskip(NEXT) | instid1(VALU_DEP_1)
	v_cndmask_b32_e32 v81, 0, v25, vcc_lo
	v_cvt_f16_f32_e32 v24, v81
	s_delay_alu instid0(VALU_DEP_1) | instskip(NEXT) | instid1(VALU_DEP_1)
	v_and_b32_e32 v24, 0xffff, v24
	v_mul_u32_u24_e32 v24, 0x10001, v24
	s_delay_alu instid0(VALU_DEP_1)
	v_pk_mul_f16 v16, v16, v24
	v_pk_mul_f16 v17, v17, v24
	;; [unrolled: 1-line block ×20, first 2 shown]
	s_wait_alu 0xfffe
	v_add_co_u32 v24, vcc_lo, s4, v42
	s_wait_alu 0xfffd
	v_add_co_ci_u32_e64 v25, null, s5, v43, vcc_lo
	s_delay_alu instid0(VALU_DEP_2) | instskip(SKIP_1) | instid1(VALU_DEP_2)
	v_add_co_u32 v24, vcc_lo, v24, v157
	s_wait_alu 0xfffd
	v_add_co_ci_u32_e64 v25, null, 0, v25, vcc_lo
	v_add_co_u32 v26, vcc_lo, s4, v46
	s_wait_alu 0xfffd
	v_add_co_ci_u32_e64 v27, null, s5, v47, vcc_lo
	s_delay_alu instid0(VALU_DEP_2) | instskip(SKIP_1) | instid1(VALU_DEP_2)
	v_add_co_u32 v28, vcc_lo, v26, v158
	s_wait_alu 0xfffd
	v_add_co_ci_u32_e64 v29, null, 0, v27, vcc_lo
	s_clause 0x1
	global_load_b128 v[24:27], v[24:25], off offset:128
	global_load_b128 v[28:31], v[28:29], off
	s_wait_loadcnt 0x1
	ds_store_b128 v102, v[24:27]
	v_add_co_u32 v24, vcc_lo, s4, v48
	s_wait_alu 0xfffd
	v_add_co_ci_u32_e64 v25, null, s5, v49, vcc_lo
	s_delay_alu instid0(VALU_DEP_2) | instskip(SKIP_1) | instid1(VALU_DEP_2)
	v_add_co_u32 v24, vcc_lo, v24, v158
	s_wait_alu 0xfffd
	v_add_co_ci_u32_e64 v25, null, 0, v25, vcc_lo
	v_add_co_u32 v26, vcc_lo, s4, v50
	s_wait_alu 0xfffd
	v_add_co_ci_u32_e64 v27, null, s5, v51, vcc_lo
	s_delay_alu instid0(VALU_DEP_2) | instskip(SKIP_1) | instid1(VALU_DEP_2)
	v_add_co_u32 v32, vcc_lo, v26, v158
	s_wait_alu 0xfffd
	v_add_co_ci_u32_e64 v33, null, 0, v27, vcc_lo
	s_clause 0x1
	global_load_b128 v[24:27], v[24:25], off
	global_load_b128 v[32:35], v[32:33], off
	s_wait_loadcnt 0x2
	ds_store_b128 v103, v[28:31]
	s_wait_loadcnt 0x1
	ds_store_b128 v104, v[24:27]
	v_add_co_u32 v24, vcc_lo, s4, v54
	s_wait_alu 0xfffd
	v_add_co_ci_u32_e64 v25, null, s5, v55, vcc_lo
	s_delay_alu instid0(VALU_DEP_2) | instskip(SKIP_1) | instid1(VALU_DEP_2)
	v_add_co_u32 v24, vcc_lo, v24, v158
	s_wait_alu 0xfffd
	v_add_co_ci_u32_e64 v25, null, 0, v25, vcc_lo
	global_load_b128 v[24:27], v[24:25], off
	s_wait_loadcnt 0x1
	ds_store_b128 v163, v[32:35]
	s_wait_loadcnt 0x0
	ds_store_b128 v164, v[24:27]
	v_sub_f32_e32 v24, v38, v20
	s_wait_dscnt 0x0
	s_barrier_signal -1
	s_barrier_wait -1
	global_inv scope:SCOPE_SE
	v_mul_f32_e32 v25, 0x3fb8aa3b, v24
	s_delay_alu instid0(VALU_DEP_1) | instskip(SKIP_1) | instid1(VALU_DEP_1)
	v_fma_f32 v26, 0x3fb8aa3b, v24, -v25
	v_rndne_f32_e32 v27, v25
	v_dual_fmac_f32 v26, 0x32a5705f, v24 :: v_dual_sub_f32 v25, v25, v27
	v_cvt_i32_f32_e32 v27, v27
	s_delay_alu instid0(VALU_DEP_2) | instskip(NEXT) | instid1(VALU_DEP_1)
	v_dual_add_f32 v25, v25, v26 :: v_dual_sub_f32 v26, v39, v20
	v_exp_f32_e32 v25, v25
	s_delay_alu instid0(VALU_DEP_1) | instskip(SKIP_1) | instid1(VALU_DEP_2)
	v_mul_f32_e32 v28, 0x3fb8aa3b, v26
	v_cmp_ngt_f32_e32 vcc_lo, 0xc2ce8ed0, v26
	v_fma_f32 v29, 0x3fb8aa3b, v26, -v28
	v_rndne_f32_e32 v30, v28
	s_delay_alu instid0(TRANS32_DEP_1) | instskip(NEXT) | instid1(VALU_DEP_3)
	v_ldexp_f32 v25, v25, v27
	v_fmac_f32_e32 v29, 0x32a5705f, v26
	s_delay_alu instid0(VALU_DEP_3) | instskip(NEXT) | instid1(VALU_DEP_1)
	v_sub_f32_e32 v28, v28, v30
	v_dual_add_f32 v28, v28, v29 :: v_dual_sub_f32 v29, v75, v20
	s_delay_alu instid0(VALU_DEP_1) | instskip(NEXT) | instid1(VALU_DEP_1)
	v_exp_f32_e32 v27, v28
	v_mul_f32_e32 v31, 0x3fb8aa3b, v29
	v_sub_f32_e32 v23, v23, v20
	v_cvt_i32_f32_e32 v28, v30
	v_cmp_ngt_f32_e64 s4, 0xc2ce8ed0, v29
	v_sub_f32_e32 v21, v21, v20
	v_fma_f32 v32, 0x3fb8aa3b, v29, -v31
	v_rndne_f32_e32 v33, v31
	s_delay_alu instid0(TRANS32_DEP_1) | instskip(NEXT) | instid1(VALU_DEP_3)
	v_ldexp_f32 v27, v27, v28
	v_fmac_f32_e32 v32, 0x32a5705f, v29
	s_delay_alu instid0(VALU_DEP_3)
	v_sub_f32_e32 v31, v31, v33
	v_cvt_i32_f32_e32 v30, v33
	s_wait_alu 0xfffd
	v_cndmask_b32_e32 v27, 0, v27, vcc_lo
	v_cmp_nlt_f32_e32 vcc_lo, 0x42b17218, v26
	v_add_f32_e32 v31, v31, v32
	s_wait_alu 0xfffd
	s_delay_alu instid0(VALU_DEP_3) | instskip(NEXT) | instid1(VALU_DEP_2)
	v_dual_sub_f32 v32, v76, v20 :: v_dual_cndmask_b32 v143, 0x7f800000, v27
	v_exp_f32_e32 v28, v31
	s_delay_alu instid0(VALU_DEP_1) | instskip(SKIP_3) | instid1(VALU_DEP_4)
	v_mul_f32_e32 v34, 0x3fb8aa3b, v32
	v_cmp_ngt_f32_e64 s5, 0xc2ce8ed0, v32
	v_cmp_ngt_f32_e64 s6, 0xc2ce8ed0, v24
	v_cvt_f16_f32_e64 v27, v143
	v_fma_f32 v35, 0x3fb8aa3b, v32, -v34
	v_rndne_f32_e32 v38, v34
	s_wait_alu 0xf1ff
	v_cndmask_b32_e64 v25, 0, v25, s6
	v_cmp_nlt_f32_e64 s6, 0x42b17218, v24
	v_ldexp_f32 v28, v28, v30
	v_dual_fmac_f32 v35, 0x32a5705f, v32 :: v_dual_sub_f32 v34, v34, v38
	v_cvt_i32_f32_e32 v31, v38
	s_wait_alu 0xf1ff
	v_cndmask_b32_e64 v39, 0x7f800000, v25, s6
	v_cndmask_b32_e64 v26, 0, v28, s4
	v_cmp_nlt_f32_e64 s4, 0x42b17218, v29
	v_add_f32_e32 v34, v34, v35
	s_delay_alu instid0(VALU_DEP_4) | instskip(SKIP_1) | instid1(VALU_DEP_3)
	v_cvt_f16_f32_e32 v24, v39
	s_wait_alu 0xf1ff
	v_cndmask_b32_e64 v82, 0x7f800000, v26, s4
	s_delay_alu instid0(VALU_DEP_3) | instskip(NEXT) | instid1(VALU_DEP_1)
	v_exp_f32_e32 v30, v34
	v_cvt_f16_f32_e32 v25, v82
	s_delay_alu instid0(TRANS32_DEP_1) | instskip(NEXT) | instid1(VALU_DEP_1)
	v_ldexp_f32 v30, v30, v31
	v_cndmask_b32_e64 v28, 0, v30, s5
	v_cmp_nlt_f32_e64 s5, 0x42b17218, v32
	s_wait_alu 0xf1ff
	s_delay_alu instid0(VALU_DEP_1) | instskip(NEXT) | instid1(VALU_DEP_1)
	v_cndmask_b32_e64 v141, 0x7f800000, v28, s5
	v_cvt_f16_f32_e64 v26, v141
	s_delay_alu instid0(VALU_DEP_1) | instskip(SKIP_2) | instid1(VALU_DEP_1)
	v_perm_b32 v26, v26, v25, 0x5040100
	v_perm_b32 v25, v27, v24, 0x5040100
	v_sub_f32_e32 v24, v37, v20
	v_mul_f32_e32 v27, 0x3fb8aa3b, v24
	v_cmp_ngt_f32_e32 vcc_lo, 0xc2ce8ed0, v24
	s_delay_alu instid0(VALU_DEP_2) | instskip(SKIP_1) | instid1(VALU_DEP_1)
	v_fma_f32 v28, 0x3fb8aa3b, v24, -v27
	v_rndne_f32_e32 v29, v27
	v_dual_fmac_f32 v28, 0x32a5705f, v24 :: v_dual_sub_f32 v27, v27, v29
	v_cvt_i32_f32_e32 v29, v29
	s_delay_alu instid0(VALU_DEP_2) | instskip(NEXT) | instid1(VALU_DEP_1)
	v_add_f32_e32 v27, v27, v28
	v_exp_f32_e32 v27, v27
	s_delay_alu instid0(TRANS32_DEP_1) | instskip(SKIP_1) | instid1(VALU_DEP_1)
	v_ldexp_f32 v27, v27, v29
	s_wait_alu 0xfffd
	v_cndmask_b32_e32 v27, 0, v27, vcc_lo
	v_cmp_nlt_f32_e32 vcc_lo, 0x42b17218, v24
	s_wait_alu 0xfffd
	s_delay_alu instid0(VALU_DEP_2) | instskip(NEXT) | instid1(VALU_DEP_1)
	v_dual_cndmask_b32 v205, 0x7f800000, v27 :: v_dual_sub_f32 v28, v36, v20
	v_cvt_f16_f32_e64 v27, v205
	s_delay_alu instid0(VALU_DEP_2) | instskip(SKIP_1) | instid1(VALU_DEP_2)
	v_mul_f32_e32 v30, 0x3fb8aa3b, v28
	v_cmp_ngt_f32_e64 s4, 0xc2ce8ed0, v28
	v_fma_f32 v31, 0x3fb8aa3b, v28, -v30
	v_rndne_f32_e32 v32, v30
	s_delay_alu instid0(VALU_DEP_2) | instskip(NEXT) | instid1(VALU_DEP_2)
	v_fmac_f32_e32 v31, 0x32a5705f, v28
	v_sub_f32_e32 v30, v30, v32
	s_delay_alu instid0(VALU_DEP_1) | instskip(NEXT) | instid1(VALU_DEP_1)
	v_add_f32_e32 v30, v30, v31
	v_exp_f32_e32 v29, v30
	v_cvt_i32_f32_e32 v30, v32
	s_delay_alu instid0(TRANS32_DEP_1) | instid1(VALU_DEP_1)
	v_ldexp_f32 v29, v29, v30
	s_wait_alu 0xf1ff
	s_delay_alu instid0(VALU_DEP_1) | instskip(SKIP_2) | instid1(VALU_DEP_1)
	v_cndmask_b32_e64 v24, 0, v29, s4
	v_cmp_nlt_f32_e64 s4, 0x42b17218, v28
	s_wait_alu 0xf1ff
	v_cndmask_b32_e64 v204, 0x7f800000, v24, s4
	v_cmp_ngt_f32_e64 s4, 0xc2ce8ed0, v21
	s_delay_alu instid0(VALU_DEP_2) | instskip(NEXT) | instid1(VALU_DEP_1)
	v_cvt_f16_f32_e64 v24, v204
	v_perm_b32 v24, v27, v24, 0x5040100
	v_mul_f32_e32 v27, 0x3fb8aa3b, v23
	s_delay_alu instid0(VALU_DEP_1) | instskip(SKIP_1) | instid1(VALU_DEP_1)
	v_fma_f32 v28, 0x3fb8aa3b, v23, -v27
	v_rndne_f32_e32 v29, v27
	v_dual_fmac_f32 v28, 0x32a5705f, v23 :: v_dual_sub_f32 v27, v27, v29
	v_cvt_i32_f32_e32 v29, v29
	s_delay_alu instid0(VALU_DEP_2) | instskip(SKIP_1) | instid1(VALU_DEP_2)
	v_dual_add_f32 v27, v27, v28 :: v_dual_mul_f32 v28, 0x3fb8aa3b, v21
	v_cmp_ngt_f32_e32 vcc_lo, 0xc2ce8ed0, v23
	v_exp_f32_e32 v27, v27
	s_delay_alu instid0(VALU_DEP_2) | instskip(SKIP_1) | instid1(VALU_DEP_2)
	v_fma_f32 v30, 0x3fb8aa3b, v21, -v28
	v_rndne_f32_e32 v31, v28
	v_fmac_f32_e32 v30, 0x32a5705f, v21
	s_delay_alu instid0(VALU_DEP_2) | instskip(NEXT) | instid1(TRANS32_DEP_1)
	v_sub_f32_e32 v28, v28, v31
	v_ldexp_f32 v27, v27, v29
	v_cvt_i32_f32_e32 v29, v31
	s_wait_alu 0xfffd
	s_delay_alu instid0(VALU_DEP_2) | instskip(SKIP_1) | instid1(VALU_DEP_2)
	v_dual_add_f32 v28, v28, v30 :: v_dual_cndmask_b32 v27, 0, v27
	v_cmp_nlt_f32_e32 vcc_lo, 0x42b17218, v23
	v_exp_f32_e32 v28, v28
	s_wait_alu 0xfffd
	s_delay_alu instid0(VALU_DEP_2) | instskip(NEXT) | instid1(TRANS32_DEP_1)
	v_cndmask_b32_e32 v206, 0x7f800000, v27, vcc_lo
	v_ldexp_f32 v28, v28, v29
	s_wait_alu 0xf1ff
	s_delay_alu instid0(VALU_DEP_1) | instskip(SKIP_2) | instid1(VALU_DEP_1)
	v_cndmask_b32_e64 v23, 0, v28, s4
	v_cmp_nlt_f32_e64 s4, 0x42b17218, v21
	s_wait_alu 0xf1ff
	v_cndmask_b32_e64 v21, 0x7f800000, v23, s4
	s_cselect_b32 s4, -1, 0
	s_wait_alu 0xfffe
	s_and_b32 s5, s0, s4
	s_delay_alu instid0(VALU_DEP_1) | instskip(SKIP_1) | instid1(VALU_DEP_1)
	v_cvt_f16_f32_e32 v23, v21
	v_add_f32_e32 v21, v21, v206
	v_add_f32_e32 v21, v204, v21
	s_delay_alu instid0(VALU_DEP_1) | instskip(NEXT) | instid1(VALU_DEP_1)
	v_add_f32_e32 v21, v205, v21
	v_add_f32_e32 v21, v39, v21
	s_delay_alu instid0(VALU_DEP_1) | instskip(NEXT) | instid1(VALU_DEP_1)
	;; [unrolled: 3-line block ×3, first 2 shown]
	v_add_f32_e32 v21, v141, v21
	v_fmac_f32_e32 v21, v80, v81
	v_cvt_f16_f32_e64 v27, v206
	s_delay_alu instid0(VALU_DEP_1)
	v_perm_b32 v23, v27, v23, 0x5040100
	ds_load_u16 v28, v108 offset:416
	ds_load_u16 v29, v108 offset:768
	;; [unrolled: 1-line block ×13, first 2 shown]
	s_wait_dscnt 0xc
	ds_load_u16_d16_hi v28, v108 offset:592
	ds_load_u16 v34, v109 offset:128
	s_wait_dscnt 0xd
	ds_load_u16_d16_hi v29, v108 offset:944
	ds_load_u16 v38, v109
	s_wait_dscnt 0xe
	ds_load_u16_d16_hi v30, v110 offset:64
	s_wait_dscnt 0xe
	ds_load_u16_d16_hi v27, v108 offset:240
	ds_load_u16 v35, v108
	ds_load_u16 v37, v108 offset:704
	s_wait_dscnt 0xd
	ds_load_u16_d16_hi v75, v108 offset:272
	ds_load_u16_d16_hi v36, v108 offset:528
	;; [unrolled: 1-line block ×3, first 2 shown]
	s_wait_dscnt 0xf
	ds_load_u16_d16_hi v200, v108 offset:208
	s_wait_dscnt 0xe
	ds_load_u16_d16_hi v76, v108 offset:624
	ds_load_u16_d16_hi v32, v108 offset:656
	;; [unrolled: 1-line block ×3, first 2 shown]
	s_wait_dscnt 0x10
	ds_load_u16_d16_hi v77, v108 offset:976
	s_wait_dscnt 0x10
	ds_load_u16_d16_hi v202, v108 offset:912
	;; [unrolled: 2-line block ×3, first 2 shown]
	s_wait_dscnt 0xe
	ds_load_u16_d16_hi v38, v110
	s_wait_dscnt 0xc
	ds_load_u16_d16_hi v35, v108 offset:176
	s_wait_dscnt 0xc
	ds_load_u16_d16_hi v37, v108 offset:880
	ds_load_u16 v78, v109 offset:96
	ds_load_u16 v33, v108 offset:832
	;; [unrolled: 1-line block ×3, first 2 shown]
	s_wait_dscnt 0x1
	ds_load_u16_d16_hi v33, v108 offset:1008
	s_wait_dscnt 0x1
	ds_load_u16_d16_hi v203, v110 offset:32
	ds_load_u16_d16_hi v78, v110 offset:96
	v_wmma_f16_16x16x16_f16 v[12:15], v[27:30], v[23:26], v[12:15]
	v_wmma_f16_16x16x16_f16 v[16:19], v[35:38], v[23:26], v[16:19]
	s_wait_dscnt 0x2
	v_wmma_f16_16x16x16_f16 v[4:7], v[31:34], v[23:26], v[4:7]
	s_wait_loadcnt_dscnt 0x0
	s_barrier_signal -1
	s_barrier_wait -1
	global_inv scope:SCOPE_SE
	v_wmma_f16_16x16x16_f16 v[0:3], v[200:203], v[23:26], v[0:3]
	v_wmma_f16_16x16x16_f16 v[8:11], v[75:78], v[23:26], v[8:11]
	ds_bpermute_b32 v23, v22, v21
	s_wait_dscnt 0x0
	v_add_f32_e32 v21, v21, v23
	s_wait_alu 0xfffe
	s_and_saveexec_b32 s4, s5
	s_cbranch_execz .LBB9_65
; %bb.64:                               ;   in Loop: Header=BB9_12 Depth=1
	v_dual_max_num_f32 v24, v20, v20 :: v_dual_lshlrev_b32 v23, 2, v114
	global_load_b32 v23, v23, s[74:75]
	s_wait_loadcnt 0x0
	v_max_num_f32_e32 v25, v23, v23
	s_delay_alu instid0(VALU_DEP_1) | instskip(NEXT) | instid1(VALU_DEP_1)
	v_max_num_f32_e32 v24, v24, v25
	v_sub_f32_e32 v20, v20, v24
	s_delay_alu instid0(VALU_DEP_1) | instskip(SKIP_2) | instid1(VALU_DEP_3)
	v_mul_f32_e32 v25, 0x3fb8aa3b, v20
	v_sub_f32_e32 v23, v23, v24
	v_cmp_ngt_f32_e32 vcc_lo, 0xc2ce8ed0, v20
	v_fma_f32 v26, 0x3fb8aa3b, v20, -v25
	v_rndne_f32_e32 v27, v25
	s_delay_alu instid0(VALU_DEP_1) | instskip(SKIP_1) | instid1(VALU_DEP_2)
	v_dual_fmac_f32 v26, 0x32a5705f, v20 :: v_dual_sub_f32 v25, v25, v27
	v_cvt_i32_f32_e32 v27, v27
	v_dual_add_f32 v25, v25, v26 :: v_dual_mul_f32 v26, 0x3fb8aa3b, v23
	s_delay_alu instid0(VALU_DEP_1) | instskip(NEXT) | instid1(VALU_DEP_1)
	v_exp_f32_e32 v25, v25
	v_fma_f32 v28, 0x3fb8aa3b, v23, -v26
	v_rndne_f32_e32 v29, v26
	s_delay_alu instid0(VALU_DEP_1) | instskip(NEXT) | instid1(TRANS32_DEP_1)
	v_sub_f32_e32 v26, v26, v29
	v_ldexp_f32 v25, v25, v27
	s_delay_alu instid0(VALU_DEP_4) | instskip(SKIP_2) | instid1(VALU_DEP_3)
	v_fmac_f32_e32 v28, 0x32a5705f, v23
	v_cvt_i32_f32_e32 v27, v29
	s_wait_alu 0xfffd
	v_cndmask_b32_e32 v25, 0, v25, vcc_lo
	v_cmp_nlt_f32_e32 vcc_lo, 0x42b17218, v20
	s_wait_alu 0xfffd
	s_delay_alu instid0(VALU_DEP_2) | instskip(NEXT) | instid1(VALU_DEP_1)
	v_dual_add_f32 v26, v26, v28 :: v_dual_cndmask_b32 v25, 0x7f800000, v25
	v_exp_f32_e32 v26, v26
	v_cmp_le_f32_e32 vcc_lo, 0xc1a00000, v20
	s_delay_alu instid0(TRANS32_DEP_1)
	v_ldexp_f32 v20, v26, v27
	s_wait_alu 0xfffd
	v_cndmask_b32_e32 v25, 0, v25, vcc_lo
	v_cmp_ngt_f32_e32 vcc_lo, 0xc2ce8ed0, v23
	s_wait_alu 0xfffd
	v_cndmask_b32_e32 v20, 0, v20, vcc_lo
	s_delay_alu instid0(VALU_DEP_3) | instskip(SKIP_2) | instid1(VALU_DEP_3)
	v_cvt_f16_f32_e32 v26, v25
	v_cmp_nlt_f32_e32 vcc_lo, 0x42b17218, v23
	s_wait_alu 0xfffd
	v_dual_cndmask_b32 v23, 0x7f800000, v20 :: v_dual_mov_b32 v20, v24
	s_delay_alu instid0(VALU_DEP_1) | instskip(NEXT) | instid1(VALU_DEP_1)
	v_dual_fmac_f32 v23, v21, v25 :: v_dual_and_b32 v26, 0xffff, v26
	v_mul_u32_u24_e32 v26, 0x10001, v26
	s_delay_alu instid0(VALU_DEP_2) | instskip(NEXT) | instid1(VALU_DEP_2)
	v_mov_b32_e32 v21, v23
	v_pk_mul_f16 v16, v16, v26
	v_pk_mul_f16 v17, v17, v26
	;; [unrolled: 1-line block ×20, first 2 shown]
.LBB9_65:                               ;   in Loop: Header=BB9_12 Depth=1
	s_wait_alu 0xfffe
	s_or_b32 exec_lo, exec_lo, s4
	s_and_saveexec_b32 s4, s2
; %bb.66:                               ;   in Loop: Header=BB9_12 Depth=1
	v_add_nc_u32_e32 v23, 0, v118
	ds_store_2addr_b32 v23, v20, v21 offset0:40 offset1:41
; %bb.67:                               ;   in Loop: Header=BB9_12 Depth=1
	s_wait_alu 0xfffe
	s_or_b32 exec_lo, exec_lo, s4
	s_wait_loadcnt_dscnt 0x0
	s_barrier_signal -1
	s_barrier_wait -1
	global_inv scope:SCOPE_SE
	s_and_saveexec_b32 s4, s43
	s_wait_alu 0xfffe
	s_xor_b32 s4, exec_lo, s4
	s_cbranch_execz .LBB9_69
; %bb.68:                               ;   in Loop: Header=BB9_12 Depth=1
	s_wait_loadcnt 0x0
	s_barrier_signal -1
	s_barrier_wait -1
	global_inv scope:SCOPE_SE
                                        ; implicit-def: $vgpr22
.LBB9_69:                               ;   in Loop: Header=BB9_12 Depth=1
	s_wait_alu 0xfffe
	s_and_not1_saveexec_b32 s4, s4
	s_cbranch_execz .LBB9_73
; %bb.70:                               ;   in Loop: Header=BB9_12 Depth=1
	v_add_nc_u32_e32 v25, 0, v119
	ds_load_b64 v[23:24], v25 offset:160
	s_wait_loadcnt_dscnt 0x0
	s_barrier_signal -1
	s_barrier_wait -1
	global_inv scope:SCOPE_SE
	ds_bpermute_b32 v20, v22, v23
	s_wait_dscnt 0x0
	v_dual_max_num_f32 v21, v23, v23 :: v_dual_max_num_f32 v20, v20, v20
	s_delay_alu instid0(VALU_DEP_1) | instskip(NEXT) | instid1(VALU_DEP_1)
	v_max_num_f32_e32 v20, v21, v20
	v_sub_f32_e32 v21, v23, v20
	s_delay_alu instid0(VALU_DEP_1) | instskip(SKIP_1) | instid1(VALU_DEP_2)
	v_mul_f32_e32 v23, 0x3fb8aa3b, v21
	v_cmp_ngt_f32_e32 vcc_lo, 0xc2ce8ed0, v21
	v_fma_f32 v26, 0x3fb8aa3b, v21, -v23
	v_rndne_f32_e32 v27, v23
	s_delay_alu instid0(VALU_DEP_1) | instskip(NEXT) | instid1(VALU_DEP_1)
	v_dual_fmac_f32 v26, 0x32a5705f, v21 :: v_dual_sub_f32 v23, v23, v27
	v_add_f32_e32 v23, v23, v26
	v_cvt_i32_f32_e32 v26, v27
	s_delay_alu instid0(VALU_DEP_2) | instskip(NEXT) | instid1(TRANS32_DEP_1)
	v_exp_f32_e32 v23, v23
	v_ldexp_f32 v23, v23, v26
	s_wait_alu 0xfffd
	s_delay_alu instid0(VALU_DEP_1) | instskip(SKIP_2) | instid1(VALU_DEP_2)
	v_cndmask_b32_e32 v23, 0, v23, vcc_lo
	v_cmp_nlt_f32_e32 vcc_lo, 0x42b17218, v21
	s_wait_alu 0xfffd
	v_cndmask_b32_e32 v21, 0x7f800000, v23, vcc_lo
	s_delay_alu instid0(VALU_DEP_1)
	v_mul_f32_e32 v23, v24, v21
	ds_bpermute_b32 v22, v22, v23
	s_wait_dscnt 0x0
	v_fmac_f32_e32 v22, v24, v21
	ds_store_b64 v25, v[21:22] offset:160
	s_and_saveexec_b32 s5, s2
	s_cbranch_execz .LBB9_72
; %bb.71:                               ;   in Loop: Header=BB9_12 Depth=1
	v_mov_b32_e32 v21, v22
	global_store_b64 v[40:41], v[20:21], off
.LBB9_72:                               ;   in Loop: Header=BB9_12 Depth=1
	s_wait_alu 0xfffe
	s_or_b32 exec_lo, exec_lo, s5
.LBB9_73:                               ;   in Loop: Header=BB9_12 Depth=1
	s_wait_alu 0xfffe
	s_or_b32 exec_lo, exec_lo, s4
	v_add_nc_u32_e32 v20, v115, v120
	ds_store_2addr_b32 v20, v16, v17 offset1:1
	ds_store_2addr_b32 v20, v18, v19 offset0:2 offset1:3
	ds_store_2addr_b32 v20, v0, v1 offset0:8 offset1:9
	;; [unrolled: 1-line block ×9, first 2 shown]
	s_wait_storecnt 0x0
	s_wait_loadcnt_dscnt 0x0
	s_barrier_signal -1
	s_barrier_wait -1
	global_inv scope:SCOPE_SE
	s_and_saveexec_b32 s6, s0
	s_cbranch_execz .LBB9_168
; %bb.74:                               ;   in Loop: Header=BB9_12 Depth=1
	v_add_nc_u32_e32 v0, s56, v173
	v_or_b32_e32 v1, s41, v74
	s_delay_alu instid0(VALU_DEP_1) | instskip(SKIP_1) | instid1(VALU_DEP_4)
	v_cmp_gt_i32_e32 vcc_lo, s33, v1
	v_mov_b32_e32 v1, 0x47
	v_cmp_gt_i32_e64 s4, s24, v0
	s_and_b32 s4, s4, vcc_lo
	s_wait_alu 0xfffe
	s_and_saveexec_b32 s5, s4
	s_cbranch_execz .LBB9_76
; %bb.75:                               ;   in Loop: Header=BB9_12 Depth=1
	v_add_nc_u32_e32 v1, 0, v121
	v_add_nc_u32_e32 v2, v96, v121
	v_mad_co_u64_u32 v[5:6], null, v0, s25, v[74:75]
	s_delay_alu instid0(VALU_DEP_3) | instskip(SKIP_3) | instid1(VALU_DEP_1)
	v_add_nc_u32_e32 v3, 0xa0, v1
	ds_load_2addr_stride64_b32 v[1:2], v2 offset1:11
	ds_load_2addr_stride64_b32 v[3:4], v3 offset1:11
	v_mad_co_u64_u32 v[5:6], null, v5, 40, v[52:53]
	v_ashrrev_i32_e32 v6, 31, v5
	s_wait_dscnt 0x0
	v_fma_mix_f32 v7, v3, v1, 0 op_sel_hi:[0,1,0]
	v_fma_mix_f32 v8, v3, v1, 0 op_sel:[0,1,0] op_sel_hi:[0,1,0]
	s_delay_alu instid0(VALU_DEP_3) | instskip(NEXT) | instid1(VALU_DEP_3)
	v_lshlrev_b64_e32 v[0:1], 3, v[5:6]
	v_fma_mix_f32 v3, v4, v2, v7 op_sel_hi:[0,1,0]
	s_delay_alu instid0(VALU_DEP_3) | instskip(NEXT) | instid1(VALU_DEP_3)
	v_fma_mix_f32 v4, v4, v2, v8 op_sel:[0,1,0] op_sel_hi:[0,1,0]
	v_add_co_u32 v5, s4, s72, v0
	s_wait_alu 0xf1ff
	s_delay_alu instid0(VALU_DEP_4)
	v_add_co_ci_u32_e64 v6, null, s73, v1, s4
	v_mov_b32_e32 v1, 0
	global_store_b64 v[5:6], v[3:4], off
.LBB9_76:                               ;   in Loop: Header=BB9_12 Depth=1
	s_wait_alu 0xfffe
	s_or_b32 exec_lo, exec_lo, s5
	s_mov_b32 s5, -1
	s_mov_b32 s66, exec_lo
	v_cmpx_gt_i32_e32 0x47, v1
; %bb.77:                               ;   in Loop: Header=BB9_12 Depth=1
	v_cmp_eq_u32_e64 s4, 0, v1
	s_or_not1_b32 s5, s4, exec_lo
; %bb.78:                               ;   in Loop: Header=BB9_12 Depth=1
	s_wait_alu 0xfffe
	s_or_b32 exec_lo, exec_lo, s66
	s_and_saveexec_b32 s66, s5
	s_cbranch_execz .LBB9_151
; %bb.79:                               ;   in Loop: Header=BB9_12 Depth=1
	v_add_nc_u32_e32 v0, s56, v174
	v_or_b32_e32 v1, s41, v65
	s_delay_alu instid0(VALU_DEP_1) | instskip(SKIP_1) | instid1(VALU_DEP_4)
	v_cmp_gt_i32_e64 s5, s33, v1
	v_mov_b32_e32 v1, 0x47
	v_cmp_gt_i32_e64 s4, s24, v0
	s_and_b32 s4, s4, s5
	s_wait_alu 0xfffe
	s_and_saveexec_b32 s5, s4
	s_cbranch_execz .LBB9_81
; %bb.80:                               ;   in Loop: Header=BB9_12 Depth=1
	v_add_nc_u32_e32 v1, 0, v122
	v_add_nc_u32_e32 v2, v96, v122
	v_mad_co_u64_u32 v[5:6], null, v0, s25, v[65:66]
	s_delay_alu instid0(VALU_DEP_3) | instskip(SKIP_3) | instid1(VALU_DEP_1)
	v_add_nc_u32_e32 v3, 0xa0, v1
	ds_load_2addr_stride64_b32 v[1:2], v2 offset1:11
	ds_load_2addr_stride64_b32 v[3:4], v3 offset1:11
	v_mad_co_u64_u32 v[5:6], null, v5, 40, v[52:53]
	v_ashrrev_i32_e32 v6, 31, v5
	s_wait_dscnt 0x0
	v_fma_mix_f32 v7, v3, v1, 0 op_sel_hi:[0,1,0]
	v_fma_mix_f32 v8, v3, v1, 0 op_sel:[0,1,0] op_sel_hi:[0,1,0]
	s_delay_alu instid0(VALU_DEP_3) | instskip(NEXT) | instid1(VALU_DEP_3)
	v_lshlrev_b64_e32 v[0:1], 3, v[5:6]
	v_fma_mix_f32 v3, v4, v2, v7 op_sel_hi:[0,1,0]
	s_delay_alu instid0(VALU_DEP_3) | instskip(NEXT) | instid1(VALU_DEP_3)
	v_fma_mix_f32 v4, v4, v2, v8 op_sel:[0,1,0] op_sel_hi:[0,1,0]
	v_add_co_u32 v5, s4, s72, v0
	s_wait_alu 0xf1ff
	s_delay_alu instid0(VALU_DEP_4)
	v_add_co_ci_u32_e64 v6, null, s73, v1, s4
	v_mov_b32_e32 v1, 0
	global_store_b64 v[5:6], v[3:4], off
.LBB9_81:                               ;   in Loop: Header=BB9_12 Depth=1
	s_wait_alu 0xfffe
	s_or_b32 exec_lo, exec_lo, s5
	s_mov_b32 s5, -1
	s_mov_b32 s67, exec_lo
	v_cmpx_gt_i32_e32 0x47, v1
; %bb.82:                               ;   in Loop: Header=BB9_12 Depth=1
	v_cmp_eq_u32_e64 s4, 0, v1
	s_or_not1_b32 s5, s4, exec_lo
; %bb.83:                               ;   in Loop: Header=BB9_12 Depth=1
	s_wait_alu 0xfffe
	s_or_b32 exec_lo, exec_lo, s67
	s_delay_alu instid0(SALU_CYCLE_1)
	s_and_b32 exec_lo, exec_lo, s5
	s_cbranch_execz .LBB9_151
; %bb.84:                               ;   in Loop: Header=BB9_12 Depth=1
	v_dual_mov_b32 v0, 0x47 :: v_dual_add_nc_u32 v1, s56, v123
	s_delay_alu instid0(VALU_DEP_1)
	v_cmp_gt_i32_e64 s4, s24, v1
	s_and_b32 s4, s4, vcc_lo
	s_wait_alu 0xfffe
	s_and_saveexec_b32 s5, s4
	s_cbranch_execz .LBB9_86
; %bb.85:                               ;   in Loop: Header=BB9_12 Depth=1
	v_add_nc_u32_e32 v0, 0, v124
	v_add_nc_u32_e32 v2, v96, v124
	s_delay_alu instid0(VALU_DEP_2) | instskip(SKIP_3) | instid1(VALU_DEP_1)
	v_add_nc_u32_e32 v0, 0xa0, v0
	ds_load_2addr_stride64_b32 v[2:3], v2 offset1:11
	ds_load_2addr_stride64_b32 v[4:5], v0 offset1:11
	v_mad_co_u64_u32 v[0:1], null, v1, s25, v[74:75]
	v_mad_co_u64_u32 v[0:1], null, v0, 40, v[52:53]
	s_delay_alu instid0(VALU_DEP_1) | instskip(SKIP_3) | instid1(VALU_DEP_3)
	v_ashrrev_i32_e32 v1, 31, v0
	s_wait_dscnt 0x0
	v_fma_mix_f32 v6, v4, v2, 0 op_sel_hi:[0,1,0]
	v_fma_mix_f32 v4, v4, v2, 0 op_sel:[0,1,0] op_sel_hi:[0,1,0]
	v_lshlrev_b64_e32 v[0:1], 3, v[0:1]
	s_delay_alu instid0(VALU_DEP_3) | instskip(NEXT) | instid1(VALU_DEP_3)
	v_fma_mix_f32 v2, v5, v3, v6 op_sel_hi:[0,1,0]
	v_fma_mix_f32 v3, v5, v3, v4 op_sel:[0,1,0] op_sel_hi:[0,1,0]
	s_delay_alu instid0(VALU_DEP_3) | instskip(SKIP_1) | instid1(VALU_DEP_4)
	v_add_co_u32 v4, s4, s72, v0
	s_wait_alu 0xf1ff
	v_add_co_ci_u32_e64 v5, null, s73, v1, s4
	v_mov_b32_e32 v0, 0
	global_store_b64 v[4:5], v[2:3], off
.LBB9_86:                               ;   in Loop: Header=BB9_12 Depth=1
	s_wait_alu 0xfffe
	s_or_b32 exec_lo, exec_lo, s5
	s_mov_b32 s5, -1
	s_mov_b32 s67, exec_lo
	v_cmpx_gt_i32_e32 0x47, v0
; %bb.87:                               ;   in Loop: Header=BB9_12 Depth=1
	v_cmp_eq_u32_e64 s4, 0, v0
	s_or_not1_b32 s5, s4, exec_lo
; %bb.88:                               ;   in Loop: Header=BB9_12 Depth=1
	s_wait_alu 0xfffe
	s_or_b32 exec_lo, exec_lo, s67
	s_delay_alu instid0(SALU_CYCLE_1)
	s_and_b32 exec_lo, exec_lo, s5
	s_cbranch_execz .LBB9_151
; %bb.89:                               ;   in Loop: Header=BB9_12 Depth=1
	v_add_nc_u32_e32 v0, s56, v175
	v_or_b32_e32 v1, s41, v66
	s_delay_alu instid0(VALU_DEP_1) | instskip(SKIP_1) | instid1(VALU_DEP_4)
	v_cmp_gt_i32_e64 s5, s33, v1
	v_mov_b32_e32 v1, 0x47
	v_cmp_gt_i32_e64 s4, s24, v0
	s_and_b32 s4, s4, s5
	s_wait_alu 0xfffe
	s_and_saveexec_b32 s5, s4
	s_cbranch_execz .LBB9_91
; %bb.90:                               ;   in Loop: Header=BB9_12 Depth=1
	v_add_nc_u32_e32 v1, 0, v125
	v_add_nc_u32_e32 v2, v96, v125
	v_mad_co_u64_u32 v[5:6], null, v0, s25, v[66:67]
	s_delay_alu instid0(VALU_DEP_3) | instskip(SKIP_3) | instid1(VALU_DEP_1)
	v_add_nc_u32_e32 v3, 0xa0, v1
	ds_load_2addr_stride64_b32 v[1:2], v2 offset1:11
	ds_load_2addr_stride64_b32 v[3:4], v3 offset1:11
	v_mad_co_u64_u32 v[5:6], null, v5, 40, v[52:53]
	v_ashrrev_i32_e32 v6, 31, v5
	s_wait_dscnt 0x0
	v_fma_mix_f32 v7, v3, v1, 0 op_sel_hi:[0,1,0]
	v_fma_mix_f32 v8, v3, v1, 0 op_sel:[0,1,0] op_sel_hi:[0,1,0]
	s_delay_alu instid0(VALU_DEP_3) | instskip(NEXT) | instid1(VALU_DEP_3)
	v_lshlrev_b64_e32 v[0:1], 3, v[5:6]
	v_fma_mix_f32 v3, v4, v2, v7 op_sel_hi:[0,1,0]
	s_delay_alu instid0(VALU_DEP_3) | instskip(NEXT) | instid1(VALU_DEP_3)
	v_fma_mix_f32 v4, v4, v2, v8 op_sel:[0,1,0] op_sel_hi:[0,1,0]
	v_add_co_u32 v5, s4, s72, v0
	s_wait_alu 0xf1ff
	s_delay_alu instid0(VALU_DEP_4)
	v_add_co_ci_u32_e64 v6, null, s73, v1, s4
	v_mov_b32_e32 v1, 0
	global_store_b64 v[5:6], v[3:4], off
.LBB9_91:                               ;   in Loop: Header=BB9_12 Depth=1
	s_wait_alu 0xfffe
	s_or_b32 exec_lo, exec_lo, s5
	s_mov_b32 s5, -1
	s_mov_b32 s67, exec_lo
	v_cmpx_gt_i32_e32 0x47, v1
; %bb.92:                               ;   in Loop: Header=BB9_12 Depth=1
	v_cmp_eq_u32_e64 s4, 0, v1
	s_or_not1_b32 s5, s4, exec_lo
; %bb.93:                               ;   in Loop: Header=BB9_12 Depth=1
	s_wait_alu 0xfffe
	s_or_b32 exec_lo, exec_lo, s67
	s_delay_alu instid0(SALU_CYCLE_1)
	s_and_b32 exec_lo, exec_lo, s5
	s_cbranch_execz .LBB9_151
; %bb.94:                               ;   in Loop: Header=BB9_12 Depth=1
	v_dual_mov_b32 v0, 0x47 :: v_dual_add_nc_u32 v1, s56, v126
	s_delay_alu instid0(VALU_DEP_1)
	v_cmp_gt_i32_e64 s4, s24, v1
	s_and_b32 s4, s4, vcc_lo
	s_wait_alu 0xfffe
	s_and_saveexec_b32 s5, s4
	s_cbranch_execz .LBB9_96
; %bb.95:                               ;   in Loop: Header=BB9_12 Depth=1
	v_add_nc_u32_e32 v0, 0, v127
	v_add_nc_u32_e32 v2, v96, v127
	s_delay_alu instid0(VALU_DEP_2) | instskip(SKIP_3) | instid1(VALU_DEP_1)
	v_add_nc_u32_e32 v0, 0xa0, v0
	ds_load_2addr_stride64_b32 v[2:3], v2 offset1:11
	ds_load_2addr_stride64_b32 v[4:5], v0 offset1:11
	v_mad_co_u64_u32 v[0:1], null, v1, s25, v[74:75]
	v_mad_co_u64_u32 v[0:1], null, v0, 40, v[52:53]
	s_delay_alu instid0(VALU_DEP_1) | instskip(SKIP_3) | instid1(VALU_DEP_3)
	v_ashrrev_i32_e32 v1, 31, v0
	s_wait_dscnt 0x0
	v_fma_mix_f32 v6, v4, v2, 0 op_sel_hi:[0,1,0]
	v_fma_mix_f32 v4, v4, v2, 0 op_sel:[0,1,0] op_sel_hi:[0,1,0]
	v_lshlrev_b64_e32 v[0:1], 3, v[0:1]
	s_delay_alu instid0(VALU_DEP_3) | instskip(NEXT) | instid1(VALU_DEP_3)
	v_fma_mix_f32 v2, v5, v3, v6 op_sel_hi:[0,1,0]
	v_fma_mix_f32 v3, v5, v3, v4 op_sel:[0,1,0] op_sel_hi:[0,1,0]
	s_delay_alu instid0(VALU_DEP_3) | instskip(SKIP_1) | instid1(VALU_DEP_4)
	v_add_co_u32 v4, s4, s72, v0
	s_wait_alu 0xf1ff
	v_add_co_ci_u32_e64 v5, null, s73, v1, s4
	v_mov_b32_e32 v0, 0
	global_store_b64 v[4:5], v[2:3], off
.LBB9_96:                               ;   in Loop: Header=BB9_12 Depth=1
	s_wait_alu 0xfffe
	s_or_b32 exec_lo, exec_lo, s5
	s_mov_b32 s5, -1
	s_mov_b32 s67, exec_lo
	v_cmpx_gt_i32_e32 0x47, v0
; %bb.97:                               ;   in Loop: Header=BB9_12 Depth=1
	v_cmp_eq_u32_e64 s4, 0, v0
	s_or_not1_b32 s5, s4, exec_lo
; %bb.98:                               ;   in Loop: Header=BB9_12 Depth=1
	s_wait_alu 0xfffe
	s_or_b32 exec_lo, exec_lo, s67
	s_delay_alu instid0(SALU_CYCLE_1)
	s_and_b32 exec_lo, exec_lo, s5
	s_cbranch_execz .LBB9_151
; %bb.99:                               ;   in Loop: Header=BB9_12 Depth=1
	v_add_nc_u32_e32 v0, s56, v176
	v_or_b32_e32 v1, s41, v67
	s_delay_alu instid0(VALU_DEP_1) | instskip(SKIP_1) | instid1(VALU_DEP_4)
	v_cmp_gt_i32_e64 s5, s33, v1
	v_mov_b32_e32 v1, 0x47
	v_cmp_gt_i32_e64 s4, s24, v0
	s_and_b32 s4, s4, s5
	s_wait_alu 0xfffe
	s_and_saveexec_b32 s5, s4
	s_cbranch_execz .LBB9_101
; %bb.100:                              ;   in Loop: Header=BB9_12 Depth=1
	v_add_nc_u32_e32 v1, 0, v128
	v_add_nc_u32_e32 v2, v96, v128
	v_mad_co_u64_u32 v[5:6], null, v0, s25, v[67:68]
	s_delay_alu instid0(VALU_DEP_3) | instskip(SKIP_3) | instid1(VALU_DEP_1)
	v_add_nc_u32_e32 v3, 0xa0, v1
	ds_load_2addr_stride64_b32 v[1:2], v2 offset1:11
	ds_load_2addr_stride64_b32 v[3:4], v3 offset1:11
	v_mad_co_u64_u32 v[5:6], null, v5, 40, v[52:53]
	v_ashrrev_i32_e32 v6, 31, v5
	s_wait_dscnt 0x0
	v_fma_mix_f32 v7, v3, v1, 0 op_sel_hi:[0,1,0]
	v_fma_mix_f32 v8, v3, v1, 0 op_sel:[0,1,0] op_sel_hi:[0,1,0]
	s_delay_alu instid0(VALU_DEP_3) | instskip(NEXT) | instid1(VALU_DEP_3)
	v_lshlrev_b64_e32 v[0:1], 3, v[5:6]
	v_fma_mix_f32 v3, v4, v2, v7 op_sel_hi:[0,1,0]
	s_delay_alu instid0(VALU_DEP_3) | instskip(NEXT) | instid1(VALU_DEP_3)
	v_fma_mix_f32 v4, v4, v2, v8 op_sel:[0,1,0] op_sel_hi:[0,1,0]
	v_add_co_u32 v5, s4, s72, v0
	s_wait_alu 0xf1ff
	s_delay_alu instid0(VALU_DEP_4)
	v_add_co_ci_u32_e64 v6, null, s73, v1, s4
	v_mov_b32_e32 v1, 0
	global_store_b64 v[5:6], v[3:4], off
.LBB9_101:                              ;   in Loop: Header=BB9_12 Depth=1
	s_wait_alu 0xfffe
	s_or_b32 exec_lo, exec_lo, s5
	s_mov_b32 s5, -1
	s_mov_b32 s67, exec_lo
	v_cmpx_gt_i32_e32 0x47, v1
; %bb.102:                              ;   in Loop: Header=BB9_12 Depth=1
	v_cmp_eq_u32_e64 s4, 0, v1
	s_or_not1_b32 s5, s4, exec_lo
; %bb.103:                              ;   in Loop: Header=BB9_12 Depth=1
	s_wait_alu 0xfffe
	s_or_b32 exec_lo, exec_lo, s67
	s_delay_alu instid0(SALU_CYCLE_1)
	s_and_b32 exec_lo, exec_lo, s5
	s_cbranch_execz .LBB9_151
; %bb.104:                              ;   in Loop: Header=BB9_12 Depth=1
	v_dual_mov_b32 v0, 0x47 :: v_dual_add_nc_u32 v1, s56, v129
	s_delay_alu instid0(VALU_DEP_1)
	v_cmp_gt_i32_e64 s4, s24, v1
	s_and_b32 s4, s4, vcc_lo
	s_wait_alu 0xfffe
	s_and_saveexec_b32 s5, s4
	s_cbranch_execz .LBB9_106
; %bb.105:                              ;   in Loop: Header=BB9_12 Depth=1
	v_add_nc_u32_e32 v0, 0, v130
	v_add_nc_u32_e32 v2, v96, v130
	s_delay_alu instid0(VALU_DEP_2) | instskip(SKIP_3) | instid1(VALU_DEP_1)
	v_add_nc_u32_e32 v0, 0xa0, v0
	ds_load_2addr_stride64_b32 v[2:3], v2 offset1:11
	ds_load_2addr_stride64_b32 v[4:5], v0 offset1:11
	v_mad_co_u64_u32 v[0:1], null, v1, s25, v[74:75]
	v_mad_co_u64_u32 v[0:1], null, v0, 40, v[52:53]
	s_delay_alu instid0(VALU_DEP_1) | instskip(SKIP_3) | instid1(VALU_DEP_3)
	v_ashrrev_i32_e32 v1, 31, v0
	s_wait_dscnt 0x0
	v_fma_mix_f32 v6, v4, v2, 0 op_sel_hi:[0,1,0]
	v_fma_mix_f32 v4, v4, v2, 0 op_sel:[0,1,0] op_sel_hi:[0,1,0]
	v_lshlrev_b64_e32 v[0:1], 3, v[0:1]
	s_delay_alu instid0(VALU_DEP_3) | instskip(NEXT) | instid1(VALU_DEP_3)
	v_fma_mix_f32 v2, v5, v3, v6 op_sel_hi:[0,1,0]
	v_fma_mix_f32 v3, v5, v3, v4 op_sel:[0,1,0] op_sel_hi:[0,1,0]
	s_delay_alu instid0(VALU_DEP_3) | instskip(SKIP_1) | instid1(VALU_DEP_4)
	v_add_co_u32 v4, s4, s72, v0
	s_wait_alu 0xf1ff
	v_add_co_ci_u32_e64 v5, null, s73, v1, s4
	v_mov_b32_e32 v0, 0
	global_store_b64 v[4:5], v[2:3], off
.LBB9_106:                              ;   in Loop: Header=BB9_12 Depth=1
	s_wait_alu 0xfffe
	s_or_b32 exec_lo, exec_lo, s5
	s_mov_b32 s5, -1
	s_mov_b32 s67, exec_lo
	v_cmpx_gt_i32_e32 0x47, v0
; %bb.107:                              ;   in Loop: Header=BB9_12 Depth=1
	v_cmp_eq_u32_e64 s4, 0, v0
	s_or_not1_b32 s5, s4, exec_lo
; %bb.108:                              ;   in Loop: Header=BB9_12 Depth=1
	s_wait_alu 0xfffe
	s_or_b32 exec_lo, exec_lo, s67
	s_delay_alu instid0(SALU_CYCLE_1)
	s_and_b32 exec_lo, exec_lo, s5
	s_cbranch_execz .LBB9_151
; %bb.109:                              ;   in Loop: Header=BB9_12 Depth=1
	v_add_nc_u32_e32 v0, s56, v177
	v_or_b32_e32 v1, s41, v68
	s_delay_alu instid0(VALU_DEP_1) | instskip(SKIP_1) | instid1(VALU_DEP_4)
	v_cmp_gt_i32_e64 s5, s33, v1
	v_mov_b32_e32 v1, 0x47
	v_cmp_gt_i32_e64 s4, s24, v0
	s_and_b32 s4, s4, s5
	s_wait_alu 0xfffe
	s_and_saveexec_b32 s5, s4
	s_cbranch_execz .LBB9_111
; %bb.110:                              ;   in Loop: Header=BB9_12 Depth=1
	v_add_nc_u32_e32 v1, 0, v131
	v_add_nc_u32_e32 v2, v96, v131
	v_mad_co_u64_u32 v[5:6], null, v0, s25, v[68:69]
	s_delay_alu instid0(VALU_DEP_3) | instskip(SKIP_3) | instid1(VALU_DEP_1)
	v_add_nc_u32_e32 v3, 0xa0, v1
	ds_load_2addr_stride64_b32 v[1:2], v2 offset1:11
	ds_load_2addr_stride64_b32 v[3:4], v3 offset1:11
	v_mad_co_u64_u32 v[5:6], null, v5, 40, v[52:53]
	v_ashrrev_i32_e32 v6, 31, v5
	s_wait_dscnt 0x0
	v_fma_mix_f32 v7, v3, v1, 0 op_sel_hi:[0,1,0]
	v_fma_mix_f32 v8, v3, v1, 0 op_sel:[0,1,0] op_sel_hi:[0,1,0]
	s_delay_alu instid0(VALU_DEP_3) | instskip(NEXT) | instid1(VALU_DEP_3)
	v_lshlrev_b64_e32 v[0:1], 3, v[5:6]
	v_fma_mix_f32 v3, v4, v2, v7 op_sel_hi:[0,1,0]
	s_delay_alu instid0(VALU_DEP_3) | instskip(NEXT) | instid1(VALU_DEP_3)
	v_fma_mix_f32 v4, v4, v2, v8 op_sel:[0,1,0] op_sel_hi:[0,1,0]
	v_add_co_u32 v5, s4, s72, v0
	s_wait_alu 0xf1ff
	s_delay_alu instid0(VALU_DEP_4)
	v_add_co_ci_u32_e64 v6, null, s73, v1, s4
	v_mov_b32_e32 v1, 0
	global_store_b64 v[5:6], v[3:4], off
.LBB9_111:                              ;   in Loop: Header=BB9_12 Depth=1
	s_wait_alu 0xfffe
	s_or_b32 exec_lo, exec_lo, s5
	s_mov_b32 s5, -1
	s_mov_b32 s67, exec_lo
	v_cmpx_gt_i32_e32 0x47, v1
; %bb.112:                              ;   in Loop: Header=BB9_12 Depth=1
	v_cmp_eq_u32_e64 s4, 0, v1
	s_or_not1_b32 s5, s4, exec_lo
; %bb.113:                              ;   in Loop: Header=BB9_12 Depth=1
	s_wait_alu 0xfffe
	s_or_b32 exec_lo, exec_lo, s67
	s_delay_alu instid0(SALU_CYCLE_1)
	s_and_b32 exec_lo, exec_lo, s5
	s_cbranch_execz .LBB9_151
; %bb.114:                              ;   in Loop: Header=BB9_12 Depth=1
	v_dual_mov_b32 v0, 0x47 :: v_dual_add_nc_u32 v1, s56, v132
	s_delay_alu instid0(VALU_DEP_1)
	v_cmp_gt_i32_e64 s4, s24, v1
	s_and_b32 s4, s4, vcc_lo
	s_wait_alu 0xfffe
	s_and_saveexec_b32 s5, s4
	s_cbranch_execz .LBB9_116
; %bb.115:                              ;   in Loop: Header=BB9_12 Depth=1
	v_add_nc_u32_e32 v0, 0, v133
	v_add_nc_u32_e32 v2, v96, v133
	s_delay_alu instid0(VALU_DEP_2) | instskip(SKIP_3) | instid1(VALU_DEP_1)
	v_add_nc_u32_e32 v0, 0xa0, v0
	ds_load_2addr_stride64_b32 v[2:3], v2 offset1:11
	ds_load_2addr_stride64_b32 v[4:5], v0 offset1:11
	v_mad_co_u64_u32 v[0:1], null, v1, s25, v[74:75]
	v_mad_co_u64_u32 v[0:1], null, v0, 40, v[52:53]
	s_delay_alu instid0(VALU_DEP_1) | instskip(SKIP_3) | instid1(VALU_DEP_3)
	v_ashrrev_i32_e32 v1, 31, v0
	s_wait_dscnt 0x0
	v_fma_mix_f32 v6, v4, v2, 0 op_sel_hi:[0,1,0]
	v_fma_mix_f32 v4, v4, v2, 0 op_sel:[0,1,0] op_sel_hi:[0,1,0]
	v_lshlrev_b64_e32 v[0:1], 3, v[0:1]
	s_delay_alu instid0(VALU_DEP_3) | instskip(NEXT) | instid1(VALU_DEP_3)
	v_fma_mix_f32 v2, v5, v3, v6 op_sel_hi:[0,1,0]
	v_fma_mix_f32 v3, v5, v3, v4 op_sel:[0,1,0] op_sel_hi:[0,1,0]
	s_delay_alu instid0(VALU_DEP_3) | instskip(SKIP_1) | instid1(VALU_DEP_4)
	v_add_co_u32 v4, s4, s72, v0
	s_wait_alu 0xf1ff
	v_add_co_ci_u32_e64 v5, null, s73, v1, s4
	v_mov_b32_e32 v0, 0
	global_store_b64 v[4:5], v[2:3], off
.LBB9_116:                              ;   in Loop: Header=BB9_12 Depth=1
	s_wait_alu 0xfffe
	s_or_b32 exec_lo, exec_lo, s5
	s_mov_b32 s5, -1
	s_mov_b32 s67, exec_lo
	v_cmpx_gt_i32_e32 0x47, v0
; %bb.117:                              ;   in Loop: Header=BB9_12 Depth=1
	v_cmp_eq_u32_e64 s4, 0, v0
	s_or_not1_b32 s5, s4, exec_lo
; %bb.118:                              ;   in Loop: Header=BB9_12 Depth=1
	s_wait_alu 0xfffe
	s_or_b32 exec_lo, exec_lo, s67
	s_delay_alu instid0(SALU_CYCLE_1)
	s_and_b32 exec_lo, exec_lo, s5
	s_cbranch_execz .LBB9_151
; %bb.119:                              ;   in Loop: Header=BB9_12 Depth=1
	v_add_nc_u32_e32 v0, s56, v178
	v_or_b32_e32 v1, s41, v69
	s_delay_alu instid0(VALU_DEP_1) | instskip(SKIP_1) | instid1(VALU_DEP_4)
	v_cmp_gt_i32_e64 s5, s33, v1
	v_mov_b32_e32 v1, 0x47
	v_cmp_gt_i32_e64 s4, s24, v0
	s_and_b32 s4, s4, s5
	s_wait_alu 0xfffe
	s_and_saveexec_b32 s5, s4
	s_cbranch_execz .LBB9_121
; %bb.120:                              ;   in Loop: Header=BB9_12 Depth=1
	v_add_nc_u32_e32 v1, 0, v134
	v_add_nc_u32_e32 v2, v96, v134
	v_mad_co_u64_u32 v[5:6], null, v0, s25, v[69:70]
	s_delay_alu instid0(VALU_DEP_3) | instskip(SKIP_3) | instid1(VALU_DEP_1)
	v_add_nc_u32_e32 v3, 0xa0, v1
	ds_load_2addr_stride64_b32 v[1:2], v2 offset1:11
	ds_load_2addr_stride64_b32 v[3:4], v3 offset1:11
	v_mad_co_u64_u32 v[5:6], null, v5, 40, v[52:53]
	v_ashrrev_i32_e32 v6, 31, v5
	s_wait_dscnt 0x0
	v_fma_mix_f32 v7, v3, v1, 0 op_sel_hi:[0,1,0]
	v_fma_mix_f32 v8, v3, v1, 0 op_sel:[0,1,0] op_sel_hi:[0,1,0]
	s_delay_alu instid0(VALU_DEP_3) | instskip(NEXT) | instid1(VALU_DEP_3)
	v_lshlrev_b64_e32 v[0:1], 3, v[5:6]
	v_fma_mix_f32 v3, v4, v2, v7 op_sel_hi:[0,1,0]
	s_delay_alu instid0(VALU_DEP_3) | instskip(NEXT) | instid1(VALU_DEP_3)
	v_fma_mix_f32 v4, v4, v2, v8 op_sel:[0,1,0] op_sel_hi:[0,1,0]
	v_add_co_u32 v5, s4, s72, v0
	s_wait_alu 0xf1ff
	s_delay_alu instid0(VALU_DEP_4)
	v_add_co_ci_u32_e64 v6, null, s73, v1, s4
	v_mov_b32_e32 v1, 0
	global_store_b64 v[5:6], v[3:4], off
.LBB9_121:                              ;   in Loop: Header=BB9_12 Depth=1
	s_wait_alu 0xfffe
	s_or_b32 exec_lo, exec_lo, s5
	s_mov_b32 s5, -1
	s_mov_b32 s67, exec_lo
	v_cmpx_gt_i32_e32 0x47, v1
; %bb.122:                              ;   in Loop: Header=BB9_12 Depth=1
	v_cmp_eq_u32_e64 s4, 0, v1
	s_or_not1_b32 s5, s4, exec_lo
; %bb.123:                              ;   in Loop: Header=BB9_12 Depth=1
	s_wait_alu 0xfffe
	s_or_b32 exec_lo, exec_lo, s67
	s_delay_alu instid0(SALU_CYCLE_1)
	s_and_b32 exec_lo, exec_lo, s5
	s_cbranch_execz .LBB9_151
; %bb.124:                              ;   in Loop: Header=BB9_12 Depth=1
	v_dual_mov_b32 v0, 0x47 :: v_dual_add_nc_u32 v1, s56, v135
	s_delay_alu instid0(VALU_DEP_1)
	v_cmp_gt_i32_e64 s4, s24, v1
	s_and_b32 s4, s4, vcc_lo
	s_wait_alu 0xfffe
	s_and_saveexec_b32 s5, s4
	s_cbranch_execz .LBB9_126
; %bb.125:                              ;   in Loop: Header=BB9_12 Depth=1
	v_add_nc_u32_e32 v0, 0, v136
	v_add_nc_u32_e32 v2, v96, v136
	s_delay_alu instid0(VALU_DEP_2) | instskip(SKIP_3) | instid1(VALU_DEP_1)
	v_add_nc_u32_e32 v0, 0xa0, v0
	ds_load_2addr_stride64_b32 v[2:3], v2 offset1:11
	ds_load_2addr_stride64_b32 v[4:5], v0 offset1:11
	v_mad_co_u64_u32 v[0:1], null, v1, s25, v[74:75]
	v_mad_co_u64_u32 v[0:1], null, v0, 40, v[52:53]
	s_delay_alu instid0(VALU_DEP_1) | instskip(SKIP_3) | instid1(VALU_DEP_3)
	v_ashrrev_i32_e32 v1, 31, v0
	s_wait_dscnt 0x0
	v_fma_mix_f32 v6, v4, v2, 0 op_sel_hi:[0,1,0]
	v_fma_mix_f32 v4, v4, v2, 0 op_sel:[0,1,0] op_sel_hi:[0,1,0]
	v_lshlrev_b64_e32 v[0:1], 3, v[0:1]
	s_delay_alu instid0(VALU_DEP_3) | instskip(NEXT) | instid1(VALU_DEP_3)
	v_fma_mix_f32 v2, v5, v3, v6 op_sel_hi:[0,1,0]
	v_fma_mix_f32 v3, v5, v3, v4 op_sel:[0,1,0] op_sel_hi:[0,1,0]
	s_delay_alu instid0(VALU_DEP_3) | instskip(SKIP_1) | instid1(VALU_DEP_4)
	v_add_co_u32 v4, s4, s72, v0
	s_wait_alu 0xf1ff
	v_add_co_ci_u32_e64 v5, null, s73, v1, s4
	v_mov_b32_e32 v0, 0
	global_store_b64 v[4:5], v[2:3], off
.LBB9_126:                              ;   in Loop: Header=BB9_12 Depth=1
	s_wait_alu 0xfffe
	s_or_b32 exec_lo, exec_lo, s5
	s_mov_b32 s5, -1
	s_mov_b32 s67, exec_lo
	v_cmpx_gt_i32_e32 0x47, v0
; %bb.127:                              ;   in Loop: Header=BB9_12 Depth=1
	v_cmp_eq_u32_e64 s4, 0, v0
	s_or_not1_b32 s5, s4, exec_lo
; %bb.128:                              ;   in Loop: Header=BB9_12 Depth=1
	s_wait_alu 0xfffe
	s_or_b32 exec_lo, exec_lo, s67
	s_delay_alu instid0(SALU_CYCLE_1)
	s_and_b32 exec_lo, exec_lo, s5
	s_cbranch_execz .LBB9_151
; %bb.129:                              ;   in Loop: Header=BB9_12 Depth=1
	v_add_nc_u32_e32 v0, s56, v179
	v_or_b32_e32 v1, s41, v70
	s_delay_alu instid0(VALU_DEP_1) | instskip(SKIP_1) | instid1(VALU_DEP_4)
	v_cmp_gt_i32_e64 s5, s33, v1
	v_mov_b32_e32 v1, 0x47
	v_cmp_gt_i32_e64 s4, s24, v0
	s_and_b32 s4, s4, s5
	s_wait_alu 0xfffe
	s_and_saveexec_b32 s5, s4
	s_cbranch_execz .LBB9_131
; %bb.130:                              ;   in Loop: Header=BB9_12 Depth=1
	v_add_nc_u32_e32 v1, 0, v137
	v_add_nc_u32_e32 v2, v96, v137
	v_mad_co_u64_u32 v[5:6], null, v0, s25, v[70:71]
	s_delay_alu instid0(VALU_DEP_3) | instskip(SKIP_3) | instid1(VALU_DEP_1)
	v_add_nc_u32_e32 v3, 0xa0, v1
	ds_load_2addr_stride64_b32 v[1:2], v2 offset1:11
	ds_load_2addr_stride64_b32 v[3:4], v3 offset1:11
	v_mad_co_u64_u32 v[5:6], null, v5, 40, v[52:53]
	v_ashrrev_i32_e32 v6, 31, v5
	s_wait_dscnt 0x0
	v_fma_mix_f32 v7, v3, v1, 0 op_sel_hi:[0,1,0]
	v_fma_mix_f32 v8, v3, v1, 0 op_sel:[0,1,0] op_sel_hi:[0,1,0]
	s_delay_alu instid0(VALU_DEP_3) | instskip(NEXT) | instid1(VALU_DEP_3)
	v_lshlrev_b64_e32 v[0:1], 3, v[5:6]
	v_fma_mix_f32 v3, v4, v2, v7 op_sel_hi:[0,1,0]
	s_delay_alu instid0(VALU_DEP_3) | instskip(NEXT) | instid1(VALU_DEP_3)
	v_fma_mix_f32 v4, v4, v2, v8 op_sel:[0,1,0] op_sel_hi:[0,1,0]
	v_add_co_u32 v5, s4, s72, v0
	s_wait_alu 0xf1ff
	s_delay_alu instid0(VALU_DEP_4)
	v_add_co_ci_u32_e64 v6, null, s73, v1, s4
	v_mov_b32_e32 v1, 0
	global_store_b64 v[5:6], v[3:4], off
.LBB9_131:                              ;   in Loop: Header=BB9_12 Depth=1
	s_wait_alu 0xfffe
	s_or_b32 exec_lo, exec_lo, s5
	s_mov_b32 s5, -1
	s_mov_b32 s67, exec_lo
	v_cmpx_gt_i32_e32 0x47, v1
; %bb.132:                              ;   in Loop: Header=BB9_12 Depth=1
	v_cmp_eq_u32_e64 s4, 0, v1
	s_or_not1_b32 s5, s4, exec_lo
; %bb.133:                              ;   in Loop: Header=BB9_12 Depth=1
	s_wait_alu 0xfffe
	s_or_b32 exec_lo, exec_lo, s67
	s_delay_alu instid0(SALU_CYCLE_1)
	s_and_b32 exec_lo, exec_lo, s5
	s_cbranch_execz .LBB9_151
; %bb.134:                              ;   in Loop: Header=BB9_12 Depth=1
	scratch_load_b32 v0, off, off           ; 4-byte Folded Reload
	s_wait_loadcnt 0x0
	v_dual_mov_b32 v0, 0x47 :: v_dual_add_nc_u32 v1, s56, v0
	s_delay_alu instid0(VALU_DEP_1)
	v_cmp_gt_i32_e64 s4, s24, v1
	s_and_b32 s4, s4, vcc_lo
	s_wait_alu 0xfffe
	s_and_saveexec_b32 s5, s4
	s_cbranch_execz .LBB9_136
; %bb.135:                              ;   in Loop: Header=BB9_12 Depth=1
	v_add_nc_u32_e32 v0, 0, v139
	v_add_nc_u32_e32 v2, v96, v139
	s_delay_alu instid0(VALU_DEP_2) | instskip(SKIP_3) | instid1(VALU_DEP_1)
	v_add_nc_u32_e32 v0, 0xa0, v0
	ds_load_2addr_stride64_b32 v[2:3], v2 offset1:11
	ds_load_2addr_stride64_b32 v[4:5], v0 offset1:11
	v_mad_co_u64_u32 v[0:1], null, v1, s25, v[74:75]
	v_mad_co_u64_u32 v[0:1], null, v0, 40, v[52:53]
	s_delay_alu instid0(VALU_DEP_1) | instskip(SKIP_3) | instid1(VALU_DEP_3)
	v_ashrrev_i32_e32 v1, 31, v0
	s_wait_dscnt 0x0
	v_fma_mix_f32 v6, v4, v2, 0 op_sel_hi:[0,1,0]
	v_fma_mix_f32 v4, v4, v2, 0 op_sel:[0,1,0] op_sel_hi:[0,1,0]
	v_lshlrev_b64_e32 v[0:1], 3, v[0:1]
	s_delay_alu instid0(VALU_DEP_3) | instskip(NEXT) | instid1(VALU_DEP_3)
	v_fma_mix_f32 v2, v5, v3, v6 op_sel_hi:[0,1,0]
	v_fma_mix_f32 v3, v5, v3, v4 op_sel:[0,1,0] op_sel_hi:[0,1,0]
	s_delay_alu instid0(VALU_DEP_3) | instskip(SKIP_1) | instid1(VALU_DEP_4)
	v_add_co_u32 v4, s4, s72, v0
	s_wait_alu 0xf1ff
	v_add_co_ci_u32_e64 v5, null, s73, v1, s4
	v_mov_b32_e32 v0, 0
	global_store_b64 v[4:5], v[2:3], off
.LBB9_136:                              ;   in Loop: Header=BB9_12 Depth=1
	s_wait_alu 0xfffe
	s_or_b32 exec_lo, exec_lo, s5
	s_mov_b32 s5, -1
	s_mov_b32 s67, exec_lo
	v_cmpx_gt_i32_e32 0x47, v0
; %bb.137:                              ;   in Loop: Header=BB9_12 Depth=1
	v_cmp_eq_u32_e64 s4, 0, v0
	s_or_not1_b32 s5, s4, exec_lo
; %bb.138:                              ;   in Loop: Header=BB9_12 Depth=1
	s_wait_alu 0xfffe
	s_or_b32 exec_lo, exec_lo, s67
	s_delay_alu instid0(SALU_CYCLE_1)
	s_and_b32 exec_lo, exec_lo, s5
	s_cbranch_execz .LBB9_151
; %bb.139:                              ;   in Loop: Header=BB9_12 Depth=1
	v_add_nc_u32_e32 v0, s56, v180
	v_or_b32_e32 v1, s41, v71
	s_delay_alu instid0(VALU_DEP_1) | instskip(SKIP_1) | instid1(VALU_DEP_4)
	v_cmp_gt_i32_e64 s5, s33, v1
	v_mov_b32_e32 v1, 0x47
	v_cmp_gt_i32_e64 s4, s24, v0
	s_and_b32 s4, s4, s5
	s_wait_alu 0xfffe
	s_and_saveexec_b32 s5, s4
	s_cbranch_execz .LBB9_141
; %bb.140:                              ;   in Loop: Header=BB9_12 Depth=1
	v_mov_b32_e32 v2, v138
	v_mad_co_u64_u32 v[5:6], null, v0, s25, v[71:72]
	s_delay_alu instid0(VALU_DEP_2) | instskip(NEXT) | instid1(VALU_DEP_2)
	v_add_nc_u32_e32 v1, 0, v2
	v_mad_co_u64_u32 v[5:6], null, v5, 40, v[52:53]
	s_delay_alu instid0(VALU_DEP_2)
	v_add_nc_u32_e32 v3, 0xa0, v1
	v_add_nc_u32_e32 v2, v96, v2
	ds_load_2addr_stride64_b32 v[1:2], v2 offset1:11
	ds_load_2addr_stride64_b32 v[3:4], v3 offset1:11
	v_ashrrev_i32_e32 v6, 31, v5
	s_wait_dscnt 0x0
	v_fma_mix_f32 v7, v3, v1, 0 op_sel_hi:[0,1,0]
	v_fma_mix_f32 v8, v3, v1, 0 op_sel:[0,1,0] op_sel_hi:[0,1,0]
	s_delay_alu instid0(VALU_DEP_3) | instskip(NEXT) | instid1(VALU_DEP_3)
	v_lshlrev_b64_e32 v[0:1], 3, v[5:6]
	v_fma_mix_f32 v3, v4, v2, v7 op_sel_hi:[0,1,0]
	s_delay_alu instid0(VALU_DEP_3) | instskip(NEXT) | instid1(VALU_DEP_3)
	v_fma_mix_f32 v4, v4, v2, v8 op_sel:[0,1,0] op_sel_hi:[0,1,0]
	v_add_co_u32 v5, s4, s72, v0
	s_wait_alu 0xf1ff
	s_delay_alu instid0(VALU_DEP_4)
	v_add_co_ci_u32_e64 v6, null, s73, v1, s4
	v_mov_b32_e32 v1, 0
	global_store_b64 v[5:6], v[3:4], off
.LBB9_141:                              ;   in Loop: Header=BB9_12 Depth=1
	s_wait_alu 0xfffe
	s_or_b32 exec_lo, exec_lo, s5
	s_mov_b32 s5, -1
	s_mov_b32 s67, exec_lo
	v_cmpx_gt_i32_e32 0x47, v1
; %bb.142:                              ;   in Loop: Header=BB9_12 Depth=1
	v_cmp_eq_u32_e64 s4, 0, v1
	s_or_not1_b32 s5, s4, exec_lo
; %bb.143:                              ;   in Loop: Header=BB9_12 Depth=1
	s_wait_alu 0xfffe
	s_or_b32 exec_lo, exec_lo, s67
	s_delay_alu instid0(SALU_CYCLE_1)
	s_and_b32 exec_lo, exec_lo, s5
	s_cbranch_execz .LBB9_151
; %bb.144:                              ;   in Loop: Header=BB9_12 Depth=1
	scratch_load_b32 v0, off, off offset:4  ; 4-byte Folded Reload
	s_wait_loadcnt 0x0
	v_dual_mov_b32 v0, 0x47 :: v_dual_add_nc_u32 v1, s56, v0
	s_delay_alu instid0(VALU_DEP_1)
	v_cmp_gt_i32_e64 s4, s24, v1
	s_and_b32 s5, s4, vcc_lo
	s_wait_alu 0xfffe
	s_and_saveexec_b32 s4, s5
	s_cbranch_execz .LBB9_146
; %bb.145:                              ;   in Loop: Header=BB9_12 Depth=1
	v_mov_b32_e32 v2, v140
	s_delay_alu instid0(VALU_DEP_1) | instskip(SKIP_1) | instid1(VALU_DEP_2)
	v_add_nc_u32_e32 v0, 0, v2
	v_add_nc_u32_e32 v2, v96, v2
	;; [unrolled: 1-line block ×3, first 2 shown]
	ds_load_2addr_stride64_b32 v[2:3], v2 offset1:11
	ds_load_2addr_stride64_b32 v[4:5], v0 offset1:11
	v_mad_co_u64_u32 v[0:1], null, v1, s25, v[74:75]
	s_delay_alu instid0(VALU_DEP_1) | instskip(NEXT) | instid1(VALU_DEP_1)
	v_mad_co_u64_u32 v[0:1], null, v0, 40, v[52:53]
	v_ashrrev_i32_e32 v1, 31, v0
	s_wait_dscnt 0x0
	v_fma_mix_f32 v6, v4, v2, 0 op_sel_hi:[0,1,0]
	v_fma_mix_f32 v4, v4, v2, 0 op_sel:[0,1,0] op_sel_hi:[0,1,0]
	s_delay_alu instid0(VALU_DEP_3) | instskip(NEXT) | instid1(VALU_DEP_3)
	v_lshlrev_b64_e32 v[0:1], 3, v[0:1]
	v_fma_mix_f32 v2, v5, v3, v6 op_sel_hi:[0,1,0]
	s_delay_alu instid0(VALU_DEP_3) | instskip(NEXT) | instid1(VALU_DEP_3)
	v_fma_mix_f32 v3, v5, v3, v4 op_sel:[0,1,0] op_sel_hi:[0,1,0]
	v_add_co_u32 v4, vcc_lo, s72, v0
	s_wait_alu 0xfffd
	s_delay_alu instid0(VALU_DEP_4)
	v_add_co_ci_u32_e64 v5, null, s73, v1, vcc_lo
	v_mov_b32_e32 v0, 0
	global_store_b64 v[4:5], v[2:3], off
.LBB9_146:                              ;   in Loop: Header=BB9_12 Depth=1
	s_wait_alu 0xfffe
	s_or_b32 exec_lo, exec_lo, s4
	s_mov_b32 s4, -1
	s_mov_b32 s5, exec_lo
	v_cmpx_gt_i32_e32 0x47, v0
; %bb.147:                              ;   in Loop: Header=BB9_12 Depth=1
	v_cmp_eq_u32_e32 vcc_lo, 0, v0
	s_or_not1_b32 s4, vcc_lo, exec_lo
; %bb.148:                              ;   in Loop: Header=BB9_12 Depth=1
	s_wait_alu 0xfffe
	s_or_b32 exec_lo, exec_lo, s5
	s_delay_alu instid0(SALU_CYCLE_1)
	s_and_b32 exec_lo, exec_lo, s4
	s_cbranch_execz .LBB9_151
; %bb.149:                              ;   in Loop: Header=BB9_12 Depth=1
	v_add_nc_u32_e32 v0, s56, v181
	v_or_b32_e32 v1, s41, v72
	s_delay_alu instid0(VALU_DEP_2) | instskip(NEXT) | instid1(VALU_DEP_2)
	v_cmp_gt_i32_e32 vcc_lo, s24, v0
	v_cmp_gt_i32_e64 s4, s33, v1
	s_and_b32 s4, vcc_lo, s4
	s_wait_alu 0xfffe
	s_and_b32 exec_lo, exec_lo, s4
	s_cbranch_execz .LBB9_151
; %bb.150:                              ;   in Loop: Header=BB9_12 Depth=1
	v_mov_b32_e32 v2, v142
	v_mad_co_u64_u32 v[5:6], null, v0, s25, v[72:73]
	s_delay_alu instid0(VALU_DEP_2) | instskip(NEXT) | instid1(VALU_DEP_2)
	v_add_nc_u32_e32 v1, 0, v2
	v_mad_co_u64_u32 v[5:6], null, v5, 40, v[52:53]
	s_delay_alu instid0(VALU_DEP_2)
	v_add_nc_u32_e32 v3, 0xa0, v1
	v_add_nc_u32_e32 v2, v96, v2
	ds_load_2addr_stride64_b32 v[1:2], v2 offset1:11
	ds_load_2addr_stride64_b32 v[3:4], v3 offset1:11
	v_ashrrev_i32_e32 v6, 31, v5
	s_wait_dscnt 0x0
	v_fma_mix_f32 v7, v3, v1, 0 op_sel_hi:[0,1,0]
	v_fma_mix_f32 v8, v3, v1, 0 op_sel:[0,1,0] op_sel_hi:[0,1,0]
	s_delay_alu instid0(VALU_DEP_3) | instskip(NEXT) | instid1(VALU_DEP_3)
	v_lshlrev_b64_e32 v[0:1], 3, v[5:6]
	v_fma_mix_f32 v3, v4, v2, v7 op_sel_hi:[0,1,0]
	s_delay_alu instid0(VALU_DEP_3) | instskip(NEXT) | instid1(VALU_DEP_3)
	v_fma_mix_f32 v4, v4, v2, v8 op_sel:[0,1,0] op_sel_hi:[0,1,0]
	v_add_co_u32 v0, vcc_lo, s72, v0
	s_wait_alu 0xfffd
	s_delay_alu instid0(VALU_DEP_4)
	v_add_co_ci_u32_e64 v1, null, s73, v1, vcc_lo
	global_store_b64 v[0:1], v[3:4], off
.LBB9_151:                              ;   in Loop: Header=BB9_12 Depth=1
	s_wait_alu 0xfffe
	s_or_b32 exec_lo, exec_lo, s66
	v_dual_mov_b32 v0, 0x47 :: v_dual_add_nc_u32 v1, s56, v144
	s_delay_alu instid0(VALU_DEP_1)
	v_cmp_gt_i32_e32 vcc_lo, s24, v1
	s_and_b32 s5, vcc_lo, s3
	s_wait_alu 0xfffe
	s_and_saveexec_b32 s4, s5
	s_cbranch_execz .LBB9_153
; %bb.152:                              ;   in Loop: Header=BB9_12 Depth=1
	v_add_nc_u32_e32 v0, 0, v145
	v_add_nc_u32_e32 v2, v98, v145
	s_delay_alu instid0(VALU_DEP_2) | instskip(NEXT) | instid1(VALU_DEP_2)
	v_add_nc_u32_e32 v3, 0xa0, v0
	v_add_nc_u32_e32 v4, 0x80, v2
	v_mad_co_u64_u32 v[0:1], null, v1, s25, v[53:54]
	ds_load_2addr_stride64_b32 v[1:2], v3 offset1:11
	ds_load_2addr_stride64_b32 v[3:4], v4 offset1:11
	v_mul_lo_u32 v0, v0, 40
	s_delay_alu instid0(VALU_DEP_1) | instskip(SKIP_4) | instid1(VALU_DEP_3)
	v_ashrrev_i32_e32 v6, 31, v0
	v_or_b32_e32 v5, v0, v97
	s_wait_dscnt 0x0
	v_fma_mix_f32 v7, v1, v3, 0 op_sel_hi:[0,1,0]
	v_fma_mix_f32 v8, v1, v3, 0 op_sel:[0,1,0] op_sel_hi:[0,1,0]
	v_lshlrev_b64_e32 v[0:1], 3, v[5:6]
	s_delay_alu instid0(VALU_DEP_3) | instskip(NEXT) | instid1(VALU_DEP_3)
	v_fma_mix_f32 v3, v2, v4, v7 op_sel_hi:[0,1,0]
	v_fma_mix_f32 v4, v2, v4, v8 op_sel:[0,1,0] op_sel_hi:[0,1,0]
	s_delay_alu instid0(VALU_DEP_3) | instskip(SKIP_1) | instid1(VALU_DEP_4)
	v_add_co_u32 v5, vcc_lo, s72, v0
	s_wait_alu 0xfffd
	v_add_co_ci_u32_e64 v6, null, s73, v1, vcc_lo
	v_mov_b32_e32 v0, 0
	global_store_b64 v[5:6], v[3:4], off offset:256
.LBB9_153:                              ;   in Loop: Header=BB9_12 Depth=1
	s_wait_alu 0xfffe
	s_or_b32 exec_lo, exec_lo, s4
	s_mov_b32 s4, -1
	s_mov_b32 s5, exec_lo
	v_cmpx_gt_i32_e32 0x47, v0
; %bb.154:                              ;   in Loop: Header=BB9_12 Depth=1
	v_cmp_eq_u32_e32 vcc_lo, 0, v0
	s_or_not1_b32 s4, vcc_lo, exec_lo
; %bb.155:                              ;   in Loop: Header=BB9_12 Depth=1
	s_wait_alu 0xfffe
	s_or_b32 exec_lo, exec_lo, s5
	s_delay_alu instid0(SALU_CYCLE_1)
	s_and_b32 exec_lo, exec_lo, s4
	s_cbranch_execz .LBB9_168
; %bb.156:                              ;   in Loop: Header=BB9_12 Depth=1
	v_dual_mov_b32 v0, 0x47 :: v_dual_add_nc_u32 v1, s56, v146
	s_delay_alu instid0(VALU_DEP_1)
	v_cmp_gt_i32_e32 vcc_lo, s24, v1
	s_and_b32 s5, vcc_lo, s3
	s_wait_alu 0xfffe
	s_and_saveexec_b32 s4, s5
	s_cbranch_execz .LBB9_158
; %bb.157:                              ;   in Loop: Header=BB9_12 Depth=1
	v_add_nc_u32_e32 v0, 0, v147
	v_add_nc_u32_e32 v2, v98, v147
	s_delay_alu instid0(VALU_DEP_2) | instskip(NEXT) | instid1(VALU_DEP_2)
	v_add_nc_u32_e32 v3, 0xa0, v0
	v_add_nc_u32_e32 v4, 0x80, v2
	v_mad_co_u64_u32 v[0:1], null, v1, s25, v[53:54]
	ds_load_2addr_stride64_b32 v[1:2], v3 offset1:11
	ds_load_2addr_stride64_b32 v[3:4], v4 offset1:11
	v_mul_lo_u32 v0, v0, 40
	s_delay_alu instid0(VALU_DEP_1) | instskip(SKIP_4) | instid1(VALU_DEP_3)
	v_ashrrev_i32_e32 v6, 31, v0
	v_or_b32_e32 v5, v0, v97
	s_wait_dscnt 0x0
	v_fma_mix_f32 v7, v1, v3, 0 op_sel_hi:[0,1,0]
	v_fma_mix_f32 v8, v1, v3, 0 op_sel:[0,1,0] op_sel_hi:[0,1,0]
	v_lshlrev_b64_e32 v[0:1], 3, v[5:6]
	s_delay_alu instid0(VALU_DEP_3) | instskip(NEXT) | instid1(VALU_DEP_3)
	v_fma_mix_f32 v3, v2, v4, v7 op_sel_hi:[0,1,0]
	v_fma_mix_f32 v4, v2, v4, v8 op_sel:[0,1,0] op_sel_hi:[0,1,0]
	s_delay_alu instid0(VALU_DEP_3) | instskip(SKIP_1) | instid1(VALU_DEP_4)
	v_add_co_u32 v5, vcc_lo, s72, v0
	s_wait_alu 0xfffd
	v_add_co_ci_u32_e64 v6, null, s73, v1, vcc_lo
	v_mov_b32_e32 v0, 0
	global_store_b64 v[5:6], v[3:4], off offset:256
.LBB9_158:                              ;   in Loop: Header=BB9_12 Depth=1
	s_wait_alu 0xfffe
	s_or_b32 exec_lo, exec_lo, s4
	s_mov_b32 s4, -1
	s_mov_b32 s5, exec_lo
	v_cmpx_gt_i32_e32 0x47, v0
; %bb.159:                              ;   in Loop: Header=BB9_12 Depth=1
	v_cmp_eq_u32_e32 vcc_lo, 0, v0
	s_or_not1_b32 s4, vcc_lo, exec_lo
; %bb.160:                              ;   in Loop: Header=BB9_12 Depth=1
	s_wait_alu 0xfffe
	s_or_b32 exec_lo, exec_lo, s5
	s_delay_alu instid0(SALU_CYCLE_1)
	s_and_b32 exec_lo, exec_lo, s4
	s_cbranch_execz .LBB9_168
; %bb.161:                              ;   in Loop: Header=BB9_12 Depth=1
	;; [unrolled: 49-line block ×3, first 2 shown]
	v_add_nc_u32_e32 v0, s56, v150
	s_delay_alu instid0(VALU_DEP_1)
	v_cmp_gt_i32_e32 vcc_lo, s24, v0
	s_and_b32 s3, vcc_lo, s3
	s_wait_alu 0xfffe
	s_and_b32 exec_lo, exec_lo, s3
	s_cbranch_execz .LBB9_168
; %bb.167:                              ;   in Loop: Header=BB9_12 Depth=1
	v_add_nc_u32_e32 v1, 0, v151
	v_add_nc_u32_e32 v2, v98, v151
	s_delay_alu instid0(VALU_DEP_2) | instskip(NEXT) | instid1(VALU_DEP_2)
	v_add_nc_u32_e32 v3, 0xa0, v1
	v_add_nc_u32_e32 v4, 0x80, v2
	v_mad_co_u64_u32 v[0:1], null, v0, s25, v[53:54]
	ds_load_2addr_stride64_b32 v[1:2], v3 offset1:11
	ds_load_2addr_stride64_b32 v[3:4], v4 offset1:11
	v_mul_lo_u32 v0, v0, 40
	s_delay_alu instid0(VALU_DEP_1) | instskip(SKIP_4) | instid1(VALU_DEP_3)
	v_ashrrev_i32_e32 v6, 31, v0
	v_or_b32_e32 v5, v0, v97
	s_wait_dscnt 0x0
	v_fma_mix_f32 v7, v1, v3, 0 op_sel_hi:[0,1,0]
	v_fma_mix_f32 v8, v1, v3, 0 op_sel:[0,1,0] op_sel_hi:[0,1,0]
	v_lshlrev_b64_e32 v[0:1], 3, v[5:6]
	s_delay_alu instid0(VALU_DEP_3) | instskip(NEXT) | instid1(VALU_DEP_3)
	v_fma_mix_f32 v3, v2, v4, v7 op_sel_hi:[0,1,0]
	v_fma_mix_f32 v4, v2, v4, v8 op_sel:[0,1,0] op_sel_hi:[0,1,0]
	s_delay_alu instid0(VALU_DEP_3) | instskip(SKIP_1) | instid1(VALU_DEP_4)
	v_add_co_u32 v0, vcc_lo, s72, v0
	s_wait_alu 0xfffd
	v_add_co_ci_u32_e64 v1, null, s73, v1, vcc_lo
	global_store_b64 v[0:1], v[3:4], off offset:256
.LBB9_168:                              ;   in Loop: Header=BB9_12 Depth=1
	s_wait_alu 0xfffe
	s_or_b32 exec_lo, exec_lo, s6
	s_wait_loadcnt 0x0
	s_wait_storecnt 0x0
	s_barrier_signal -1
	s_barrier_wait -1
	s_branch .LBB9_11
.LBB9_169:                              ;   in Loop: Header=BB9_12 Depth=1
	s_lshl_b32 s67, s94, 3
	v_cmp_le_i32_e64 s4, s33, v79
	s_wait_alu 0xfffe
	v_add_nc_u32_e32 v0, s67, v105
	v_cmp_gt_i32_e32 vcc_lo, s33, v79
	s_delay_alu instid0(VALU_DEP_2)
	v_cmp_le_i32_e64 s3, s24, v0
	s_or_b32 s3, s3, s4
	s_wait_alu 0xfffe
	s_and_saveexec_b32 s4, s3
	s_wait_alu 0xfffe
	s_xor_b32 s3, exec_lo, s4
; %bb.170:                              ;   in Loop: Header=BB9_12 Depth=1
	v_add_nc_u32_e32 v0, v96, v165
	ds_store_b32 v0, v159
                                        ; implicit-def: $vgpr0
; %bb.171:                              ;   in Loop: Header=BB9_12 Depth=1
	s_wait_alu 0xfffe
	s_and_not1_saveexec_b32 s4, s3
	s_cbranch_execz .LBB9_173
; %bb.172:                              ;   in Loop: Header=BB9_12 Depth=1
	v_mad_co_u64_u32 v[0:1], null, v0, s35, v[73:74]
	s_delay_alu instid0(VALU_DEP_1) | instskip(NEXT) | instid1(VALU_DEP_1)
	v_ashrrev_i32_e32 v1, 31, v0
	v_lshlrev_b64_e32 v[0:1], 3, v[0:1]
	s_delay_alu instid0(VALU_DEP_1) | instskip(SKIP_1) | instid1(VALU_DEP_2)
	v_add_co_u32 v0, s3, s90, v0
	s_wait_alu 0xf1ff
	v_add_co_ci_u32_e64 v1, null, s91, v1, s3
	global_load_b64 v[0:1], v[0:1], off
	s_wait_loadcnt 0x0
	v_cvt_f16_f32_e32 v0, v0
	v_cvt_f16_f32_e32 v1, v1
	s_delay_alu instid0(VALU_DEP_1) | instskip(SKIP_1) | instid1(VALU_DEP_2)
	v_pack_b32_f16 v0, v0, v1
	v_add_nc_u32_e32 v1, v96, v165
	v_pk_mul_f16 v0, v0, s101
	ds_store_b32 v1, v0
.LBB9_173:                              ;   in Loop: Header=BB9_12 Depth=1
	s_wait_alu 0xfffe
	s_or_b32 exec_lo, exec_lo, s4
	v_add_nc_u32_e32 v0, s67, v166
	s_xor_b32 s4, vcc_lo, -1
	s_delay_alu instid0(VALU_DEP_1)
	v_cmp_le_i32_e64 s3, s24, v0
	s_wait_alu 0xfffe
	s_or_b32 s3, s3, s4
	s_wait_alu 0xfffe
	s_and_saveexec_b32 s5, s3
	s_wait_alu 0xfffe
	s_xor_b32 s3, exec_lo, s5
; %bb.174:                              ;   in Loop: Header=BB9_12 Depth=1
	v_add_nc_u32_e32 v0, v96, v165
	ds_store_b32 v0, v159 offset:352
                                        ; implicit-def: $vgpr0
; %bb.175:                              ;   in Loop: Header=BB9_12 Depth=1
	s_wait_alu 0xfffe
	s_and_not1_saveexec_b32 s3, s3
	s_cbranch_execz .LBB9_177
; %bb.176:                              ;   in Loop: Header=BB9_12 Depth=1
	v_mad_co_u64_u32 v[0:1], null, v0, s35, v[73:74]
	s_delay_alu instid0(VALU_DEP_1) | instskip(NEXT) | instid1(VALU_DEP_1)
	v_ashrrev_i32_e32 v1, 31, v0
	v_lshlrev_b64_e32 v[0:1], 3, v[0:1]
	s_delay_alu instid0(VALU_DEP_1) | instskip(SKIP_1) | instid1(VALU_DEP_2)
	v_add_co_u32 v0, vcc_lo, s90, v0
	s_wait_alu 0xfffd
	v_add_co_ci_u32_e64 v1, null, s91, v1, vcc_lo
	global_load_b64 v[0:1], v[0:1], off
	s_wait_loadcnt 0x0
	v_cvt_f16_f32_e32 v0, v0
	v_cvt_f16_f32_e32 v1, v1
	s_delay_alu instid0(VALU_DEP_1) | instskip(SKIP_1) | instid1(VALU_DEP_2)
	v_pack_b32_f16 v0, v0, v1
	v_add_nc_u32_e32 v1, v96, v165
	v_pk_mul_f16 v0, v0, s101
	ds_store_b32 v1, v0 offset:352
.LBB9_177:                              ;   in Loop: Header=BB9_12 Depth=1
	s_wait_alu 0xfffe
	s_or_b32 exec_lo, exec_lo, s3
	v_add_nc_u32_e32 v0, s67, v167
	s_delay_alu instid0(VALU_DEP_1)
	v_cmp_le_i32_e32 vcc_lo, s24, v0
	s_or_b32 s3, vcc_lo, s4
	s_wait_alu 0xfffe
	s_and_saveexec_b32 s5, s3
	s_wait_alu 0xfffe
	s_xor_b32 s3, exec_lo, s5
; %bb.178:                              ;   in Loop: Header=BB9_12 Depth=1
	v_add_nc_u32_e32 v0, v96, v165
	ds_store_b32 v0, v159 offset:704
                                        ; implicit-def: $vgpr0
; %bb.179:                              ;   in Loop: Header=BB9_12 Depth=1
	s_wait_alu 0xfffe
	s_and_not1_saveexec_b32 s3, s3
	s_cbranch_execz .LBB9_181
; %bb.180:                              ;   in Loop: Header=BB9_12 Depth=1
	v_mad_co_u64_u32 v[0:1], null, v0, s35, v[73:74]
	s_delay_alu instid0(VALU_DEP_1) | instskip(NEXT) | instid1(VALU_DEP_1)
	v_ashrrev_i32_e32 v1, 31, v0
	v_lshlrev_b64_e32 v[0:1], 3, v[0:1]
	s_delay_alu instid0(VALU_DEP_1) | instskip(SKIP_1) | instid1(VALU_DEP_2)
	v_add_co_u32 v0, vcc_lo, s90, v0
	s_wait_alu 0xfffd
	v_add_co_ci_u32_e64 v1, null, s91, v1, vcc_lo
	global_load_b64 v[0:1], v[0:1], off
	s_wait_loadcnt 0x0
	v_cvt_f16_f32_e32 v0, v0
	v_cvt_f16_f32_e32 v1, v1
	s_delay_alu instid0(VALU_DEP_1) | instskip(SKIP_1) | instid1(VALU_DEP_2)
	v_pack_b32_f16 v0, v0, v1
	v_add_nc_u32_e32 v1, v96, v165
	v_pk_mul_f16 v0, v0, s101
	ds_store_b32 v1, v0 offset:704
.LBB9_181:                              ;   in Loop: Header=BB9_12 Depth=1
	s_wait_alu 0xfffe
	s_or_b32 exec_lo, exec_lo, s3
	v_add_nc_u32_e32 v0, s67, v168
	s_delay_alu instid0(VALU_DEP_1)
	v_cmp_le_i32_e32 vcc_lo, s24, v0
	s_or_b32 s3, vcc_lo, s4
	;; [unrolled: 37-line block ×6, first 2 shown]
	s_wait_alu 0xfffe
	s_and_saveexec_b32 s4, s3
	s_wait_alu 0xfffe
	s_xor_b32 s3, exec_lo, s4
; %bb.198:                              ;   in Loop: Header=BB9_12 Depth=1
	v_add_nc_u32_e32 v0, v96, v165
	ds_store_b32 v0, v159 offset:2464
                                        ; implicit-def: $vgpr0
; %bb.199:                              ;   in Loop: Header=BB9_12 Depth=1
	s_wait_alu 0xfffe
	s_and_not1_saveexec_b32 s3, s3
	s_cbranch_execz .LBB9_201
; %bb.200:                              ;   in Loop: Header=BB9_12 Depth=1
	v_mad_co_u64_u32 v[0:1], null, v0, s35, v[73:74]
	s_delay_alu instid0(VALU_DEP_1) | instskip(NEXT) | instid1(VALU_DEP_1)
	v_ashrrev_i32_e32 v1, 31, v0
	v_lshlrev_b64_e32 v[0:1], 3, v[0:1]
	s_delay_alu instid0(VALU_DEP_1) | instskip(SKIP_1) | instid1(VALU_DEP_2)
	v_add_co_u32 v0, vcc_lo, s90, v0
	s_wait_alu 0xfffd
	v_add_co_ci_u32_e64 v1, null, s91, v1, vcc_lo
	global_load_b64 v[0:1], v[0:1], off
	s_wait_loadcnt 0x0
	v_cvt_f16_f32_e32 v0, v0
	v_cvt_f16_f32_e32 v1, v1
	s_delay_alu instid0(VALU_DEP_1) | instskip(SKIP_1) | instid1(VALU_DEP_2)
	v_pack_b32_f16 v0, v0, v1
	v_add_nc_u32_e32 v1, v96, v165
	v_pk_mul_f16 v0, v0, s101
	ds_store_b32 v1, v0 offset:2464
.LBB9_201:                              ;   in Loop: Header=BB9_12 Depth=1
	s_wait_alu 0xfffe
	s_or_b32 exec_lo, exec_lo, s3
	v_or_b32_e32 v1, s41, v53
	v_add_nc_u32_e32 v0, s67, v116
	s_delay_alu instid0(VALU_DEP_2) | instskip(NEXT) | instid1(VALU_DEP_2)
	v_cmp_le_i32_e32 vcc_lo, s33, v1
	v_cmp_le_i32_e64 s4, s24, v0
	v_cmp_gt_i32_e64 s3, s33, v1
	s_or_b32 s4, s4, vcc_lo
	s_wait_alu 0xfffe
	s_and_saveexec_b32 s5, s4
	s_wait_alu 0xfffe
	s_xor_b32 s4, exec_lo, s5
; %bb.202:                              ;   in Loop: Header=BB9_12 Depth=1
	ds_store_b32 v111, v159 offset:128
                                        ; implicit-def: $vgpr0
; %bb.203:                              ;   in Loop: Header=BB9_12 Depth=1
	s_wait_alu 0xfffe
	s_and_not1_saveexec_b32 s4, s4
	s_cbranch_execz .LBB9_205
; %bb.204:                              ;   in Loop: Header=BB9_12 Depth=1
	v_mad_co_u64_u32 v[0:1], null, v0, s35, v[64:65]
	s_delay_alu instid0(VALU_DEP_1) | instskip(NEXT) | instid1(VALU_DEP_1)
	v_ashrrev_i32_e32 v1, 31, v0
	v_lshlrev_b64_e32 v[0:1], 3, v[0:1]
	s_delay_alu instid0(VALU_DEP_1) | instskip(SKIP_1) | instid1(VALU_DEP_2)
	v_add_co_u32 v0, vcc_lo, s90, v0
	s_wait_alu 0xfffd
	v_add_co_ci_u32_e64 v1, null, s91, v1, vcc_lo
	global_load_b64 v[0:1], v[0:1], off
	s_wait_loadcnt 0x0
	v_cvt_f16_f32_e32 v0, v0
	v_cvt_f16_f32_e32 v1, v1
	s_delay_alu instid0(VALU_DEP_1) | instskip(SKIP_1) | instid1(VALU_DEP_2)
	v_pack_b32_f16 v0, v0, v1
	v_add_nc_u32_e32 v1, v98, v113
	v_pk_mul_f16 v0, v0, s101
	ds_store_b32 v1, v0 offset:128
.LBB9_205:                              ;   in Loop: Header=BB9_12 Depth=1
	s_wait_alu 0xfffe
	s_or_b32 exec_lo, exec_lo, s4
	v_add_nc_u32_e32 v0, s67, v117
	s_xor_b32 s4, s3, -1
	s_delay_alu instid0(VALU_DEP_1)
	v_cmp_le_i32_e32 vcc_lo, s24, v0
	s_wait_alu 0xfffe
	s_or_b32 s4, vcc_lo, s4
	s_wait_alu 0xfffe
	s_and_saveexec_b32 s5, s4
	s_wait_alu 0xfffe
	s_xor_b32 s4, exec_lo, s5
; %bb.206:                              ;   in Loop: Header=BB9_12 Depth=1
	ds_store_b32 v112, v159 offset:128
                                        ; implicit-def: $vgpr0
; %bb.207:                              ;   in Loop: Header=BB9_12 Depth=1
	s_wait_alu 0xfffe
	s_and_not1_saveexec_b32 s4, s4
	s_cbranch_execz .LBB9_209
; %bb.208:                              ;   in Loop: Header=BB9_12 Depth=1
	v_mad_co_u64_u32 v[0:1], null, v0, s35, v[64:65]
	s_delay_alu instid0(VALU_DEP_1) | instskip(NEXT) | instid1(VALU_DEP_1)
	v_ashrrev_i32_e32 v1, 31, v0
	v_lshlrev_b64_e32 v[0:1], 3, v[0:1]
	s_delay_alu instid0(VALU_DEP_1) | instskip(SKIP_1) | instid1(VALU_DEP_2)
	v_add_co_u32 v0, vcc_lo, s90, v0
	s_wait_alu 0xfffd
	v_add_co_ci_u32_e64 v1, null, s91, v1, vcc_lo
	global_load_b64 v[0:1], v[0:1], off
	s_wait_loadcnt 0x0
	v_cvt_f16_f32_e32 v0, v0
	v_cvt_f16_f32_e32 v1, v1
	s_delay_alu instid0(VALU_DEP_1) | instskip(SKIP_1) | instid1(VALU_DEP_2)
	v_pack_b32_f16 v0, v0, v1
	v_add_nc_u32_e32 v1, v98, v113
	v_pk_mul_f16 v0, v0, s101
	ds_store_b32 v1, v0 offset:1536
.LBB9_209:                              ;   in Loop: Header=BB9_12 Depth=1
	s_wait_alu 0xfffe
	s_or_b32 exec_lo, exec_lo, s4
	s_wait_storecnt_dscnt 0x0
	s_barrier_signal -1
	s_barrier_wait -1
	global_inv scope:SCOPE_SE
	ds_load_b128 v[28:31], v99
	ds_load_b128 v[32:35], v99 offset:32
	ds_load_b128 v[36:39], v99 offset:64
	;; [unrolled: 1-line block ×4, first 2 shown]
	s_cmp_gt_i32 s34, 1
	s_mov_b32 s4, -1
	s_wait_loadcnt_dscnt 0x0
	s_barrier_signal -1
	s_barrier_wait -1
	global_inv scope:SCOPE_SE
                                        ; implicit-def: $vgpr77_vgpr78
                                        ; implicit-def: $vgpr75_vgpr76
                                        ; implicit-def: $vgpr201
                                        ; implicit-def: $vgpr202
	s_cbranch_scc1 .LBB9_211
; %bb.210:                              ;   in Loop: Header=BB9_12 Depth=1
	v_add_nc_u32_e32 v0, s67, v100
	v_dual_mov_b32 v202, 32 :: v_dual_add_nc_u32 v1, s67, v161
	v_xor_b32_e32 v201, 16, v199
	s_mov_b32 s4, 0
	s_delay_alu instid0(VALU_DEP_3) | instskip(NEXT) | instid1(VALU_DEP_3)
	v_mul_hi_u32 v2, s38, v0
	v_mul_hi_u32 v3, s38, v1
	s_delay_alu instid0(VALU_DEP_2) | instskip(NEXT) | instid1(VALU_DEP_2)
	v_add_nc_u32_e32 v2, v0, v2
	v_add_nc_u32_e32 v3, v1, v3
	s_delay_alu instid0(VALU_DEP_2) | instskip(NEXT) | instid1(VALU_DEP_2)
	v_lshrrev_b32_e32 v2, s39, v2
	v_lshrrev_b32_e32 v3, s39, v3
	s_delay_alu instid0(VALU_DEP_2) | instskip(NEXT) | instid1(VALU_DEP_2)
	v_mul_lo_u32 v2, v2, s24
	v_mul_lo_u32 v3, v3, s24
	s_delay_alu instid0(VALU_DEP_2) | instskip(NEXT) | instid1(VALU_DEP_2)
	v_sub_nc_u32_e32 v0, v0, v2
	v_sub_nc_u32_e32 v1, v1, v3
	s_delay_alu instid0(VALU_DEP_2) | instskip(NEXT) | instid1(VALU_DEP_2)
	v_mad_co_i64_i32 v[77:78], null, v0, s40, 0
	v_mad_co_i64_i32 v[75:76], null, v1, s40, 0
.LBB9_211:                              ;   in Loop: Header=BB9_12 Depth=1
	s_wait_alu 0xfffe
	s_and_not1_b32 vcc_lo, exec_lo, s4
	s_wait_alu 0xfffe
	s_cbranch_vccnz .LBB9_215
; %bb.212:                              ;   in Loop: Header=BB9_12 Depth=1
	v_dual_mov_b32 v203, 0xfeffffff :: v_dual_add_nc_u32 v0, s67, v100
	v_dual_mov_b32 v202, 32 :: v_dual_add_nc_u32 v1, s67, v161
	s_add_nc_u64 s[4:5], s[86:87], s[88:89]
	s_delay_alu instid0(VALU_DEP_2) | instskip(SKIP_1) | instid1(VALU_DEP_3)
	v_mul_hi_u32 v2, s38, v0
	v_xor_b32_e32 v201, 16, v199
	v_mul_hi_u32 v3, s38, v1
	s_wait_alu 0xfffe
	v_add_co_u32 v75, vcc_lo, v153, s4
	s_wait_alu 0xfffd
	v_add_co_ci_u32_e64 v76, null, s5, v154, vcc_lo
	v_add_co_u32 v204, vcc_lo, v183, s4
	v_add_nc_u32_e32 v2, v0, v2
	s_wait_alu 0xfffd
	v_add_co_ci_u32_e64 v205, null, s5, v184, vcc_lo
	v_cmp_gt_i32_e32 vcc_lo, 32, v201
	v_add_nc_u32_e32 v3, v1, v3
	v_lshrrev_b32_e32 v2, s39, v2
	v_readlane_b32 s28, v255, 14
	s_add_co_i32 s34, s34, -1
	s_wait_alu 0xfffd
	v_cndmask_b32_e32 v4, v199, v201, vcc_lo
	v_lshrrev_b32_e32 v3, s39, v3
	v_add_co_u32 v208, vcc_lo, v185, s4
	v_mul_lo_u32 v2, v2, s24
	s_wait_alu 0xfffd
	v_add_co_ci_u32_e64 v209, null, s5, v186, vcc_lo
	v_mul_lo_u32 v3, v3, s24
	v_add_co_u32 v211, vcc_lo, v187, s4
	s_wait_alu 0xfffd
	v_add_co_ci_u32_e64 v212, null, s5, v188, vcc_lo
	v_add_co_u32 v213, vcc_lo, v189, s4
	s_wait_alu 0xfffd
	v_add_co_ci_u32_e64 v214, null, s5, v190, vcc_lo
	s_add_nc_u64 s[4:5], s[84:85], s[82:83]
	v_sub_nc_u32_e32 v206, v0, v2
	s_wait_alu 0xfffe
	v_add_co_u32 v81, vcc_lo, v155, s4
	v_sub_nc_u32_e32 v207, v1, v3
	s_wait_alu 0xfffd
	v_add_co_ci_u32_e64 v82, null, s5, v156, vcc_lo
	v_add_co_u32 v215, vcc_lo, v191, s4
	s_wait_alu 0xfffd
	v_add_co_ci_u32_e64 v216, null, s5, v192, vcc_lo
	v_add_co_u32 v217, vcc_lo, v193, s4
	s_mov_b32 s6, s28
	v_mov_b32_e32 v0, 0
	s_wait_alu 0xfffd
	v_add_co_ci_u32_e64 v218, null, s5, v194, vcc_lo
	v_add_co_u32 v219, vcc_lo, v195, s4
	s_wait_alu 0xfffe
	v_mad_co_i64_i32 v[77:78], null, s6, v206, s[80:81]
	v_mad_co_i64_i32 v[79:80], null, s6, v207, s[80:81]
	s_wait_alu 0xfffd
	v_add_co_ci_u32_e64 v220, null, s5, v196, vcc_lo
	v_add_co_u32 v221, vcc_lo, v197, s4
	v_dual_mov_b32 v1, v0 :: v_dual_lshlrev_b32 v210, 2, v4
	s_wait_alu 0xfffd
	v_add_co_ci_u32_e64 v222, null, s5, v198, vcc_lo
	v_dual_mov_b32 v200, 0 :: v_dual_mov_b32 v3, v0
	v_dual_mov_b32 v2, v0 :: v_dual_mov_b32 v17, v0
	;; [unrolled: 1-line block ×9, first 2 shown]
	v_mov_b32_e32 v6, v0
	s_mov_b32 s56, s34
	v_readlane_b32 s29, v255, 15
.LBB9_213:                              ;   Parent Loop BB9_12 Depth=1
                                        ; =>  This Inner Loop Header: Depth=2
	v_add_co_u32 v223, vcc_lo, v77, v152
	s_wait_alu 0xfffd
	v_add_co_ci_u32_e64 v224, null, 0, v78, vcc_lo
	s_wait_alu 0xfffe
	s_add_co_i32 s56, s56, -1
	s_wait_alu 0xfffe
	s_cmp_lg_u32 s56, 0
	global_load_b32 v225, v[223:224], off
	v_add_co_u32 v223, vcc_lo, v79, v152
	s_wait_alu 0xfffd
	v_add_co_ci_u32_e64 v224, null, 0, v80, vcc_lo
	global_load_b32 v223, v[223:224], off
	v_add_nc_u32_e32 v224, v162, v160
	s_delay_alu instid0(VALU_DEP_1)
	v_add_nc_u32_e32 v224, 0x1400, v224
	s_wait_loadcnt 0x0
	ds_store_2addr_b32 v224, v225, v223 offset0:128 offset1:208
	global_load_b128 v[223:226], v[81:82], off
	s_wait_loadcnt 0x0
	ds_store_b128 v102, v[223:226]
	v_add_co_u32 v223, vcc_lo, v215, v182
	s_wait_alu 0xfffd
	v_add_co_ci_u32_e64 v224, null, 0, v216, vcc_lo
	v_add_co_u32 v227, vcc_lo, v217, v182
	s_wait_alu 0xfffd
	v_add_co_ci_u32_e64 v228, null, 0, v218, vcc_lo
	global_load_b128 v[223:226], v[223:224], off
	global_load_b128 v[227:230], v[227:228], off
	s_wait_loadcnt 0x1
	ds_store_b128 v103, v[223:226]
	s_wait_loadcnt 0x0
	ds_store_b128 v104, v[227:230]
	v_add_co_u32 v223, vcc_lo, v219, v182
	s_wait_alu 0xfffd
	v_add_co_ci_u32_e64 v224, null, 0, v220, vcc_lo
	v_add_co_u32 v227, vcc_lo, v221, v182
	s_wait_alu 0xfffd
	v_add_co_ci_u32_e64 v228, null, 0, v222, vcc_lo
	global_load_b128 v[223:226], v[223:224], off
	global_load_b128 v[227:230], v[227:228], off
	s_wait_loadcnt 0x1
	ds_store_b128 v163, v[223:226]
	s_wait_loadcnt 0x0
	ds_store_b128 v164, v[227:230]
	s_wait_dscnt 0x0
	s_barrier_signal -1
	s_barrier_wait -1
	global_inv scope:SCOPE_SE
	ds_load_b128 v[231:234], v106
	ds_load_b128 v[235:238], v106 offset:32
	s_wait_dscnt 0x1
	v_wmma_f32_16x16x16_f16 v[223:230], v[231:234], v[28:31], 0
	s_wait_dscnt 0x0
	s_delay_alu instid0(VALU_DEP_1)
	v_wmma_f32_16x16x16_f16 v[223:230], v[235:238], v[32:35], v[223:230]
	ds_load_b128 v[231:234], v106 offset:64
	ds_load_b128 v[235:238], v106 offset:96
	s_wait_dscnt 0x1
	v_wmma_f32_16x16x16_f16 v[223:230], v[231:234], v[36:39], v[223:230]
	ds_load_b128 v[231:234], v106 offset:128
	s_wait_loadcnt_dscnt 0x0
	s_barrier_signal -1
	s_barrier_wait -1
	v_wmma_f32_16x16x16_f16 v[223:230], v[235:238], v[24:27], v[223:230]
	global_inv scope:SCOPE_SE
	v_wmma_f32_16x16x16_f16 v[223:230], v[231:234], v[20:23], v[223:230]
	v_add_nc_u32_e32 v231, 0x1600, v107
	v_add_nc_u32_e32 v233, 0x1608, v107
	ds_load_2addr_b32 v[231:232], v231 offset1:1
	ds_load_2addr_b32 v[233:234], v233 offset1:1
	s_wait_dscnt 0x1
	v_cvt_f32_f16_e64 v235, v231
	v_lshrrev_b32_e32 v231, 16, v231
	v_cvt_f32_f16_e64 v236, v232
	v_lshrrev_b32_e32 v232, 16, v232
	s_wait_dscnt 0x0
	v_lshrrev_b32_e32 v238, 16, v234
	v_cvt_f32_f16_e64 v234, v234
	v_cvt_f32_f16_e64 v231, v231
	v_add_f32_e32 v235, v223, v235
	v_cvt_f32_f16_e64 v232, v232
	v_add_f32_e32 v236, v225, v236
	v_cvt_f32_f16_e64 v237, v233
	v_dual_add_f32 v231, v224, v231 :: v_dual_add_f32 v234, v229, v234
	s_delay_alu instid0(VALU_DEP_4) | instskip(SKIP_4) | instid1(VALU_DEP_3)
	v_add_f32_e32 v232, v226, v232
	global_load_b128 v[223:226], v[75:76], off
	v_lshrrev_b32_e32 v233, 16, v233
	v_add_f32_e32 v237, v227, v237
	v_cvt_f32_f16_e64 v238, v238
	v_cvt_f32_f16_e64 v233, v233
	s_delay_alu instid0(VALU_DEP_1)
	v_dual_add_f32 v238, v230, v238 :: v_dual_add_f32 v233, v228, v233
	s_wait_loadcnt 0x0
	ds_store_b128 v102, v[223:226]
	v_add_co_u32 v223, vcc_lo, v204, v182
	s_wait_alu 0xfffd
	v_add_co_ci_u32_e64 v224, null, 0, v205, vcc_lo
	v_add_co_u32 v227, vcc_lo, v208, v182
	s_wait_alu 0xfffd
	v_add_co_ci_u32_e64 v228, null, 0, v209, vcc_lo
	global_load_b128 v[223:226], v[223:224], off
	global_load_b128 v[227:230], v[227:228], off
	s_wait_loadcnt 0x1
	ds_store_b128 v103, v[223:226]
	s_wait_loadcnt 0x0
	ds_store_b128 v104, v[227:230]
	v_add_co_u32 v223, vcc_lo, v211, v182
	s_wait_alu 0xfffd
	v_add_co_ci_u32_e64 v224, null, 0, v212, vcc_lo
	v_add_co_u32 v227, vcc_lo, v213, v182
	s_wait_alu 0xfffd
	v_add_co_ci_u32_e64 v228, null, 0, v214, vcc_lo
	global_load_b128 v[223:226], v[223:224], off
	global_load_b128 v[227:230], v[227:228], off
	s_wait_loadcnt 0x1
	ds_store_b128 v163, v[223:226]
	s_wait_loadcnt 0x0
	ds_store_b128 v164, v[227:230]
	v_dual_mov_b32 v227, v203 :: v_dual_add_f32 v224, 0x40051340, v232
	v_add_f32_e32 v203, 0x40051340, v235
	v_add_f32_e32 v223, 0x40051340, v231
	s_wait_dscnt 0x0
	s_barrier_signal -1
	s_barrier_wait -1
	global_inv scope:SCOPE_SE
	v_max3_num_f32 v203, v227, v203, v223
	v_add_f32_e32 v223, 0x40051340, v236
	s_delay_alu instid0(VALU_DEP_1) | instskip(SKIP_2) | instid1(VALU_DEP_1)
	v_max3_num_f32 v203, v203, v223, v224
	v_add_f32_e32 v223, 0x40051340, v237
	v_add_f32_e32 v224, 0x40051340, v233
	v_max3_num_f32 v203, v203, v223, v224
	v_add_f32_e32 v223, 0x40051340, v234
	v_add_f32_e32 v224, 0x40051340, v238
	s_delay_alu instid0(VALU_DEP_1) | instskip(SKIP_3) | instid1(VALU_DEP_1)
	v_max3_num_f32 v203, v203, v223, v224
	ds_bpermute_b32 v223, v210, v203
	s_wait_dscnt 0x0
	v_max_num_f32_e32 v223, v223, v223
	v_max_num_f32_e32 v203, v203, v223
	s_delay_alu instid0(VALU_DEP_1) | instskip(NEXT) | instid1(VALU_DEP_1)
	v_sub_f32_e32 v223, v237, v203
	v_mul_f32_e32 v224, 0x3fb8aa3b, v223
	s_delay_alu instid0(VALU_DEP_1) | instskip(SKIP_1) | instid1(VALU_DEP_1)
	v_fma_f32 v225, 0x3fb8aa3b, v223, -v224
	v_rndne_f32_e32 v226, v224
	v_dual_fmac_f32 v225, 0x32a5705f, v223 :: v_dual_sub_f32 v224, v224, v226
	v_cvt_i32_f32_e32 v226, v226
	s_delay_alu instid0(VALU_DEP_2) | instskip(NEXT) | instid1(VALU_DEP_1)
	v_dual_add_f32 v224, v224, v225 :: v_dual_sub_f32 v225, v233, v203
	v_exp_f32_e32 v224, v224
	s_delay_alu instid0(VALU_DEP_1) | instskip(NEXT) | instid1(VALU_DEP_1)
	v_mul_f32_e32 v228, 0x3fb8aa3b, v225
	v_fma_f32 v229, 0x3fb8aa3b, v225, -v228
	v_rndne_f32_e32 v230, v228
	s_delay_alu instid0(TRANS32_DEP_1) | instskip(NEXT) | instid1(VALU_DEP_2)
	v_ldexp_f32 v224, v224, v226
	v_dual_fmac_f32 v229, 0x32a5705f, v225 :: v_dual_sub_f32 v228, v228, v230
	v_cvt_i32_f32_e32 v230, v230
	s_delay_alu instid0(VALU_DEP_2) | instskip(NEXT) | instid1(VALU_DEP_1)
	v_dual_add_f32 v228, v228, v229 :: v_dual_sub_f32 v227, v227, v203
	v_exp_f32_e32 v228, v228
	s_delay_alu instid0(TRANS32_DEP_1) | instskip(SKIP_1) | instid1(VALU_DEP_1)
	v_ldexp_f32 v228, v228, v230
	v_sub_f32_e32 v229, v234, v203
	v_mul_f32_e32 v233, 0x3fb8aa3b, v229
	s_delay_alu instid0(VALU_DEP_1) | instskip(SKIP_1) | instid1(VALU_DEP_2)
	v_fma_f32 v234, 0x3fb8aa3b, v229, -v233
	v_rndne_f32_e32 v237, v233
	v_fmac_f32_e32 v234, 0x32a5705f, v229
	s_delay_alu instid0(VALU_DEP_2) | instskip(SKIP_2) | instid1(VALU_DEP_3)
	v_sub_f32_e32 v233, v233, v237
	v_cvt_i32_f32_e32 v226, v237
	v_cmp_ngt_f32_e64 s6, 0xc2ce8ed0, v223
	v_dual_add_f32 v233, v233, v234 :: v_dual_sub_f32 v234, v238, v203
	s_wait_alu 0xf1ff
	s_delay_alu instid0(VALU_DEP_2) | instskip(SKIP_1) | instid1(VALU_DEP_3)
	v_cndmask_b32_e64 v224, 0, v224, s6
	v_cmp_nlt_f32_e64 s6, 0x42b17218, v223
	v_mul_f32_e32 v238, 0x3fb8aa3b, v234
	v_cmp_ngt_f32_e32 vcc_lo, 0xc2ce8ed0, v225
	v_cmp_ngt_f32_e64 s5, 0xc2ce8ed0, v234
	s_wait_alu 0xf1ff
	v_cndmask_b32_e64 v247, 0x7f800000, v224, s6
	v_fma_f32 v239, 0x3fb8aa3b, v234, -v238
	v_rndne_f32_e32 v240, v238
	s_wait_alu 0xfffd
	v_cndmask_b32_e32 v228, 0, v228, vcc_lo
	v_cmp_nlt_f32_e32 vcc_lo, 0x42b17218, v225
	v_cmp_ngt_f32_e64 s4, 0xc2ce8ed0, v229
	v_dual_fmac_f32 v239, 0x32a5705f, v234 :: v_dual_sub_f32 v238, v238, v240
	v_cvt_i32_f32_e32 v230, v240
	s_wait_alu 0xfffd
	v_cndmask_b32_e32 v250, 0x7f800000, v228, vcc_lo
	v_exp_f32_e32 v233, v233
	v_cvt_f16_f32_e64 v223, v247
	v_add_f32_e32 v238, v238, v239
	s_delay_alu instid0(VALU_DEP_3) | instskip(NEXT) | instid1(TRANS32_DEP_1)
	v_cvt_f16_f32_e64 v228, v250
	v_ldexp_f32 v226, v233, v226
	s_delay_alu instid0(VALU_DEP_3) | instskip(SKIP_1) | instid1(VALU_DEP_1)
	v_exp_f32_e32 v233, v238
	s_wait_alu 0xf1ff
	v_cndmask_b32_e64 v225, 0, v226, s4
	v_cmp_nlt_f32_e64 s4, 0x42b17218, v229
	s_delay_alu instid0(TRANS32_DEP_1) | instskip(SKIP_1) | instid1(VALU_DEP_2)
	v_ldexp_f32 v230, v233, v230
	s_wait_alu 0xf1ff
	v_cndmask_b32_e64 v248, 0x7f800000, v225, s4
	s_delay_alu instid0(VALU_DEP_2) | instskip(SKIP_1) | instid1(VALU_DEP_3)
	v_cndmask_b32_e64 v226, 0, v230, s5
	v_cmp_nlt_f32_e64 s5, 0x42b17218, v234
	v_cvt_f16_f32_e64 v224, v248
	s_wait_alu 0xf1ff
	s_delay_alu instid0(VALU_DEP_2) | instskip(NEXT) | instid1(VALU_DEP_1)
	v_cndmask_b32_e64 v249, 0x7f800000, v226, s5
	v_cvt_f16_f32_e64 v225, v249
	s_delay_alu instid0(VALU_DEP_1) | instskip(SKIP_2) | instid1(VALU_DEP_1)
	v_perm_b32 v226, v225, v224, 0x5040100
	v_perm_b32 v225, v228, v223, 0x5040100
	v_sub_f32_e32 v223, v232, v203
	v_mul_f32_e32 v224, 0x3fb8aa3b, v223
	s_delay_alu instid0(VALU_DEP_1) | instskip(SKIP_1) | instid1(VALU_DEP_2)
	v_fma_f32 v228, 0x3fb8aa3b, v223, -v224
	v_rndne_f32_e32 v229, v224
	v_fmac_f32_e32 v228, 0x32a5705f, v223
	s_delay_alu instid0(VALU_DEP_2) | instskip(SKIP_1) | instid1(VALU_DEP_2)
	v_sub_f32_e32 v224, v224, v229
	v_cvt_i32_f32_e32 v229, v229
	v_add_f32_e32 v224, v224, v228
	v_sub_f32_e32 v228, v236, v203
	s_delay_alu instid0(VALU_DEP_2) | instskip(NEXT) | instid1(VALU_DEP_1)
	v_exp_f32_e32 v224, v224
	v_mul_f32_e32 v230, 0x3fb8aa3b, v228
	v_cmp_ngt_f32_e32 vcc_lo, 0xc2ce8ed0, v223
	v_cmp_ngt_f32_e64 s4, 0xc2ce8ed0, v228
	s_delay_alu instid0(VALU_DEP_3) | instskip(SKIP_1) | instid1(TRANS32_DEP_1)
	v_fma_f32 v232, 0x3fb8aa3b, v228, -v230
	v_rndne_f32_e32 v233, v230
	v_ldexp_f32 v224, v224, v229
	s_delay_alu instid0(VALU_DEP_3) | instskip(NEXT) | instid1(VALU_DEP_3)
	v_fmac_f32_e32 v232, 0x32a5705f, v228
	v_sub_f32_e32 v230, v230, v233
	v_cvt_i32_f32_e32 v229, v233
	s_wait_alu 0xfffd
	v_cndmask_b32_e32 v224, 0, v224, vcc_lo
	v_cmp_nlt_f32_e32 vcc_lo, 0x42b17218, v223
	v_add_f32_e32 v230, v230, v232
	s_wait_alu 0xfffd
	s_delay_alu instid0(VALU_DEP_3) | instskip(NEXT) | instid1(VALU_DEP_2)
	v_cndmask_b32_e32 v252, 0x7f800000, v224, vcc_lo
	v_exp_f32_e32 v230, v230
	s_delay_alu instid0(VALU_DEP_1) | instskip(NEXT) | instid1(TRANS32_DEP_1)
	v_cvt_f16_f32_e64 v224, v252
	v_ldexp_f32 v229, v230, v229
	s_wait_alu 0xf1ff
	s_delay_alu instid0(VALU_DEP_1) | instskip(SKIP_2) | instid1(VALU_DEP_1)
	v_cndmask_b32_e64 v223, 0, v229, s4
	v_cmp_nlt_f32_e64 s4, 0x42b17218, v228
	s_wait_alu 0xf1ff
	v_cndmask_b32_e64 v251, 0x7f800000, v223, s4
	s_delay_alu instid0(VALU_DEP_1) | instskip(NEXT) | instid1(VALU_DEP_1)
	v_cvt_f16_f32_e64 v223, v251
	v_perm_b32 v224, v224, v223, 0x5040100
	v_sub_f32_e32 v223, v231, v203
	s_delay_alu instid0(VALU_DEP_1) | instskip(SKIP_1) | instid1(VALU_DEP_2)
	v_mul_f32_e32 v228, 0x3fb8aa3b, v223
	v_cmp_ngt_f32_e32 vcc_lo, 0xc2ce8ed0, v223
	v_fma_f32 v229, 0x3fb8aa3b, v223, -v228
	v_rndne_f32_e32 v230, v228
	s_delay_alu instid0(VALU_DEP_1) | instskip(SKIP_1) | instid1(VALU_DEP_2)
	v_dual_fmac_f32 v229, 0x32a5705f, v223 :: v_dual_sub_f32 v228, v228, v230
	v_cvt_i32_f32_e32 v230, v230
	v_dual_add_f32 v228, v228, v229 :: v_dual_sub_f32 v229, v235, v203
	s_delay_alu instid0(VALU_DEP_1) | instskip(NEXT) | instid1(VALU_DEP_1)
	v_exp_f32_e32 v228, v228
	v_mul_f32_e32 v231, 0x3fb8aa3b, v229
	v_cmp_ngt_f32_e64 s4, 0xc2ce8ed0, v229
	s_delay_alu instid0(VALU_DEP_2) | instskip(SKIP_1) | instid1(TRANS32_DEP_1)
	v_fma_f32 v232, 0x3fb8aa3b, v229, -v231
	v_rndne_f32_e32 v233, v231
	v_ldexp_f32 v228, v228, v230
	s_delay_alu instid0(VALU_DEP_3) | instskip(NEXT) | instid1(VALU_DEP_3)
	v_fmac_f32_e32 v232, 0x32a5705f, v229
	v_sub_f32_e32 v231, v231, v233
	v_cvt_i32_f32_e32 v230, v233
	s_wait_alu 0xfffd
	v_cndmask_b32_e32 v228, 0, v228, vcc_lo
	v_cmp_nlt_f32_e32 vcc_lo, 0x42b17218, v223
	v_add_f32_e32 v231, v231, v232
	s_wait_alu 0xfffd
	s_delay_alu instid0(VALU_DEP_3) | instskip(NEXT) | instid1(VALU_DEP_2)
	v_cndmask_b32_e32 v254, 0x7f800000, v228, vcc_lo
	v_exp_f32_e32 v231, v231
	v_cmp_ngt_f32_e32 vcc_lo, 0xc2ce8ed0, v227
	s_delay_alu instid0(VALU_DEP_2) | instskip(NEXT) | instid1(TRANS32_DEP_1)
	v_cvt_f16_f32_e64 v228, v254
	v_ldexp_f32 v230, v231, v230
	s_wait_alu 0xf1ff
	s_delay_alu instid0(VALU_DEP_1) | instskip(SKIP_2) | instid1(VALU_DEP_1)
	v_cndmask_b32_e64 v223, 0, v230, s4
	v_cmp_nlt_f32_e64 s4, 0x42b17218, v229
	s_wait_alu 0xf1ff
	v_cndmask_b32_e64 v253, 0x7f800000, v223, s4
	s_delay_alu instid0(VALU_DEP_1) | instskip(NEXT) | instid1(VALU_DEP_1)
	v_cvt_f16_f32_e64 v223, v253
	v_perm_b32 v223, v228, v223, 0x5040100
	v_mul_f32_e32 v228, 0x3fb8aa3b, v227
	s_delay_alu instid0(VALU_DEP_1) | instskip(SKIP_1) | instid1(VALU_DEP_1)
	v_fma_f32 v229, 0x3fb8aa3b, v227, -v228
	v_rndne_f32_e32 v230, v228
	v_dual_fmac_f32 v229, 0x32a5705f, v227 :: v_dual_sub_f32 v228, v228, v230
	s_delay_alu instid0(VALU_DEP_1) | instskip(SKIP_1) | instid1(VALU_DEP_2)
	v_add_f32_e32 v228, v228, v229
	v_cvt_i32_f32_e32 v229, v230
	v_exp_f32_e32 v228, v228
	s_delay_alu instid0(TRANS32_DEP_1) | instskip(SKIP_1) | instid1(VALU_DEP_1)
	v_ldexp_f32 v228, v228, v229
	s_wait_alu 0xfffd
	v_cndmask_b32_e32 v228, 0, v228, vcc_lo
	v_cmp_nlt_f32_e32 vcc_lo, 0x42b17218, v227
	s_wait_alu 0xfffd
	s_delay_alu instid0(VALU_DEP_2) | instskip(SKIP_2) | instid1(VALU_DEP_2)
	v_cndmask_b32_e32 v228, 0x7f800000, v228, vcc_lo
	v_cmp_le_f32_e32 vcc_lo, 0xc1a00000, v227
	s_wait_alu 0xfffd
	v_cndmask_b32_e32 v143, 0, v228, vcc_lo
	v_add_co_u32 v77, vcc_lo, v77, 64
	s_wait_alu 0xfffd
	v_add_co_ci_u32_e64 v78, null, 0, v78, vcc_lo
	s_delay_alu instid0(VALU_DEP_3) | instskip(SKIP_3) | instid1(VALU_DEP_3)
	v_cvt_f16_f32_e64 v227, v143
	v_add_co_u32 v79, vcc_lo, v79, 64
	s_wait_alu 0xfffd
	v_add_co_ci_u32_e64 v80, null, 0, v80, vcc_lo
	v_and_b32_e32 v227, 0xffff, v227
	v_add_co_u32 v204, vcc_lo, v204, s68
	s_wait_alu 0xfffd
	v_add_co_ci_u32_e64 v205, null, s69, v205, vcc_lo
	s_delay_alu instid0(VALU_DEP_3)
	v_mul_u32_u24_e32 v141, 0x10001, v227
	ds_load_u16 v229, v108 offset:768
	ds_load_u16 v230, v109 offset:64
	;; [unrolled: 1-line block ×13, first 2 shown]
	ds_load_u16 v239, v108
	ds_load_u16 v238, v109 offset:128
	s_wait_dscnt 0xe
	ds_load_u16_d16_hi v229, v108 offset:944
	ds_load_u16 v242, v109
	s_wait_dscnt 0xf
	ds_load_u16_d16_hi v230, v110 offset:64
	s_wait_dscnt 0xf
	ds_load_u16_d16_hi v227, v108 offset:240
	s_wait_dscnt 0xf
	ds_load_u16_d16_hi v228, v108 offset:592
	ds_load_u16 v241, v108 offset:704
	s_wait_dscnt 0xf
	ds_load_u16_d16_hi v231, v108 offset:272
	s_wait_dscnt 0xd
	ds_load_u16_d16_hi v240, v108 offset:528
	ds_load_u16_d16_hi v235, v108 offset:304
	s_wait_dscnt 0xe
	ds_load_u16_d16_hi v243, v108 offset:208
	s_wait_dscnt 0xc
	ds_load_u16_d16_hi v232, v108 offset:624
	ds_load_u16_d16_hi v236, v108 offset:656
	;; [unrolled: 1-line block ×5, first 2 shown]
	s_wait_dscnt 0xf
	ds_load_u16_d16_hi v238, v110 offset:128
	v_pk_mul_f16 v12, v12, v141
	v_pk_mul_f16 v13, v13, v141
	;; [unrolled: 1-line block ×5, first 2 shown]
	s_wait_dscnt 0xe
	ds_load_u16_d16_hi v242, v110
	ds_load_u16_d16_hi v239, v108 offset:176
	s_wait_dscnt 0xc
	ds_load_u16_d16_hi v241, v108 offset:880
	ds_load_u16 v234, v109 offset:96
	ds_load_u16 v237, v108 offset:832
	;; [unrolled: 1-line block ×3, first 2 shown]
	s_wait_dscnt 0x1
	ds_load_u16_d16_hi v237, v108 offset:1008
	v_pk_mul_f16 v17, v17, v141
	v_pk_mul_f16 v18, v18, v141
	v_pk_mul_f16 v19, v19, v141
	v_pk_mul_f16 v0, v0, v141
	v_pk_mul_f16 v1, v1, v141
	v_pk_mul_f16 v2, v2, v141
	v_pk_mul_f16 v3, v3, v141
	v_pk_mul_f16 v8, v8, v141
	v_pk_mul_f16 v9, v9, v141
	v_pk_mul_f16 v10, v10, v141
	v_pk_mul_f16 v11, v11, v141
	v_pk_mul_f16 v4, v4, v141
	v_pk_mul_f16 v5, v5, v141
	v_pk_mul_f16 v6, v6, v141
	v_pk_mul_f16 v7, v7, v141
	v_add_f32_e32 v141, v253, v254
	s_wait_dscnt 0x1
	ds_load_u16_d16_hi v246, v110 offset:32
	ds_load_u16_d16_hi v234, v110 offset:96
	v_add_co_u32 v208, vcc_lo, v208, s68
	v_add_f32_e32 v141, v251, v141
	s_wait_alu 0xfffd
	v_add_co_ci_u32_e64 v209, null, s69, v209, vcc_lo
	v_add_co_u32 v211, vcc_lo, v211, s68
	s_delay_alu instid0(VALU_DEP_3) | instskip(SKIP_3) | instid1(VALU_DEP_3)
	v_add_f32_e32 v141, v252, v141
	s_wait_alu 0xfffd
	v_add_co_ci_u32_e64 v212, null, s69, v212, vcc_lo
	v_add_co_u32 v213, vcc_lo, v213, s68
	v_add_f32_e32 v141, v247, v141
	s_wait_alu 0xfffd
	v_add_co_ci_u32_e64 v214, null, s69, v214, vcc_lo
	v_add_co_u32 v81, vcc_lo, v81, s70
	s_delay_alu instid0(VALU_DEP_3) | instskip(SKIP_3) | instid1(VALU_DEP_3)
	v_add_f32_e32 v141, v250, v141
	s_wait_alu 0xfffd
	v_add_co_ci_u32_e64 v82, null, s71, v82, vcc_lo
	v_add_co_u32 v215, vcc_lo, v215, s70
	v_add_f32_e32 v141, v248, v141
	s_wait_alu 0xfffd
	v_add_co_ci_u32_e64 v216, null, s71, v216, vcc_lo
	v_add_co_u32 v217, vcc_lo, v217, s70
	s_wait_alu 0xfffd
	v_add_co_ci_u32_e64 v218, null, s71, v218, vcc_lo
	v_add_co_u32 v219, vcc_lo, v219, s70
	v_wmma_f16_16x16x16_f16 v[12:15], v[227:230], v[223:226], v[12:15]
	v_wmma_f16_16x16x16_f16 v[16:19], v[239:242], v[223:226], v[16:19]
	s_wait_dscnt 0x1
	v_wmma_f16_16x16x16_f16 v[0:3], v[243:246], v[223:226], v[0:3]
	s_wait_dscnt 0x0
	v_wmma_f16_16x16x16_f16 v[8:11], v[231:234], v[223:226], v[8:11]
	v_wmma_f16_16x16x16_f16 v[4:7], v[235:238], v[223:226], v[4:7]
	v_dual_mov_b32 v223, v200 :: v_dual_add_f32 v200, v249, v141
	s_wait_alu 0xfffd
	v_add_co_ci_u32_e64 v220, null, s71, v220, vcc_lo
	v_add_co_u32 v221, vcc_lo, v221, s70
	s_wait_alu 0xfffd
	v_add_co_ci_u32_e64 v222, null, s71, v222, vcc_lo
	v_add_co_u32 v75, vcc_lo, v75, s68
	v_fmac_f32_e32 v200, v223, v143
	s_wait_alu 0xfffd
	v_add_co_ci_u32_e64 v76, null, s69, v76, vcc_lo
	s_wait_loadcnt 0x0
	s_barrier_signal -1
	s_barrier_wait -1
	global_inv scope:SCOPE_SE
	s_cbranch_scc1 .LBB9_213
; %bb.214:                              ;   in Loop: Header=BB9_12 Depth=1
	v_mad_co_i64_i32 v[77:78], null, v206, s40, 0
	v_mad_co_i64_i32 v[75:76], null, v207, s40, 0
	s_lshl_b32 s56, s34, 5
	s_wait_alu 0xfffe
	s_mov_b64 s[4:5], s[56:57]
	s_branch .LBB9_216
.LBB9_215:                              ;   in Loop: Header=BB9_12 Depth=1
	v_dual_mov_b32 v7, 0 :: v_dual_mov_b32 v200, 0
	v_mov_b32_e32 v203, 0xfeffffff
	s_mov_b64 s[4:5], 0
	s_delay_alu instid0(VALU_DEP_2)
	v_dual_mov_b32 v6, v7 :: v_dual_mov_b32 v5, v7
	v_dual_mov_b32 v4, v7 :: v_dual_mov_b32 v11, v7
	;; [unrolled: 1-line block ×9, first 2 shown]
	v_mov_b32_e32 v0, v7
.LBB9_216:                              ;   in Loop: Header=BB9_12 Depth=1
	v_lshlrev_b32_e32 v79, 1, v101
	s_wait_alu 0xfffe
	s_lshl_b64 s[82:83], s[4:5], 1
	v_lshlrev_b64_e32 v[77:78], 1, v[77:78]
	s_add_nc_u64 s[80:81], s[80:81], s[82:83]
	v_lshlrev_b64_e32 v[75:76], 1, v[75:76]
	s_wait_alu 0xfffe
	v_add_co_u32 v79, s6, s80, v79
	s_wait_alu 0xf1ff
	v_add_co_ci_u32_e64 v80, null, s81, 0, s6
	s_mul_u64 s[80:81], s[4:5], s[26:27]
	v_add_co_u32 v77, vcc_lo, v79, v77
	s_wait_alu 0xfffe
	s_lshl_b64 s[80:81], s[80:81], 2
	s_wait_alu 0xfffd
	v_add_co_ci_u32_e64 v78, null, v80, v78, vcc_lo
	v_add_co_u32 v75, vcc_lo, v79, v75
	s_wait_alu 0xfffe
	s_add_nc_u64 s[78:79], s[78:79], s[80:81]
	s_wait_alu 0xfffd
	v_add_co_ci_u32_e64 v76, null, v80, v76, vcc_lo
	s_wait_alu 0xfffe
	v_add_co_u32 v79, vcc_lo, s78, v44
	s_wait_alu 0xfffd
	v_add_co_ci_u32_e64 v80, null, s79, v45, vcc_lo
	s_clause 0x1
	global_load_b32 v141, v[77:78], off
	global_load_b32 v143, v[75:76], off
	v_add_co_u32 v75, vcc_lo, v79, v157
	s_wait_alu 0xfffd
	v_add_co_ci_u32_e64 v76, null, 0, v80, vcc_lo
	v_add_co_u32 v77, vcc_lo, s78, v56
	s_wait_alu 0xfffd
	v_add_co_ci_u32_e64 v78, null, s79, v57, vcc_lo
	;; [unrolled: 3-line block ×9, first 2 shown]
	s_clause 0x4
	global_load_b128 v[75:78], v[75:76], off offset:128
	global_load_b128 v[79:82], v[79:80], off
	global_load_b128 v[204:207], v[204:205], off
	;; [unrolled: 1-line block ×4, first 2 shown]
	s_mul_u64 s[4:5], s[4:5], s[36:37]
	v_add_nc_u32_e32 v216, v162, v160
	s_wait_alu 0xfffe
	s_lshl_b64 s[4:5], s[4:5], 2
	s_cmp_lg_u64 s[74:75], 0
	s_wait_alu 0xfffe
	s_add_nc_u64 s[4:5], s[76:77], s[4:5]
	s_wait_alu 0xfffe
	v_add_co_u32 v217, vcc_lo, s4, v42
	s_wait_alu 0xfffd
	v_add_co_ci_u32_e64 v218, null, s5, v43, vcc_lo
	v_add_co_u32 v219, vcc_lo, s4, v46
	s_wait_alu 0xfffd
	v_add_co_ci_u32_e64 v220, null, s5, v47, vcc_lo
	;; [unrolled: 3-line block ×7, first 2 shown]
	v_add_co_u32 v232, vcc_lo, v221, v158
	v_add_nc_u32_e32 v216, 0x1400, v216
	s_wait_alu 0xfffd
	v_add_co_ci_u32_e64 v233, null, 0, v222, vcc_lo
	v_add_co_u32 v236, vcc_lo, v223, v158
	s_wait_alu 0xfffd
	v_add_co_ci_u32_e64 v237, null, 0, v226, vcc_lo
	v_add_co_u32 v240, vcc_lo, v227, v158
	s_wait_alu 0xfffd
	v_add_co_ci_u32_e64 v241, null, 0, v230, vcc_lo
	v_cmp_lt_i32_e32 vcc_lo, v201, v202
	s_cselect_b32 s4, -1, 0
	s_wait_loadcnt 0x5
	ds_store_2addr_b32 v216, v141, v143 offset0:128 offset1:208
	s_wait_loadcnt 0x4
	ds_store_b128 v102, v[75:78]
	s_wait_loadcnt 0x3
	ds_store_b128 v103, v[79:82]
	;; [unrolled: 2-line block ×5, first 2 shown]
	s_wait_dscnt 0x0
	s_barrier_signal -1
	s_barrier_wait -1
	global_inv scope:SCOPE_SE
	ds_load_b128 v[204:207], v106
	ds_load_b128 v[208:211], v106 offset:32
	ds_load_b128 v[212:215], v106 offset:64
	;; [unrolled: 1-line block ×4, first 2 shown]
	s_wait_loadcnt_dscnt 0x0
	s_barrier_signal -1
	s_barrier_wait -1
	global_inv scope:SCOPE_SE
	s_clause 0x4
	global_load_b128 v[224:227], v[224:225], off offset:128
	global_load_b128 v[228:231], v[228:229], off
	global_load_b128 v[232:235], v[232:233], off
	;; [unrolled: 1-line block ×4, first 2 shown]
	v_add_nc_u32_e32 v75, 0x1600, v107
	v_add_nc_u32_e32 v76, 0x1608, v107
	ds_load_2addr_b32 v[244:245], v75 offset1:1
	ds_load_2addr_b32 v[246:247], v76 offset1:1
	s_wait_alu 0xfffe
	s_and_b32 s5, s0, s4
	s_wait_loadcnt 0x4
	ds_store_b128 v102, v[224:227]
	s_wait_loadcnt 0x3
	ds_store_b128 v103, v[228:231]
	;; [unrolled: 2-line block ×5, first 2 shown]
	v_wmma_f32_16x16x16_f16 v[75:82], v[204:207], v[28:31], 0
	s_wait_dscnt 0x6
	v_lshrrev_b32_e32 v29, 16, v244
	v_cvt_f32_f16_e64 v28, v244
	v_cvt_f32_f16_e64 v30, v245
	v_wmma_f32_16x16x16_f16 v[75:82], v[208:211], v[32:35], v[75:82]
	s_wait_dscnt 0x0
	s_barrier_signal -1
	s_barrier_wait -1
	global_inv scope:SCOPE_SE
	v_wmma_f32_16x16x16_f16 v[75:82], v[212:215], v[36:39], v[75:82]
	s_delay_alu instid0(VALU_DEP_1)
	v_wmma_f32_16x16x16_f16 v[75:82], v[216:219], v[24:27], v[75:82]
	v_lshrrev_b32_e32 v24, 16, v245
	v_lshrrev_b32_e32 v26, 16, v246
	v_cvt_f32_f16_e64 v25, v246
	v_cvt_f32_f16_e64 v27, v247
	v_wmma_f32_16x16x16_f16 v[75:82], v[220:223], v[20:23], v[75:82]
	v_cvt_f32_f16_e32 v20, v29
	v_lshrrev_b32_e32 v21, 16, v247
	v_cvt_f32_f16_e32 v22, v24
	v_cvt_f32_f16_e32 v23, v26
	v_add_f32_e32 v24, v75, v28
	v_add_f32_e32 v26, v76, v20
	v_cvt_f32_f16_e32 v20, v21
	v_add_f32_e32 v28, v77, v30
	v_dual_add_f32 v22, v78, v22 :: v_dual_add_f32 v23, v80, v23
	v_add_f32_e32 v21, 0x40051340, v24
	v_add_f32_e32 v29, 0x40051340, v26
	s_delay_alu instid0(VALU_DEP_4) | instskip(NEXT) | instid1(VALU_DEP_4)
	v_dual_add_f32 v25, v79, v25 :: v_dual_add_f32 v30, 0x40051340, v28
	v_add_f32_e32 v31, 0x40051340, v22
	v_add_f32_e32 v27, v81, v27
	s_delay_alu instid0(VALU_DEP_4) | instskip(NEXT) | instid1(VALU_DEP_4)
	v_max3_num_f32 v21, v203, v21, v29
	v_dual_add_f32 v29, v82, v20 :: v_dual_add_f32 v20, 0x40051340, v25
	v_add_f32_e32 v32, 0x40051340, v23
	s_delay_alu instid0(VALU_DEP_3) | instskip(SKIP_3) | instid1(VALU_DEP_3)
	v_max3_num_f32 v21, v21, v30, v31
	s_wait_alu 0xfffd
	v_dual_cndmask_b32 v30, v199, v201 :: v_dual_add_f32 v31, 0x40051340, v27
	v_add_f32_e32 v33, 0x40051340, v29
	v_max3_num_f32 v21, v21, v20, v32
	s_delay_alu instid0(VALU_DEP_3) | instskip(NEXT) | instid1(VALU_DEP_2)
	v_lshlrev_b32_e32 v20, 2, v30
	v_max3_num_f32 v21, v21, v31, v33
	ds_bpermute_b32 v30, v20, v21
	s_wait_dscnt 0x0
	v_max_num_f32_e32 v30, v30, v30
	s_delay_alu instid0(VALU_DEP_1) | instskip(NEXT) | instid1(VALU_DEP_1)
	v_max_num_f32_e32 v21, v21, v30
	v_sub_f32_e32 v23, v23, v21
	s_delay_alu instid0(VALU_DEP_1) | instskip(SKIP_2) | instid1(VALU_DEP_3)
	v_dual_mul_f32 v36, 0x3fb8aa3b, v23 :: v_dual_sub_f32 v27, v27, v21
	v_sub_f32_e32 v28, v28, v21
	v_sub_f32_e32 v25, v25, v21
	v_rndne_f32_e32 v202, v36
	s_delay_alu instid0(VALU_DEP_4) | instskip(NEXT) | instid1(VALU_DEP_4)
	v_dual_mul_f32 v37, 0x3fb8aa3b, v27 :: v_dual_sub_f32 v24, v24, v21
	v_dual_mul_f32 v33, 0x3fb8aa3b, v28 :: v_dual_sub_f32 v26, v26, v21
	v_fma_f32 v201, 0x3fb8aa3b, v23, -v36
	s_delay_alu instid0(VALU_DEP_3) | instskip(NEXT) | instid1(VALU_DEP_3)
	v_dual_sub_f32 v36, v36, v202 :: v_dual_mul_f32 v31, 0x3fb8aa3b, v24
	v_fma_f32 v79, 0x3fb8aa3b, v28, -v33
	s_delay_alu instid0(VALU_DEP_4)
	v_mul_f32_e32 v32, 0x3fb8aa3b, v26
	v_rndne_f32_e32 v80, v33
	v_cmp_ngt_f32_e32 vcc_lo, 0xc2ce8ed0, v24
	v_fma_f32 v75, 0x3fb8aa3b, v24, -v31
	v_sub_f32_e32 v30, v203, v21
	v_rndne_f32_e32 v76, v31
	v_fma_f32 v77, 0x3fb8aa3b, v26, -v32
	v_rndne_f32_e32 v78, v32
	v_dual_fmac_f32 v75, 0x32a5705f, v24 :: v_dual_sub_f32 v22, v22, v21
	v_mul_f32_e32 v39, 0x3fb8aa3b, v30
	v_sub_f32_e32 v29, v29, v21
	v_sub_f32_e32 v31, v31, v76
	v_dual_mul_f32 v35, 0x3fb8aa3b, v25 :: v_dual_sub_f32 v32, v32, v78
	v_mul_f32_e32 v34, 0x3fb8aa3b, v22
	s_delay_alu instid0(VALU_DEP_3) | instskip(SKIP_1) | instid1(VALU_DEP_4)
	v_dual_mul_f32 v38, 0x3fb8aa3b, v29 :: v_dual_add_f32 v31, v31, v75
	v_sub_f32_e32 v33, v33, v80
	v_fma_f32 v141, 0x3fb8aa3b, v25, -v35
	s_delay_alu instid0(VALU_DEP_4)
	v_fma_f32 v81, 0x3fb8aa3b, v22, -v34
	v_rndne_f32_e32 v82, v34
	v_fmac_f32_e32 v79, 0x32a5705f, v28
	v_exp_f32_e32 v31, v31
	v_fma_f32 v205, 0x3fb8aa3b, v29, -v38
	v_fmac_f32_e32 v81, 0x32a5705f, v22
	v_sub_f32_e32 v34, v34, v82
	v_fmac_f32_e32 v77, 0x32a5705f, v26
	v_rndne_f32_e32 v206, v38
	v_cvt_i32_f32_e32 v76, v76
	s_delay_alu instid0(VALU_DEP_4) | instskip(NEXT) | instid1(VALU_DEP_4)
	v_dual_add_f32 v33, v33, v79 :: v_dual_add_f32 v34, v34, v81
	v_add_f32_e32 v32, v32, v77
	v_rndne_f32_e32 v143, v35
	v_cvt_i32_f32_e32 v78, v78
	v_dual_fmac_f32 v141, 0x32a5705f, v25 :: v_dual_sub_f32 v38, v38, v206
	s_delay_alu instid0(VALU_DEP_4)
	v_exp_f32_e32 v32, v32
	v_fmac_f32_e32 v205, 0x32a5705f, v29
	v_exp_f32_e32 v33, v33
	v_ldexp_f32 v31, v31, v76
	v_fma_f32 v203, 0x3fb8aa3b, v27, -v37
	v_cvt_i32_f32_e32 v80, v80
	v_dual_fmac_f32 v201, 0x32a5705f, v23 :: v_dual_add_f32 v38, v38, v205
	v_sub_f32_e32 v35, v35, v143
	v_exp_f32_e32 v34, v34
	s_delay_alu instid0(TRANS32_DEP_3)
	v_ldexp_f32 v32, v32, v78
	s_wait_alu 0xfffd
	v_cndmask_b32_e32 v31, 0, v31, vcc_lo
	v_cmp_ngt_f32_e32 vcc_lo, 0xc2ce8ed0, v26
	v_rndne_f32_e32 v204, v37
	v_cvt_i32_f32_e32 v82, v82
	v_dual_fmac_f32 v203, 0x32a5705f, v27 :: v_dual_add_f32 v36, v36, v201
	v_add_f32_e32 v35, v35, v141
	v_ldexp_f32 v33, v33, v80
	s_wait_alu 0xfffd
	v_cndmask_b32_e32 v32, 0, v32, vcc_lo
	v_cmp_ngt_f32_e32 vcc_lo, 0xc2ce8ed0, v28
	v_ldexp_f32 v34, v34, v82
	v_exp_f32_e32 v35, v35
	v_cvt_i32_f32_e32 v143, v143
	v_exp_f32_e32 v36, v36
	s_wait_alu 0xfffd
	v_cndmask_b32_e32 v33, 0, v33, vcc_lo
	v_cmp_ngt_f32_e32 vcc_lo, 0xc2ce8ed0, v22
	v_sub_f32_e32 v37, v37, v204
	v_cvt_i32_f32_e32 v202, v202
	v_cvt_i32_f32_e32 v204, v204
	v_exp_f32_e32 v38, v38
	s_wait_alu 0xfffd
	v_dual_cndmask_b32 v34, 0, v34 :: v_dual_add_f32 v37, v37, v203
	v_ldexp_f32 v35, v35, v143
	v_cmp_ngt_f32_e32 vcc_lo, 0xc2ce8ed0, v25
	v_ldexp_f32 v36, v36, v202
	v_fma_f32 v207, 0x3fb8aa3b, v30, -v39
	v_exp_f32_e32 v37, v37
	v_rndne_f32_e32 v208, v39
	s_wait_alu 0xfffd
	v_cndmask_b32_e32 v35, 0, v35, vcc_lo
	v_cmp_ngt_f32_e32 vcc_lo, 0xc2ce8ed0, v23
	v_cvt_i32_f32_e32 v206, v206
	v_fmac_f32_e32 v207, 0x32a5705f, v30
	v_cvt_i32_f32_e32 v75, v208
	s_wait_alu 0xfffd
	v_cndmask_b32_e32 v36, 0, v36, vcc_lo
	v_cmp_ngt_f32_e32 vcc_lo, 0xc2ce8ed0, v27
	v_ldexp_f32 v37, v37, v204
	v_ldexp_f32 v38, v38, v206
	s_wait_alu 0xfffd
	s_delay_alu instid0(VALU_DEP_2) | instskip(SKIP_3) | instid1(VALU_DEP_1)
	v_cndmask_b32_e32 v37, 0, v37, vcc_lo
	v_cmp_ngt_f32_e32 vcc_lo, 0xc2ce8ed0, v29
	s_wait_alu 0xfffd
	v_dual_sub_f32 v39, v39, v208 :: v_dual_cndmask_b32 v38, 0, v38
	v_add_f32_e32 v39, v39, v207
	v_cmp_ngt_f32_e32 vcc_lo, 0xc2ce8ed0, v30
	s_delay_alu instid0(VALU_DEP_2) | instskip(NEXT) | instid1(TRANS32_DEP_1)
	v_exp_f32_e32 v39, v39
	v_ldexp_f32 v39, v39, v75
	s_wait_alu 0xfffd
	s_delay_alu instid0(VALU_DEP_1) | instskip(SKIP_4) | instid1(VALU_DEP_2)
	v_cndmask_b32_e32 v39, 0, v39, vcc_lo
	v_cmp_nlt_f32_e32 vcc_lo, 0x42b17218, v24
	s_wait_alu 0xfffd
	v_cndmask_b32_e32 v24, 0x7f800000, v31, vcc_lo
	v_cmp_nlt_f32_e32 vcc_lo, 0x42b17218, v26
	v_cvt_f16_f32_e64 v204, v24
	s_wait_alu 0xfffd
	v_cndmask_b32_e32 v79, 0x7f800000, v32, vcc_lo
	v_cmp_nlt_f32_e32 vcc_lo, 0x42b17218, v28
	s_wait_alu 0xfffd
	v_cndmask_b32_e32 v28, 0x7f800000, v33, vcc_lo
	v_cmp_nlt_f32_e32 vcc_lo, 0x42b17218, v22
	s_delay_alu instid0(VALU_DEP_2)
	v_cvt_f16_f32_e64 v143, v28
	s_wait_alu 0xfffd
	v_cndmask_b32_e32 v33, 0x7f800000, v34, vcc_lo
	v_cmp_nlt_f32_e32 vcc_lo, 0x42b17218, v25
	v_add_f32_e32 v25, v24, v79
	v_cvt_f16_f32_e32 v79, v79
	s_delay_alu instid0(VALU_DEP_4)
	v_cvt_f16_f32_e64 v201, v33
	s_wait_alu 0xfffd
	v_cndmask_b32_e32 v77, 0x7f800000, v35, vcc_lo
	v_cmp_nlt_f32_e32 vcc_lo, 0x42b17218, v23
	v_add_f32_e32 v25, v28, v25
	v_perm_b32 v79, v79, v204, 0x5040100
	s_delay_alu instid0(VALU_DEP_4) | instskip(SKIP_3) | instid1(VALU_DEP_2)
	v_cvt_f16_f32_e32 v81, v77
	s_wait_alu 0xfffd
	v_cndmask_b32_e32 v80, 0x7f800000, v36, vcc_lo
	v_cmp_nlt_f32_e32 vcc_lo, 0x42b17218, v27
	v_cvt_f16_f32_e64 v202, v80
	s_wait_alu 0xfffd
	v_cndmask_b32_e32 v141, 0x7f800000, v37, vcc_lo
	v_cmp_nlt_f32_e32 vcc_lo, 0x42b17218, v30
	v_add_f32_e32 v37, v33, v25
	v_perm_b32 v81, v202, v81, 0x5040100
	s_delay_alu instid0(VALU_DEP_4)
	v_cvt_f16_f32_e64 v82, v141
	s_wait_alu 0xfffd
	v_cndmask_b32_e32 v22, 0x7f800000, v39, vcc_lo
	v_cmp_nlt_f32_e32 vcc_lo, 0x42b17218, v29
	v_add_f32_e32 v206, v77, v37
	s_wait_alu 0xfffd
	v_cndmask_b32_e32 v38, 0x7f800000, v38, vcc_lo
	v_cmp_le_f32_e32 vcc_lo, 0xc1a00000, v30
	s_delay_alu instid0(VALU_DEP_3) | instskip(SKIP_1) | instid1(VALU_DEP_4)
	v_add_f32_e32 v206, v80, v206
	v_perm_b32 v80, v201, v143, 0x5040100
	v_cvt_f16_f32_e64 v203, v38
	s_wait_alu 0xfffd
	v_cndmask_b32_e32 v39, 0, v22, vcc_lo
	ds_load_u16 v22, v108
	ds_load_u16 v26, v108 offset:32
	ds_load_u16 v23, v108 offset:352
	;; [unrolled: 1-line block ×13, first 2 shown]
	ds_load_u16 v25, v109
	ds_load_u16 v33, v109 offset:64
	ds_load_u16 v78, v109 offset:128
	v_cvt_f16_f32_e32 v29, v39
	v_add_f32_e32 v141, v141, v206
	v_perm_b32 v82, v203, v82, 0x5040100
	s_delay_alu instid0(VALU_DEP_3)
	v_and_b32_e32 v205, 0xffff, v29
	s_wait_dscnt 0xe
	ds_load_u16_d16_hi v23, v108 offset:528
	ds_load_u16_d16_hi v22, v108 offset:176
	;; [unrolled: 1-line block ×3, first 2 shown]
	s_wait_dscnt 0x10
	ds_load_u16_d16_hi v30, v108 offset:240
	s_wait_dscnt 0xf
	ds_load_u16_d16_hi v34, v108 offset:272
	;; [unrolled: 2-line block ×4, first 2 shown]
	ds_load_u16_d16_hi v31, v108 offset:592
	s_wait_dscnt 0xf
	ds_load_u16_d16_hi v35, v108 offset:624
	ds_load_u16_d16_hi v76, v108 offset:656
	s_wait_dscnt 0x10
	ds_load_u16_d16_hi v24, v108 offset:880
	s_wait_dscnt 0x10
	;; [unrolled: 2-line block ×4, first 2 shown]
	ds_load_u16_d16_hi v36, v108 offset:976
	ds_load_u16 v77, v108 offset:832
	ds_load_u16 v29, v109 offset:32
	s_wait_dscnt 0x12
	ds_load_u16_d16_hi v25, v110
	s_wait_dscnt 0x12
	ds_load_u16_d16_hi v33, v110 offset:64
	s_wait_dscnt 0x12
	ds_load_u16_d16_hi v78, v110 offset:128
	ds_load_u16 v37, v109 offset:96
	v_add_f32_e32 v38, v38, v141
	s_wait_dscnt 0x5
	ds_load_u16_d16_hi v77, v108 offset:1008
	s_wait_dscnt 0x5
	ds_load_u16_d16_hi v29, v110 offset:32
	;; [unrolled: 2-line block ×3, first 2 shown]
	v_fmac_f32_e32 v38, v200, v39
	v_mul_u32_u24_e32 v203, 0x10001, v205
	s_wait_loadcnt_dscnt 0x0
	s_barrier_signal -1
	s_barrier_wait -1
	ds_bpermute_b32 v39, v20, v38
	v_pk_mul_f16 v16, v16, v203
	v_pk_mul_f16 v17, v17, v203
	;; [unrolled: 1-line block ×20, first 2 shown]
	v_wmma_f16_16x16x16_f16 v[16:19], v[22:25], v[79:82], v[16:19]
	v_wmma_f16_16x16x16_f16 v[12:15], v[30:33], v[79:82], v[12:15]
	;; [unrolled: 1-line block ×5, first 2 shown]
	s_wait_dscnt 0x0
	v_add_f32_e32 v22, v38, v39
	global_inv scope:SCOPE_SE
	s_wait_alu 0xfffe
	s_and_saveexec_b32 s4, s5
	s_cbranch_execz .LBB9_218
; %bb.217:                              ;   in Loop: Header=BB9_12 Depth=1
	v_dual_max_num_f32 v24, v21, v21 :: v_dual_lshlrev_b32 v23, 2, v114
	global_load_b32 v23, v23, s[74:75]
	s_wait_loadcnt 0x0
	v_max_num_f32_e32 v25, v23, v23
	s_delay_alu instid0(VALU_DEP_1) | instskip(NEXT) | instid1(VALU_DEP_1)
	v_max_num_f32_e32 v24, v24, v25
	v_sub_f32_e32 v21, v21, v24
	s_delay_alu instid0(VALU_DEP_1) | instskip(NEXT) | instid1(VALU_DEP_1)
	v_mul_f32_e32 v25, 0x3fb8aa3b, v21
	v_fma_f32 v26, 0x3fb8aa3b, v21, -v25
	v_rndne_f32_e32 v27, v25
	s_delay_alu instid0(VALU_DEP_1) | instskip(SKIP_2) | instid1(VALU_DEP_2)
	v_dual_fmac_f32 v26, 0x32a5705f, v21 :: v_dual_sub_f32 v25, v25, v27
	v_sub_f32_e32 v23, v23, v24
	v_cvt_i32_f32_e32 v27, v27
	v_dual_add_f32 v25, v25, v26 :: v_dual_mul_f32 v26, 0x3fb8aa3b, v23
	v_cmp_ngt_f32_e32 vcc_lo, 0xc2ce8ed0, v21
	s_delay_alu instid0(VALU_DEP_2) | instskip(SKIP_1) | instid1(VALU_DEP_1)
	v_fma_f32 v28, 0x3fb8aa3b, v23, -v26
	v_rndne_f32_e32 v29, v26
	v_sub_f32_e32 v26, v26, v29
	s_delay_alu instid0(VALU_DEP_3) | instskip(SKIP_1) | instid1(VALU_DEP_1)
	v_fmac_f32_e32 v28, 0x32a5705f, v23
	v_exp_f32_e32 v25, v25
	v_add_f32_e32 v26, v26, v28
	s_delay_alu instid0(VALU_DEP_1) | instskip(NEXT) | instid1(TRANS32_DEP_2)
	v_exp_f32_e32 v26, v26
	v_ldexp_f32 v25, v25, v27
	v_cvt_i32_f32_e32 v27, v29
	s_wait_alu 0xfffd
	s_delay_alu instid0(VALU_DEP_2) | instskip(SKIP_2) | instid1(VALU_DEP_2)
	v_cndmask_b32_e32 v25, 0, v25, vcc_lo
	v_cmp_nlt_f32_e32 vcc_lo, 0x42b17218, v21
	s_wait_alu 0xfffd
	v_cndmask_b32_e32 v25, 0x7f800000, v25, vcc_lo
	v_cmp_le_f32_e32 vcc_lo, 0xc1a00000, v21
	s_delay_alu instid0(TRANS32_DEP_1) | instskip(SKIP_1) | instid1(VALU_DEP_3)
	v_ldexp_f32 v21, v26, v27
	s_wait_alu 0xfffd
	v_cndmask_b32_e32 v25, 0, v25, vcc_lo
	v_cmp_ngt_f32_e32 vcc_lo, 0xc2ce8ed0, v23
	s_delay_alu instid0(VALU_DEP_2) | instskip(SKIP_3) | instid1(VALU_DEP_3)
	v_cvt_f16_f32_e32 v26, v25
	s_wait_alu 0xfffd
	v_cndmask_b32_e32 v21, 0, v21, vcc_lo
	v_cmp_nlt_f32_e32 vcc_lo, 0x42b17218, v23
	v_and_b32_e32 v26, 0xffff, v26
	s_wait_alu 0xfffd
	s_delay_alu instid0(VALU_DEP_3) | instskip(SKIP_1) | instid1(VALU_DEP_3)
	v_cndmask_b32_e32 v23, 0x7f800000, v21, vcc_lo
	v_mov_b32_e32 v21, v24
	v_mul_u32_u24_e32 v26, 0x10001, v26
	s_delay_alu instid0(VALU_DEP_3) | instskip(NEXT) | instid1(VALU_DEP_2)
	v_fmac_f32_e32 v23, v22, v25
	v_pk_mul_f16 v16, v16, v26
	v_pk_mul_f16 v17, v17, v26
	;; [unrolled: 1-line block ×20, first 2 shown]
	v_mov_b32_e32 v22, v23
.LBB9_218:                              ;   in Loop: Header=BB9_12 Depth=1
	s_wait_alu 0xfffe
	s_or_b32 exec_lo, exec_lo, s4
	s_and_saveexec_b32 s4, s2
; %bb.219:                              ;   in Loop: Header=BB9_12 Depth=1
	v_add_nc_u32_e32 v23, 0, v118
	ds_store_2addr_b32 v23, v21, v22 offset0:40 offset1:41
; %bb.220:                              ;   in Loop: Header=BB9_12 Depth=1
	s_wait_alu 0xfffe
	s_or_b32 exec_lo, exec_lo, s4
	s_wait_loadcnt_dscnt 0x0
	s_barrier_signal -1
	s_barrier_wait -1
	global_inv scope:SCOPE_SE
	s_and_saveexec_b32 s4, s43
	s_wait_alu 0xfffe
	s_xor_b32 s4, exec_lo, s4
	s_cbranch_execz .LBB9_222
; %bb.221:                              ;   in Loop: Header=BB9_12 Depth=1
	s_wait_loadcnt 0x0
	s_barrier_signal -1
	s_barrier_wait -1
	global_inv scope:SCOPE_SE
                                        ; implicit-def: $vgpr20
.LBB9_222:                              ;   in Loop: Header=BB9_12 Depth=1
	s_wait_alu 0xfffe
	s_and_not1_saveexec_b32 s4, s4
	s_cbranch_execz .LBB9_224
; %bb.223:                              ;   in Loop: Header=BB9_12 Depth=1
	v_add_nc_u32_e32 v25, 0, v119
	ds_load_b64 v[21:22], v25 offset:160
	s_wait_loadcnt_dscnt 0x0
	s_barrier_signal -1
	s_barrier_wait -1
	global_inv scope:SCOPE_SE
	ds_bpermute_b32 v23, v20, v21
	s_wait_dscnt 0x0
	v_dual_max_num_f32 v24, v21, v21 :: v_dual_max_num_f32 v23, v23, v23
	s_delay_alu instid0(VALU_DEP_1) | instskip(NEXT) | instid1(VALU_DEP_1)
	v_max_num_f32_e32 v23, v24, v23
	v_sub_f32_e32 v21, v21, v23
	s_delay_alu instid0(VALU_DEP_1) | instskip(SKIP_1) | instid1(VALU_DEP_2)
	v_mul_f32_e32 v23, 0x3fb8aa3b, v21
	v_cmp_ngt_f32_e32 vcc_lo, 0xc2ce8ed0, v21
	v_fma_f32 v24, 0x3fb8aa3b, v21, -v23
	v_rndne_f32_e32 v26, v23
	s_delay_alu instid0(VALU_DEP_1) | instskip(NEXT) | instid1(VALU_DEP_1)
	v_dual_fmac_f32 v24, 0x32a5705f, v21 :: v_dual_sub_f32 v23, v23, v26
	v_add_f32_e32 v23, v23, v24
	v_cvt_i32_f32_e32 v24, v26
	s_delay_alu instid0(VALU_DEP_2) | instskip(NEXT) | instid1(TRANS32_DEP_1)
	v_exp_f32_e32 v23, v23
	v_ldexp_f32 v23, v23, v24
	s_wait_alu 0xfffd
	s_delay_alu instid0(VALU_DEP_1) | instskip(SKIP_2) | instid1(VALU_DEP_2)
	v_cndmask_b32_e32 v23, 0, v23, vcc_lo
	v_cmp_nlt_f32_e32 vcc_lo, 0x42b17218, v21
	s_wait_alu 0xfffd
	v_cndmask_b32_e32 v23, 0x7f800000, v23, vcc_lo
	s_delay_alu instid0(VALU_DEP_1)
	v_mul_f32_e32 v21, v22, v23
	ds_bpermute_b32 v24, v20, v21
	s_wait_dscnt 0x0
	v_fmac_f32_e32 v24, v22, v23
	ds_store_b64 v25, v[23:24] offset:160
.LBB9_224:                              ;   in Loop: Header=BB9_12 Depth=1
	s_wait_alu 0xfffe
	s_or_b32 exec_lo, exec_lo, s4
	v_add_nc_u32_e32 v20, v115, v120
	ds_store_2addr_b32 v20, v16, v17 offset1:1
	ds_store_2addr_b32 v20, v18, v19 offset0:2 offset1:3
	ds_store_2addr_b32 v20, v0, v1 offset0:8 offset1:9
	ds_store_2addr_b32 v20, v2, v3 offset0:10 offset1:11
	ds_store_2addr_b32 v20, v12, v13 offset0:16 offset1:17
	ds_store_2addr_b32 v20, v14, v15 offset0:18 offset1:19
	ds_store_2addr_b32 v20, v8, v9 offset0:24 offset1:25
	ds_store_2addr_b32 v20, v10, v11 offset0:26 offset1:27
	ds_store_2addr_b32 v20, v4, v5 offset0:32 offset1:33
	ds_store_2addr_b32 v20, v6, v7 offset0:34 offset1:35
	s_wait_loadcnt_dscnt 0x0
	s_barrier_signal -1
	s_barrier_wait -1
	global_inv scope:SCOPE_SE
	s_and_saveexec_b32 s6, s0
	s_cbranch_execz .LBB9_10
; %bb.225:                              ;   in Loop: Header=BB9_12 Depth=1
	v_add_nc_u32_e32 v0, s67, v173
	v_or_b32_e32 v1, s41, v74
	s_delay_alu instid0(VALU_DEP_1) | instskip(SKIP_1) | instid1(VALU_DEP_4)
	v_cmp_gt_i32_e64 s4, s33, v1
	v_mov_b32_e32 v1, 0x47
	v_cmp_gt_i32_e32 vcc_lo, s24, v0
	s_and_b32 s5, vcc_lo, s4
	s_wait_alu 0xfffe
	s_and_saveexec_b32 s34, s5
	s_cbranch_execz .LBB9_227
; %bb.226:                              ;   in Loop: Header=BB9_12 Depth=1
	v_add_nc_u32_e32 v1, v96, v121
	v_add_nc_u32_e32 v5, 0, v121
	ds_load_2addr_stride64_b32 v[1:2], v1 offset1:11
	ds_load_2addr_b32 v[3:4], v5 offset0:40 offset1:41
	ds_load_b32 v5, v5 offset:2976
	s_wait_dscnt 0x1
	v_fma_mix_f32 v6, v3, v1, 0 op_sel_hi:[0,1,0]
	v_fma_mix_f32 v1, v3, v1, 0 op_sel:[0,1,0] op_sel_hi:[0,1,0]
	s_wait_dscnt 0x0
	s_delay_alu instid0(VALU_DEP_2) | instskip(NEXT) | instid1(VALU_DEP_2)
	v_fma_mix_f32 v3, v5, v2, v6 op_sel_hi:[0,1,0]
	v_fma_mix_f32 v5, v5, v2, v1 op_sel:[0,1,0] op_sel_hi:[0,1,0]
	s_delay_alu instid0(VALU_DEP_2) | instskip(NEXT) | instid1(VALU_DEP_2)
	v_div_scale_f32 v2, null, v4, v4, v3
	v_div_scale_f32 v6, null, v4, v4, v5
	v_div_scale_f32 v11, s5, v5, v4, v5
	s_delay_alu instid0(VALU_DEP_3) | instskip(NEXT) | instid1(VALU_DEP_2)
	v_rcp_f32_e32 v7, v2
	v_rcp_f32_e32 v8, v6
	v_div_scale_f32 v10, vcc_lo, v3, v4, v3
	s_delay_alu instid0(TRANS32_DEP_2) | instskip(NEXT) | instid1(TRANS32_DEP_1)
	v_fma_f32 v1, -v2, v7, 1.0
	v_fma_f32 v9, -v6, v8, 1.0
	s_delay_alu instid0(VALU_DEP_1) | instskip(NEXT) | instid1(VALU_DEP_1)
	v_fmac_f32_e32 v8, v9, v8
	v_mul_f32_e32 v12, v11, v8
	s_delay_alu instid0(VALU_DEP_1) | instskip(SKIP_2) | instid1(VALU_DEP_3)
	v_fma_f32 v14, -v6, v12, v11
	v_fmac_f32_e32 v7, v1, v7
	v_mad_co_u64_u32 v[0:1], null, v0, s25, v[74:75]
	v_fmac_f32_e32 v12, v14, v8
	s_delay_alu instid0(VALU_DEP_3) | instskip(NEXT) | instid1(VALU_DEP_3)
	v_mul_f32_e32 v9, v10, v7
	v_mad_co_u64_u32 v[0:1], null, v0, 40, v[52:53]
	s_delay_alu instid0(VALU_DEP_2) | instskip(NEXT) | instid1(VALU_DEP_4)
	v_fma_f32 v13, -v2, v9, v10
	v_fma_f32 v6, -v6, v12, v11
	s_delay_alu instid0(VALU_DEP_2) | instskip(NEXT) | instid1(VALU_DEP_4)
	v_fmac_f32_e32 v9, v13, v7
	v_ashrrev_i32_e32 v1, 31, v0
	s_delay_alu instid0(VALU_DEP_2) | instskip(NEXT) | instid1(VALU_DEP_2)
	v_fma_f32 v2, -v2, v9, v10
	v_lshlrev_b64_e32 v[0:1], 3, v[0:1]
	s_wait_alu 0xfffd
	s_delay_alu instid0(VALU_DEP_2) | instskip(SKIP_3) | instid1(VALU_DEP_2)
	v_div_fmas_f32 v2, v2, v7, v9
	s_mov_b32 vcc_lo, s5
	s_wait_alu 0xfffe
	v_div_fmas_f32 v6, v6, v8, v12
	v_div_fixup_f32 v2, v2, v4, v3
	s_delay_alu instid0(VALU_DEP_2)
	v_div_fixup_f32 v3, v6, v4, v5
	v_add_co_u32 v4, vcc_lo, s72, v0
	s_wait_alu 0xfffd
	v_add_co_ci_u32_e64 v5, null, s73, v1, vcc_lo
	v_mov_b32_e32 v1, 0
	global_store_b64 v[4:5], v[2:3], off
.LBB9_227:                              ;   in Loop: Header=BB9_12 Depth=1
	s_wait_alu 0xfffe
	s_or_b32 exec_lo, exec_lo, s34
	s_mov_b32 s5, -1
	s_mov_b32 s34, exec_lo
	v_cmpx_gt_i32_e32 0x47, v1
; %bb.228:                              ;   in Loop: Header=BB9_12 Depth=1
	v_cmp_eq_u32_e32 vcc_lo, 0, v1
	s_or_not1_b32 s5, vcc_lo, exec_lo
; %bb.229:                              ;   in Loop: Header=BB9_12 Depth=1
	s_wait_alu 0xfffe
	s_or_b32 exec_lo, exec_lo, s34
	s_and_saveexec_b32 s56, s5
	s_cbranch_execz .LBB9_302
; %bb.230:                              ;   in Loop: Header=BB9_12 Depth=1
	v_add_nc_u32_e32 v0, s67, v174
	v_or_b32_e32 v1, s41, v65
	s_delay_alu instid0(VALU_DEP_1) | instskip(SKIP_1) | instid1(VALU_DEP_4)
	v_cmp_gt_i32_e64 s5, s33, v1
	v_mov_b32_e32 v1, 0x47
	v_cmp_gt_i32_e32 vcc_lo, s24, v0
	s_and_b32 s5, vcc_lo, s5
	s_wait_alu 0xfffe
	s_and_saveexec_b32 s34, s5
	s_cbranch_execz .LBB9_232
; %bb.231:                              ;   in Loop: Header=BB9_12 Depth=1
	v_add_nc_u32_e32 v1, v96, v122
	v_add_nc_u32_e32 v5, 0, v122
	ds_load_2addr_stride64_b32 v[1:2], v1 offset1:11
	ds_load_2addr_b32 v[3:4], v5 offset0:40 offset1:41
	ds_load_b32 v5, v5 offset:2976
	s_wait_dscnt 0x1
	v_fma_mix_f32 v6, v3, v1, 0 op_sel_hi:[0,1,0]
	v_fma_mix_f32 v1, v3, v1, 0 op_sel:[0,1,0] op_sel_hi:[0,1,0]
	s_wait_dscnt 0x0
	s_delay_alu instid0(VALU_DEP_2) | instskip(NEXT) | instid1(VALU_DEP_2)
	v_fma_mix_f32 v3, v5, v2, v6 op_sel_hi:[0,1,0]
	v_fma_mix_f32 v5, v5, v2, v1 op_sel:[0,1,0] op_sel_hi:[0,1,0]
	s_delay_alu instid0(VALU_DEP_2) | instskip(NEXT) | instid1(VALU_DEP_2)
	v_div_scale_f32 v2, null, v4, v4, v3
	v_div_scale_f32 v6, null, v4, v4, v5
	v_div_scale_f32 v11, s5, v5, v4, v5
	s_delay_alu instid0(VALU_DEP_3) | instskip(NEXT) | instid1(VALU_DEP_2)
	v_rcp_f32_e32 v7, v2
	v_rcp_f32_e32 v8, v6
	v_div_scale_f32 v10, vcc_lo, v3, v4, v3
	s_delay_alu instid0(TRANS32_DEP_2) | instskip(NEXT) | instid1(TRANS32_DEP_1)
	v_fma_f32 v1, -v2, v7, 1.0
	v_fma_f32 v9, -v6, v8, 1.0
	s_delay_alu instid0(VALU_DEP_1) | instskip(NEXT) | instid1(VALU_DEP_1)
	v_fmac_f32_e32 v8, v9, v8
	v_mul_f32_e32 v12, v11, v8
	s_delay_alu instid0(VALU_DEP_1) | instskip(SKIP_2) | instid1(VALU_DEP_3)
	v_fma_f32 v14, -v6, v12, v11
	v_fmac_f32_e32 v7, v1, v7
	v_mad_co_u64_u32 v[0:1], null, v0, s25, v[65:66]
	v_fmac_f32_e32 v12, v14, v8
	s_delay_alu instid0(VALU_DEP_3) | instskip(NEXT) | instid1(VALU_DEP_3)
	v_mul_f32_e32 v9, v10, v7
	v_mad_co_u64_u32 v[0:1], null, v0, 40, v[52:53]
	s_delay_alu instid0(VALU_DEP_2) | instskip(NEXT) | instid1(VALU_DEP_4)
	v_fma_f32 v13, -v2, v9, v10
	v_fma_f32 v6, -v6, v12, v11
	s_delay_alu instid0(VALU_DEP_2) | instskip(NEXT) | instid1(VALU_DEP_4)
	v_fmac_f32_e32 v9, v13, v7
	v_ashrrev_i32_e32 v1, 31, v0
	s_delay_alu instid0(VALU_DEP_2) | instskip(NEXT) | instid1(VALU_DEP_2)
	v_fma_f32 v2, -v2, v9, v10
	v_lshlrev_b64_e32 v[0:1], 3, v[0:1]
	s_wait_alu 0xfffd
	s_delay_alu instid0(VALU_DEP_2) | instskip(SKIP_3) | instid1(VALU_DEP_2)
	v_div_fmas_f32 v2, v2, v7, v9
	s_mov_b32 vcc_lo, s5
	s_wait_alu 0xfffe
	v_div_fmas_f32 v6, v6, v8, v12
	v_div_fixup_f32 v2, v2, v4, v3
	s_delay_alu instid0(VALU_DEP_2)
	v_div_fixup_f32 v3, v6, v4, v5
	v_add_co_u32 v4, vcc_lo, s72, v0
	s_wait_alu 0xfffd
	v_add_co_ci_u32_e64 v5, null, s73, v1, vcc_lo
	v_mov_b32_e32 v1, 0
	global_store_b64 v[4:5], v[2:3], off
.LBB9_232:                              ;   in Loop: Header=BB9_12 Depth=1
	s_wait_alu 0xfffe
	s_or_b32 exec_lo, exec_lo, s34
	s_mov_b32 s5, -1
	s_mov_b32 s34, exec_lo
	v_cmpx_gt_i32_e32 0x47, v1
; %bb.233:                              ;   in Loop: Header=BB9_12 Depth=1
	v_cmp_eq_u32_e32 vcc_lo, 0, v1
	s_or_not1_b32 s5, vcc_lo, exec_lo
; %bb.234:                              ;   in Loop: Header=BB9_12 Depth=1
	s_wait_alu 0xfffe
	s_or_b32 exec_lo, exec_lo, s34
	s_delay_alu instid0(SALU_CYCLE_1)
	s_and_b32 exec_lo, exec_lo, s5
	s_cbranch_execz .LBB9_302
; %bb.235:                              ;   in Loop: Header=BB9_12 Depth=1
	v_dual_mov_b32 v1, 0x47 :: v_dual_add_nc_u32 v0, s67, v123
	s_delay_alu instid0(VALU_DEP_1)
	v_cmp_gt_i32_e32 vcc_lo, s24, v0
	s_and_b32 s5, vcc_lo, s4
	s_wait_alu 0xfffe
	s_and_saveexec_b32 s34, s5
	s_cbranch_execz .LBB9_237
; %bb.236:                              ;   in Loop: Header=BB9_12 Depth=1
	v_add_nc_u32_e32 v1, v96, v124
	v_add_nc_u32_e32 v5, 0, v124
	ds_load_2addr_stride64_b32 v[1:2], v1 offset1:11
	ds_load_2addr_b32 v[3:4], v5 offset0:40 offset1:41
	ds_load_b32 v5, v5 offset:2976
	s_wait_dscnt 0x1
	v_fma_mix_f32 v6, v3, v1, 0 op_sel_hi:[0,1,0]
	v_fma_mix_f32 v1, v3, v1, 0 op_sel:[0,1,0] op_sel_hi:[0,1,0]
	s_wait_dscnt 0x0
	s_delay_alu instid0(VALU_DEP_2) | instskip(NEXT) | instid1(VALU_DEP_2)
	v_fma_mix_f32 v3, v5, v2, v6 op_sel_hi:[0,1,0]
	v_fma_mix_f32 v5, v5, v2, v1 op_sel:[0,1,0] op_sel_hi:[0,1,0]
	s_delay_alu instid0(VALU_DEP_2) | instskip(NEXT) | instid1(VALU_DEP_2)
	v_div_scale_f32 v2, null, v4, v4, v3
	v_div_scale_f32 v6, null, v4, v4, v5
	v_div_scale_f32 v10, vcc_lo, v3, v4, v3
	s_delay_alu instid0(VALU_DEP_3) | instskip(NEXT) | instid1(VALU_DEP_2)
	v_rcp_f32_e32 v7, v2
	v_rcp_f32_e32 v8, v6
	v_div_scale_f32 v11, s5, v5, v4, v5
	s_delay_alu instid0(TRANS32_DEP_2) | instskip(NEXT) | instid1(TRANS32_DEP_1)
	v_fma_f32 v1, -v2, v7, 1.0
	v_fma_f32 v9, -v6, v8, 1.0
	s_delay_alu instid0(VALU_DEP_1) | instskip(NEXT) | instid1(VALU_DEP_3)
	v_fmac_f32_e32 v8, v9, v8
	v_fmac_f32_e32 v7, v1, v7
	v_mad_co_u64_u32 v[0:1], null, v0, s25, v[74:75]
	s_delay_alu instid0(VALU_DEP_2) | instskip(NEXT) | instid1(VALU_DEP_2)
	v_dual_mul_f32 v12, v11, v8 :: v_dual_mul_f32 v9, v10, v7
	v_mad_co_u64_u32 v[0:1], null, v0, 40, v[52:53]
	s_delay_alu instid0(VALU_DEP_2) | instskip(NEXT) | instid1(VALU_DEP_3)
	v_fma_f32 v13, -v2, v9, v10
	v_fma_f32 v14, -v6, v12, v11
	s_delay_alu instid0(VALU_DEP_1) | instskip(NEXT) | instid1(VALU_DEP_4)
	v_dual_fmac_f32 v9, v13, v7 :: v_dual_fmac_f32 v12, v14, v8
	v_ashrrev_i32_e32 v1, 31, v0
	s_delay_alu instid0(VALU_DEP_2) | instskip(NEXT) | instid1(VALU_DEP_3)
	v_fma_f32 v2, -v2, v9, v10
	v_fma_f32 v6, -v6, v12, v11
	s_delay_alu instid0(VALU_DEP_3) | instskip(SKIP_1) | instid1(VALU_DEP_3)
	v_lshlrev_b64_e32 v[0:1], 3, v[0:1]
	s_wait_alu 0xfffd
	v_div_fmas_f32 v2, v2, v7, v9
	s_mov_b32 vcc_lo, s5
	s_wait_alu 0xfffe
	v_div_fmas_f32 v6, v6, v8, v12
	s_delay_alu instid0(VALU_DEP_2) | instskip(NEXT) | instid1(VALU_DEP_2)
	v_div_fixup_f32 v2, v2, v4, v3
	v_div_fixup_f32 v3, v6, v4, v5
	v_add_co_u32 v4, vcc_lo, s72, v0
	s_wait_alu 0xfffd
	v_add_co_ci_u32_e64 v5, null, s73, v1, vcc_lo
	v_mov_b32_e32 v1, 0
	global_store_b64 v[4:5], v[2:3], off
.LBB9_237:                              ;   in Loop: Header=BB9_12 Depth=1
	s_wait_alu 0xfffe
	s_or_b32 exec_lo, exec_lo, s34
	s_mov_b32 s5, -1
	s_mov_b32 s34, exec_lo
	v_cmpx_gt_i32_e32 0x47, v1
; %bb.238:                              ;   in Loop: Header=BB9_12 Depth=1
	v_cmp_eq_u32_e32 vcc_lo, 0, v1
	s_or_not1_b32 s5, vcc_lo, exec_lo
; %bb.239:                              ;   in Loop: Header=BB9_12 Depth=1
	s_wait_alu 0xfffe
	s_or_b32 exec_lo, exec_lo, s34
	s_delay_alu instid0(SALU_CYCLE_1)
	s_and_b32 exec_lo, exec_lo, s5
	s_cbranch_execz .LBB9_302
; %bb.240:                              ;   in Loop: Header=BB9_12 Depth=1
	v_add_nc_u32_e32 v0, s67, v175
	v_or_b32_e32 v1, s41, v66
	s_delay_alu instid0(VALU_DEP_1) | instskip(SKIP_1) | instid1(VALU_DEP_4)
	v_cmp_gt_i32_e64 s5, s33, v1
	v_mov_b32_e32 v1, 0x47
	v_cmp_gt_i32_e32 vcc_lo, s24, v0
	s_and_b32 s5, vcc_lo, s5
	s_wait_alu 0xfffe
	s_and_saveexec_b32 s34, s5
	s_cbranch_execz .LBB9_242
; %bb.241:                              ;   in Loop: Header=BB9_12 Depth=1
	v_add_nc_u32_e32 v1, v96, v125
	v_add_nc_u32_e32 v5, 0, v125
	ds_load_2addr_stride64_b32 v[1:2], v1 offset1:11
	ds_load_2addr_b32 v[3:4], v5 offset0:40 offset1:41
	ds_load_b32 v5, v5 offset:2976
	s_wait_dscnt 0x1
	v_fma_mix_f32 v6, v3, v1, 0 op_sel_hi:[0,1,0]
	v_fma_mix_f32 v1, v3, v1, 0 op_sel:[0,1,0] op_sel_hi:[0,1,0]
	s_wait_dscnt 0x0
	s_delay_alu instid0(VALU_DEP_2) | instskip(NEXT) | instid1(VALU_DEP_2)
	v_fma_mix_f32 v3, v5, v2, v6 op_sel_hi:[0,1,0]
	v_fma_mix_f32 v5, v5, v2, v1 op_sel:[0,1,0] op_sel_hi:[0,1,0]
	s_delay_alu instid0(VALU_DEP_2) | instskip(NEXT) | instid1(VALU_DEP_2)
	v_div_scale_f32 v2, null, v4, v4, v3
	v_div_scale_f32 v6, null, v4, v4, v5
	v_div_scale_f32 v11, s5, v5, v4, v5
	s_delay_alu instid0(VALU_DEP_3) | instskip(NEXT) | instid1(VALU_DEP_2)
	v_rcp_f32_e32 v7, v2
	v_rcp_f32_e32 v8, v6
	v_div_scale_f32 v10, vcc_lo, v3, v4, v3
	s_delay_alu instid0(TRANS32_DEP_2) | instskip(NEXT) | instid1(TRANS32_DEP_1)
	v_fma_f32 v1, -v2, v7, 1.0
	v_fma_f32 v9, -v6, v8, 1.0
	s_delay_alu instid0(VALU_DEP_1) | instskip(NEXT) | instid1(VALU_DEP_1)
	v_fmac_f32_e32 v8, v9, v8
	v_mul_f32_e32 v12, v11, v8
	s_delay_alu instid0(VALU_DEP_1) | instskip(SKIP_2) | instid1(VALU_DEP_3)
	v_fma_f32 v14, -v6, v12, v11
	v_fmac_f32_e32 v7, v1, v7
	v_mad_co_u64_u32 v[0:1], null, v0, s25, v[66:67]
	v_fmac_f32_e32 v12, v14, v8
	s_delay_alu instid0(VALU_DEP_3) | instskip(NEXT) | instid1(VALU_DEP_3)
	v_mul_f32_e32 v9, v10, v7
	v_mad_co_u64_u32 v[0:1], null, v0, 40, v[52:53]
	s_delay_alu instid0(VALU_DEP_2) | instskip(NEXT) | instid1(VALU_DEP_4)
	v_fma_f32 v13, -v2, v9, v10
	v_fma_f32 v6, -v6, v12, v11
	s_delay_alu instid0(VALU_DEP_2) | instskip(NEXT) | instid1(VALU_DEP_4)
	v_fmac_f32_e32 v9, v13, v7
	v_ashrrev_i32_e32 v1, 31, v0
	s_delay_alu instid0(VALU_DEP_2) | instskip(NEXT) | instid1(VALU_DEP_2)
	v_fma_f32 v2, -v2, v9, v10
	v_lshlrev_b64_e32 v[0:1], 3, v[0:1]
	s_wait_alu 0xfffd
	s_delay_alu instid0(VALU_DEP_2) | instskip(SKIP_3) | instid1(VALU_DEP_2)
	v_div_fmas_f32 v2, v2, v7, v9
	s_mov_b32 vcc_lo, s5
	s_wait_alu 0xfffe
	v_div_fmas_f32 v6, v6, v8, v12
	v_div_fixup_f32 v2, v2, v4, v3
	s_delay_alu instid0(VALU_DEP_2)
	v_div_fixup_f32 v3, v6, v4, v5
	v_add_co_u32 v4, vcc_lo, s72, v0
	s_wait_alu 0xfffd
	v_add_co_ci_u32_e64 v5, null, s73, v1, vcc_lo
	v_mov_b32_e32 v1, 0
	global_store_b64 v[4:5], v[2:3], off
.LBB9_242:                              ;   in Loop: Header=BB9_12 Depth=1
	s_wait_alu 0xfffe
	s_or_b32 exec_lo, exec_lo, s34
	s_mov_b32 s5, -1
	s_mov_b32 s34, exec_lo
	v_cmpx_gt_i32_e32 0x47, v1
; %bb.243:                              ;   in Loop: Header=BB9_12 Depth=1
	v_cmp_eq_u32_e32 vcc_lo, 0, v1
	s_or_not1_b32 s5, vcc_lo, exec_lo
; %bb.244:                              ;   in Loop: Header=BB9_12 Depth=1
	s_wait_alu 0xfffe
	s_or_b32 exec_lo, exec_lo, s34
	s_delay_alu instid0(SALU_CYCLE_1)
	s_and_b32 exec_lo, exec_lo, s5
	s_cbranch_execz .LBB9_302
; %bb.245:                              ;   in Loop: Header=BB9_12 Depth=1
	v_dual_mov_b32 v1, 0x47 :: v_dual_add_nc_u32 v0, s67, v126
	s_delay_alu instid0(VALU_DEP_1)
	v_cmp_gt_i32_e32 vcc_lo, s24, v0
	s_and_b32 s5, vcc_lo, s4
	s_wait_alu 0xfffe
	s_and_saveexec_b32 s34, s5
	s_cbranch_execz .LBB9_247
; %bb.246:                              ;   in Loop: Header=BB9_12 Depth=1
	v_add_nc_u32_e32 v1, v96, v127
	v_add_nc_u32_e32 v5, 0, v127
	ds_load_2addr_stride64_b32 v[1:2], v1 offset1:11
	ds_load_2addr_b32 v[3:4], v5 offset0:40 offset1:41
	ds_load_b32 v5, v5 offset:2976
	s_wait_dscnt 0x1
	v_fma_mix_f32 v6, v3, v1, 0 op_sel_hi:[0,1,0]
	v_fma_mix_f32 v1, v3, v1, 0 op_sel:[0,1,0] op_sel_hi:[0,1,0]
	s_wait_dscnt 0x0
	s_delay_alu instid0(VALU_DEP_2) | instskip(NEXT) | instid1(VALU_DEP_2)
	v_fma_mix_f32 v3, v5, v2, v6 op_sel_hi:[0,1,0]
	v_fma_mix_f32 v5, v5, v2, v1 op_sel:[0,1,0] op_sel_hi:[0,1,0]
	s_delay_alu instid0(VALU_DEP_2) | instskip(NEXT) | instid1(VALU_DEP_2)
	v_div_scale_f32 v2, null, v4, v4, v3
	v_div_scale_f32 v6, null, v4, v4, v5
	v_div_scale_f32 v11, s5, v5, v4, v5
	s_delay_alu instid0(VALU_DEP_3) | instskip(NEXT) | instid1(VALU_DEP_2)
	v_rcp_f32_e32 v7, v2
	v_rcp_f32_e32 v8, v6
	v_div_scale_f32 v10, vcc_lo, v3, v4, v3
	s_delay_alu instid0(TRANS32_DEP_2) | instskip(NEXT) | instid1(TRANS32_DEP_1)
	v_fma_f32 v1, -v2, v7, 1.0
	v_fma_f32 v9, -v6, v8, 1.0
	s_delay_alu instid0(VALU_DEP_1) | instskip(NEXT) | instid1(VALU_DEP_1)
	v_fmac_f32_e32 v8, v9, v8
	v_mul_f32_e32 v12, v11, v8
	s_delay_alu instid0(VALU_DEP_1) | instskip(SKIP_2) | instid1(VALU_DEP_3)
	v_fma_f32 v14, -v6, v12, v11
	v_fmac_f32_e32 v7, v1, v7
	v_mad_co_u64_u32 v[0:1], null, v0, s25, v[74:75]
	v_fmac_f32_e32 v12, v14, v8
	s_delay_alu instid0(VALU_DEP_3) | instskip(NEXT) | instid1(VALU_DEP_3)
	v_mul_f32_e32 v9, v10, v7
	v_mad_co_u64_u32 v[0:1], null, v0, 40, v[52:53]
	s_delay_alu instid0(VALU_DEP_2) | instskip(NEXT) | instid1(VALU_DEP_4)
	v_fma_f32 v13, -v2, v9, v10
	v_fma_f32 v6, -v6, v12, v11
	s_delay_alu instid0(VALU_DEP_2) | instskip(NEXT) | instid1(VALU_DEP_4)
	v_fmac_f32_e32 v9, v13, v7
	v_ashrrev_i32_e32 v1, 31, v0
	s_delay_alu instid0(VALU_DEP_2) | instskip(NEXT) | instid1(VALU_DEP_2)
	v_fma_f32 v2, -v2, v9, v10
	v_lshlrev_b64_e32 v[0:1], 3, v[0:1]
	s_wait_alu 0xfffd
	s_delay_alu instid0(VALU_DEP_2) | instskip(SKIP_3) | instid1(VALU_DEP_2)
	v_div_fmas_f32 v2, v2, v7, v9
	s_mov_b32 vcc_lo, s5
	s_wait_alu 0xfffe
	v_div_fmas_f32 v6, v6, v8, v12
	v_div_fixup_f32 v2, v2, v4, v3
	s_delay_alu instid0(VALU_DEP_2)
	v_div_fixup_f32 v3, v6, v4, v5
	v_add_co_u32 v4, vcc_lo, s72, v0
	s_wait_alu 0xfffd
	v_add_co_ci_u32_e64 v5, null, s73, v1, vcc_lo
	v_mov_b32_e32 v1, 0
	global_store_b64 v[4:5], v[2:3], off
.LBB9_247:                              ;   in Loop: Header=BB9_12 Depth=1
	s_wait_alu 0xfffe
	s_or_b32 exec_lo, exec_lo, s34
	s_mov_b32 s5, -1
	s_mov_b32 s34, exec_lo
	v_cmpx_gt_i32_e32 0x47, v1
; %bb.248:                              ;   in Loop: Header=BB9_12 Depth=1
	v_cmp_eq_u32_e32 vcc_lo, 0, v1
	s_or_not1_b32 s5, vcc_lo, exec_lo
; %bb.249:                              ;   in Loop: Header=BB9_12 Depth=1
	s_wait_alu 0xfffe
	s_or_b32 exec_lo, exec_lo, s34
	s_delay_alu instid0(SALU_CYCLE_1)
	s_and_b32 exec_lo, exec_lo, s5
	s_cbranch_execz .LBB9_302
; %bb.250:                              ;   in Loop: Header=BB9_12 Depth=1
	v_add_nc_u32_e32 v0, s67, v176
	v_or_b32_e32 v1, s41, v67
	s_delay_alu instid0(VALU_DEP_1) | instskip(SKIP_1) | instid1(VALU_DEP_4)
	v_cmp_gt_i32_e64 s5, s33, v1
	v_mov_b32_e32 v1, 0x47
	v_cmp_gt_i32_e32 vcc_lo, s24, v0
	s_and_b32 s5, vcc_lo, s5
	s_wait_alu 0xfffe
	s_and_saveexec_b32 s34, s5
	s_cbranch_execz .LBB9_252
; %bb.251:                              ;   in Loop: Header=BB9_12 Depth=1
	v_add_nc_u32_e32 v1, v96, v128
	v_add_nc_u32_e32 v5, 0, v128
	ds_load_2addr_stride64_b32 v[1:2], v1 offset1:11
	ds_load_2addr_b32 v[3:4], v5 offset0:40 offset1:41
	ds_load_b32 v5, v5 offset:2976
	s_wait_dscnt 0x1
	v_fma_mix_f32 v6, v3, v1, 0 op_sel_hi:[0,1,0]
	v_fma_mix_f32 v1, v3, v1, 0 op_sel:[0,1,0] op_sel_hi:[0,1,0]
	s_wait_dscnt 0x0
	s_delay_alu instid0(VALU_DEP_2) | instskip(NEXT) | instid1(VALU_DEP_2)
	v_fma_mix_f32 v3, v5, v2, v6 op_sel_hi:[0,1,0]
	v_fma_mix_f32 v5, v5, v2, v1 op_sel:[0,1,0] op_sel_hi:[0,1,0]
	s_delay_alu instid0(VALU_DEP_2) | instskip(NEXT) | instid1(VALU_DEP_2)
	v_div_scale_f32 v2, null, v4, v4, v3
	v_div_scale_f32 v6, null, v4, v4, v5
	v_div_scale_f32 v10, vcc_lo, v3, v4, v3
	s_delay_alu instid0(VALU_DEP_3) | instskip(NEXT) | instid1(VALU_DEP_2)
	v_rcp_f32_e32 v7, v2
	v_rcp_f32_e32 v8, v6
	v_div_scale_f32 v11, s5, v5, v4, v5
	s_delay_alu instid0(TRANS32_DEP_2) | instskip(NEXT) | instid1(TRANS32_DEP_1)
	v_fma_f32 v1, -v2, v7, 1.0
	v_fma_f32 v9, -v6, v8, 1.0
	s_delay_alu instid0(VALU_DEP_1) | instskip(NEXT) | instid1(VALU_DEP_3)
	v_fmac_f32_e32 v8, v9, v8
	v_fmac_f32_e32 v7, v1, v7
	v_mad_co_u64_u32 v[0:1], null, v0, s25, v[67:68]
	s_delay_alu instid0(VALU_DEP_2) | instskip(NEXT) | instid1(VALU_DEP_2)
	v_dual_mul_f32 v12, v11, v8 :: v_dual_mul_f32 v9, v10, v7
	v_mad_co_u64_u32 v[0:1], null, v0, 40, v[52:53]
	s_delay_alu instid0(VALU_DEP_2) | instskip(NEXT) | instid1(VALU_DEP_3)
	v_fma_f32 v13, -v2, v9, v10
	v_fma_f32 v14, -v6, v12, v11
	s_delay_alu instid0(VALU_DEP_1) | instskip(NEXT) | instid1(VALU_DEP_4)
	v_dual_fmac_f32 v9, v13, v7 :: v_dual_fmac_f32 v12, v14, v8
	v_ashrrev_i32_e32 v1, 31, v0
	s_delay_alu instid0(VALU_DEP_2) | instskip(NEXT) | instid1(VALU_DEP_3)
	v_fma_f32 v2, -v2, v9, v10
	v_fma_f32 v6, -v6, v12, v11
	s_delay_alu instid0(VALU_DEP_3) | instskip(SKIP_1) | instid1(VALU_DEP_3)
	v_lshlrev_b64_e32 v[0:1], 3, v[0:1]
	s_wait_alu 0xfffd
	v_div_fmas_f32 v2, v2, v7, v9
	s_mov_b32 vcc_lo, s5
	s_wait_alu 0xfffe
	v_div_fmas_f32 v6, v6, v8, v12
	s_delay_alu instid0(VALU_DEP_2) | instskip(NEXT) | instid1(VALU_DEP_2)
	v_div_fixup_f32 v2, v2, v4, v3
	v_div_fixup_f32 v3, v6, v4, v5
	v_add_co_u32 v4, vcc_lo, s72, v0
	s_wait_alu 0xfffd
	v_add_co_ci_u32_e64 v5, null, s73, v1, vcc_lo
	v_mov_b32_e32 v1, 0
	global_store_b64 v[4:5], v[2:3], off
.LBB9_252:                              ;   in Loop: Header=BB9_12 Depth=1
	s_wait_alu 0xfffe
	s_or_b32 exec_lo, exec_lo, s34
	s_mov_b32 s5, -1
	s_mov_b32 s34, exec_lo
	v_cmpx_gt_i32_e32 0x47, v1
; %bb.253:                              ;   in Loop: Header=BB9_12 Depth=1
	v_cmp_eq_u32_e32 vcc_lo, 0, v1
	s_or_not1_b32 s5, vcc_lo, exec_lo
; %bb.254:                              ;   in Loop: Header=BB9_12 Depth=1
	s_wait_alu 0xfffe
	s_or_b32 exec_lo, exec_lo, s34
	s_delay_alu instid0(SALU_CYCLE_1)
	s_and_b32 exec_lo, exec_lo, s5
	s_cbranch_execz .LBB9_302
; %bb.255:                              ;   in Loop: Header=BB9_12 Depth=1
	v_dual_mov_b32 v1, 0x47 :: v_dual_add_nc_u32 v0, s67, v129
	s_delay_alu instid0(VALU_DEP_1)
	v_cmp_gt_i32_e32 vcc_lo, s24, v0
	s_and_b32 s5, vcc_lo, s4
	s_wait_alu 0xfffe
	s_and_saveexec_b32 s34, s5
	s_cbranch_execz .LBB9_257
; %bb.256:                              ;   in Loop: Header=BB9_12 Depth=1
	v_add_nc_u32_e32 v1, v96, v130
	v_add_nc_u32_e32 v5, 0, v130
	ds_load_2addr_stride64_b32 v[1:2], v1 offset1:11
	ds_load_2addr_b32 v[3:4], v5 offset0:40 offset1:41
	ds_load_b32 v5, v5 offset:2976
	s_wait_dscnt 0x1
	v_fma_mix_f32 v6, v3, v1, 0 op_sel_hi:[0,1,0]
	v_fma_mix_f32 v1, v3, v1, 0 op_sel:[0,1,0] op_sel_hi:[0,1,0]
	s_wait_dscnt 0x0
	s_delay_alu instid0(VALU_DEP_2) | instskip(NEXT) | instid1(VALU_DEP_2)
	v_fma_mix_f32 v3, v5, v2, v6 op_sel_hi:[0,1,0]
	v_fma_mix_f32 v5, v5, v2, v1 op_sel:[0,1,0] op_sel_hi:[0,1,0]
	s_delay_alu instid0(VALU_DEP_2) | instskip(NEXT) | instid1(VALU_DEP_2)
	v_div_scale_f32 v2, null, v4, v4, v3
	v_div_scale_f32 v6, null, v4, v4, v5
	v_div_scale_f32 v11, s5, v5, v4, v5
	s_delay_alu instid0(VALU_DEP_3) | instskip(NEXT) | instid1(VALU_DEP_2)
	v_rcp_f32_e32 v7, v2
	v_rcp_f32_e32 v8, v6
	v_div_scale_f32 v10, vcc_lo, v3, v4, v3
	s_delay_alu instid0(TRANS32_DEP_2) | instskip(NEXT) | instid1(TRANS32_DEP_1)
	v_fma_f32 v1, -v2, v7, 1.0
	v_fma_f32 v9, -v6, v8, 1.0
	s_delay_alu instid0(VALU_DEP_1) | instskip(NEXT) | instid1(VALU_DEP_1)
	v_fmac_f32_e32 v8, v9, v8
	v_mul_f32_e32 v12, v11, v8
	s_delay_alu instid0(VALU_DEP_1) | instskip(SKIP_2) | instid1(VALU_DEP_3)
	v_fma_f32 v14, -v6, v12, v11
	v_fmac_f32_e32 v7, v1, v7
	v_mad_co_u64_u32 v[0:1], null, v0, s25, v[74:75]
	v_fmac_f32_e32 v12, v14, v8
	s_delay_alu instid0(VALU_DEP_3) | instskip(NEXT) | instid1(VALU_DEP_3)
	v_mul_f32_e32 v9, v10, v7
	v_mad_co_u64_u32 v[0:1], null, v0, 40, v[52:53]
	s_delay_alu instid0(VALU_DEP_2) | instskip(NEXT) | instid1(VALU_DEP_4)
	v_fma_f32 v13, -v2, v9, v10
	v_fma_f32 v6, -v6, v12, v11
	s_delay_alu instid0(VALU_DEP_2) | instskip(NEXT) | instid1(VALU_DEP_4)
	v_fmac_f32_e32 v9, v13, v7
	v_ashrrev_i32_e32 v1, 31, v0
	s_delay_alu instid0(VALU_DEP_2) | instskip(NEXT) | instid1(VALU_DEP_2)
	v_fma_f32 v2, -v2, v9, v10
	v_lshlrev_b64_e32 v[0:1], 3, v[0:1]
	s_wait_alu 0xfffd
	s_delay_alu instid0(VALU_DEP_2) | instskip(SKIP_3) | instid1(VALU_DEP_2)
	v_div_fmas_f32 v2, v2, v7, v9
	s_mov_b32 vcc_lo, s5
	s_wait_alu 0xfffe
	v_div_fmas_f32 v6, v6, v8, v12
	v_div_fixup_f32 v2, v2, v4, v3
	s_delay_alu instid0(VALU_DEP_2)
	v_div_fixup_f32 v3, v6, v4, v5
	v_add_co_u32 v4, vcc_lo, s72, v0
	s_wait_alu 0xfffd
	v_add_co_ci_u32_e64 v5, null, s73, v1, vcc_lo
	v_mov_b32_e32 v1, 0
	global_store_b64 v[4:5], v[2:3], off
.LBB9_257:                              ;   in Loop: Header=BB9_12 Depth=1
	s_wait_alu 0xfffe
	s_or_b32 exec_lo, exec_lo, s34
	s_mov_b32 s5, -1
	s_mov_b32 s34, exec_lo
	v_cmpx_gt_i32_e32 0x47, v1
; %bb.258:                              ;   in Loop: Header=BB9_12 Depth=1
	v_cmp_eq_u32_e32 vcc_lo, 0, v1
	s_or_not1_b32 s5, vcc_lo, exec_lo
; %bb.259:                              ;   in Loop: Header=BB9_12 Depth=1
	s_wait_alu 0xfffe
	s_or_b32 exec_lo, exec_lo, s34
	s_delay_alu instid0(SALU_CYCLE_1)
	s_and_b32 exec_lo, exec_lo, s5
	s_cbranch_execz .LBB9_302
; %bb.260:                              ;   in Loop: Header=BB9_12 Depth=1
	v_add_nc_u32_e32 v0, s67, v177
	v_or_b32_e32 v1, s41, v68
	s_delay_alu instid0(VALU_DEP_1) | instskip(SKIP_1) | instid1(VALU_DEP_4)
	v_cmp_gt_i32_e64 s5, s33, v1
	v_mov_b32_e32 v1, 0x47
	v_cmp_gt_i32_e32 vcc_lo, s24, v0
	s_and_b32 s5, vcc_lo, s5
	s_wait_alu 0xfffe
	s_and_saveexec_b32 s34, s5
	s_cbranch_execz .LBB9_262
; %bb.261:                              ;   in Loop: Header=BB9_12 Depth=1
	v_add_nc_u32_e32 v1, v96, v131
	v_add_nc_u32_e32 v5, 0, v131
	ds_load_2addr_stride64_b32 v[1:2], v1 offset1:11
	ds_load_2addr_b32 v[3:4], v5 offset0:40 offset1:41
	ds_load_b32 v5, v5 offset:2976
	s_wait_dscnt 0x1
	v_fma_mix_f32 v6, v3, v1, 0 op_sel_hi:[0,1,0]
	v_fma_mix_f32 v1, v3, v1, 0 op_sel:[0,1,0] op_sel_hi:[0,1,0]
	s_wait_dscnt 0x0
	s_delay_alu instid0(VALU_DEP_2) | instskip(NEXT) | instid1(VALU_DEP_2)
	v_fma_mix_f32 v3, v5, v2, v6 op_sel_hi:[0,1,0]
	v_fma_mix_f32 v5, v5, v2, v1 op_sel:[0,1,0] op_sel_hi:[0,1,0]
	s_delay_alu instid0(VALU_DEP_2) | instskip(NEXT) | instid1(VALU_DEP_2)
	v_div_scale_f32 v2, null, v4, v4, v3
	v_div_scale_f32 v6, null, v4, v4, v5
	v_div_scale_f32 v11, s5, v5, v4, v5
	s_delay_alu instid0(VALU_DEP_3) | instskip(NEXT) | instid1(VALU_DEP_2)
	v_rcp_f32_e32 v7, v2
	v_rcp_f32_e32 v8, v6
	v_div_scale_f32 v10, vcc_lo, v3, v4, v3
	s_delay_alu instid0(TRANS32_DEP_2) | instskip(NEXT) | instid1(TRANS32_DEP_1)
	v_fma_f32 v1, -v2, v7, 1.0
	v_fma_f32 v9, -v6, v8, 1.0
	s_delay_alu instid0(VALU_DEP_1) | instskip(NEXT) | instid1(VALU_DEP_1)
	v_fmac_f32_e32 v8, v9, v8
	v_mul_f32_e32 v12, v11, v8
	s_delay_alu instid0(VALU_DEP_1) | instskip(SKIP_2) | instid1(VALU_DEP_3)
	v_fma_f32 v14, -v6, v12, v11
	v_fmac_f32_e32 v7, v1, v7
	v_mad_co_u64_u32 v[0:1], null, v0, s25, v[68:69]
	v_fmac_f32_e32 v12, v14, v8
	s_delay_alu instid0(VALU_DEP_3) | instskip(NEXT) | instid1(VALU_DEP_3)
	v_mul_f32_e32 v9, v10, v7
	v_mad_co_u64_u32 v[0:1], null, v0, 40, v[52:53]
	s_delay_alu instid0(VALU_DEP_2) | instskip(NEXT) | instid1(VALU_DEP_4)
	v_fma_f32 v13, -v2, v9, v10
	v_fma_f32 v6, -v6, v12, v11
	s_delay_alu instid0(VALU_DEP_2) | instskip(NEXT) | instid1(VALU_DEP_4)
	v_fmac_f32_e32 v9, v13, v7
	v_ashrrev_i32_e32 v1, 31, v0
	s_delay_alu instid0(VALU_DEP_2) | instskip(NEXT) | instid1(VALU_DEP_2)
	v_fma_f32 v2, -v2, v9, v10
	v_lshlrev_b64_e32 v[0:1], 3, v[0:1]
	s_wait_alu 0xfffd
	s_delay_alu instid0(VALU_DEP_2) | instskip(SKIP_3) | instid1(VALU_DEP_2)
	v_div_fmas_f32 v2, v2, v7, v9
	s_mov_b32 vcc_lo, s5
	s_wait_alu 0xfffe
	v_div_fmas_f32 v6, v6, v8, v12
	v_div_fixup_f32 v2, v2, v4, v3
	s_delay_alu instid0(VALU_DEP_2)
	v_div_fixup_f32 v3, v6, v4, v5
	v_add_co_u32 v4, vcc_lo, s72, v0
	s_wait_alu 0xfffd
	v_add_co_ci_u32_e64 v5, null, s73, v1, vcc_lo
	v_mov_b32_e32 v1, 0
	global_store_b64 v[4:5], v[2:3], off
.LBB9_262:                              ;   in Loop: Header=BB9_12 Depth=1
	s_wait_alu 0xfffe
	s_or_b32 exec_lo, exec_lo, s34
	s_mov_b32 s5, -1
	s_mov_b32 s34, exec_lo
	v_cmpx_gt_i32_e32 0x47, v1
; %bb.263:                              ;   in Loop: Header=BB9_12 Depth=1
	v_cmp_eq_u32_e32 vcc_lo, 0, v1
	s_or_not1_b32 s5, vcc_lo, exec_lo
; %bb.264:                              ;   in Loop: Header=BB9_12 Depth=1
	s_wait_alu 0xfffe
	s_or_b32 exec_lo, exec_lo, s34
	s_delay_alu instid0(SALU_CYCLE_1)
	s_and_b32 exec_lo, exec_lo, s5
	s_cbranch_execz .LBB9_302
; %bb.265:                              ;   in Loop: Header=BB9_12 Depth=1
	v_dual_mov_b32 v1, 0x47 :: v_dual_add_nc_u32 v0, s67, v132
	s_delay_alu instid0(VALU_DEP_1)
	v_cmp_gt_i32_e32 vcc_lo, s24, v0
	s_and_b32 s5, vcc_lo, s4
	s_wait_alu 0xfffe
	s_and_saveexec_b32 s34, s5
	s_cbranch_execz .LBB9_267
; %bb.266:                              ;   in Loop: Header=BB9_12 Depth=1
	v_add_nc_u32_e32 v1, v96, v133
	v_add_nc_u32_e32 v5, 0, v133
	ds_load_2addr_stride64_b32 v[1:2], v1 offset1:11
	ds_load_2addr_b32 v[3:4], v5 offset0:40 offset1:41
	ds_load_b32 v5, v5 offset:2976
	s_wait_dscnt 0x1
	v_fma_mix_f32 v6, v3, v1, 0 op_sel_hi:[0,1,0]
	v_fma_mix_f32 v1, v3, v1, 0 op_sel:[0,1,0] op_sel_hi:[0,1,0]
	s_wait_dscnt 0x0
	s_delay_alu instid0(VALU_DEP_2) | instskip(NEXT) | instid1(VALU_DEP_2)
	v_fma_mix_f32 v3, v5, v2, v6 op_sel_hi:[0,1,0]
	v_fma_mix_f32 v5, v5, v2, v1 op_sel:[0,1,0] op_sel_hi:[0,1,0]
	s_delay_alu instid0(VALU_DEP_2) | instskip(NEXT) | instid1(VALU_DEP_2)
	v_div_scale_f32 v2, null, v4, v4, v3
	v_div_scale_f32 v6, null, v4, v4, v5
	v_div_scale_f32 v11, s5, v5, v4, v5
	s_delay_alu instid0(VALU_DEP_3) | instskip(NEXT) | instid1(VALU_DEP_2)
	v_rcp_f32_e32 v7, v2
	v_rcp_f32_e32 v8, v6
	v_div_scale_f32 v10, vcc_lo, v3, v4, v3
	s_delay_alu instid0(TRANS32_DEP_2) | instskip(NEXT) | instid1(TRANS32_DEP_1)
	v_fma_f32 v1, -v2, v7, 1.0
	v_fma_f32 v9, -v6, v8, 1.0
	s_delay_alu instid0(VALU_DEP_1) | instskip(NEXT) | instid1(VALU_DEP_1)
	v_fmac_f32_e32 v8, v9, v8
	v_mul_f32_e32 v12, v11, v8
	s_delay_alu instid0(VALU_DEP_1) | instskip(SKIP_2) | instid1(VALU_DEP_3)
	v_fma_f32 v14, -v6, v12, v11
	v_fmac_f32_e32 v7, v1, v7
	v_mad_co_u64_u32 v[0:1], null, v0, s25, v[74:75]
	v_fmac_f32_e32 v12, v14, v8
	s_delay_alu instid0(VALU_DEP_3) | instskip(NEXT) | instid1(VALU_DEP_3)
	v_mul_f32_e32 v9, v10, v7
	v_mad_co_u64_u32 v[0:1], null, v0, 40, v[52:53]
	s_delay_alu instid0(VALU_DEP_2) | instskip(NEXT) | instid1(VALU_DEP_4)
	v_fma_f32 v13, -v2, v9, v10
	v_fma_f32 v6, -v6, v12, v11
	s_delay_alu instid0(VALU_DEP_2) | instskip(NEXT) | instid1(VALU_DEP_4)
	v_fmac_f32_e32 v9, v13, v7
	v_ashrrev_i32_e32 v1, 31, v0
	s_delay_alu instid0(VALU_DEP_2) | instskip(NEXT) | instid1(VALU_DEP_2)
	v_fma_f32 v2, -v2, v9, v10
	v_lshlrev_b64_e32 v[0:1], 3, v[0:1]
	s_wait_alu 0xfffd
	s_delay_alu instid0(VALU_DEP_2) | instskip(SKIP_3) | instid1(VALU_DEP_2)
	v_div_fmas_f32 v2, v2, v7, v9
	s_mov_b32 vcc_lo, s5
	s_wait_alu 0xfffe
	v_div_fmas_f32 v6, v6, v8, v12
	v_div_fixup_f32 v2, v2, v4, v3
	s_delay_alu instid0(VALU_DEP_2)
	v_div_fixup_f32 v3, v6, v4, v5
	v_add_co_u32 v4, vcc_lo, s72, v0
	s_wait_alu 0xfffd
	v_add_co_ci_u32_e64 v5, null, s73, v1, vcc_lo
	v_mov_b32_e32 v1, 0
	global_store_b64 v[4:5], v[2:3], off
.LBB9_267:                              ;   in Loop: Header=BB9_12 Depth=1
	s_wait_alu 0xfffe
	s_or_b32 exec_lo, exec_lo, s34
	s_mov_b32 s5, -1
	s_mov_b32 s34, exec_lo
	v_cmpx_gt_i32_e32 0x47, v1
; %bb.268:                              ;   in Loop: Header=BB9_12 Depth=1
	v_cmp_eq_u32_e32 vcc_lo, 0, v1
	s_or_not1_b32 s5, vcc_lo, exec_lo
; %bb.269:                              ;   in Loop: Header=BB9_12 Depth=1
	s_wait_alu 0xfffe
	s_or_b32 exec_lo, exec_lo, s34
	s_delay_alu instid0(SALU_CYCLE_1)
	s_and_b32 exec_lo, exec_lo, s5
	s_cbranch_execz .LBB9_302
; %bb.270:                              ;   in Loop: Header=BB9_12 Depth=1
	v_add_nc_u32_e32 v0, s67, v178
	v_or_b32_e32 v1, s41, v69
	s_delay_alu instid0(VALU_DEP_1) | instskip(SKIP_1) | instid1(VALU_DEP_4)
	v_cmp_gt_i32_e64 s5, s33, v1
	v_mov_b32_e32 v1, 0x47
	v_cmp_gt_i32_e32 vcc_lo, s24, v0
	s_and_b32 s5, vcc_lo, s5
	s_wait_alu 0xfffe
	s_and_saveexec_b32 s34, s5
	s_cbranch_execz .LBB9_272
; %bb.271:                              ;   in Loop: Header=BB9_12 Depth=1
	v_add_nc_u32_e32 v1, v96, v134
	v_add_nc_u32_e32 v5, 0, v134
	ds_load_2addr_stride64_b32 v[1:2], v1 offset1:11
	ds_load_2addr_b32 v[3:4], v5 offset0:40 offset1:41
	ds_load_b32 v5, v5 offset:2976
	s_wait_dscnt 0x1
	v_fma_mix_f32 v6, v3, v1, 0 op_sel_hi:[0,1,0]
	v_fma_mix_f32 v1, v3, v1, 0 op_sel:[0,1,0] op_sel_hi:[0,1,0]
	s_wait_dscnt 0x0
	s_delay_alu instid0(VALU_DEP_2) | instskip(NEXT) | instid1(VALU_DEP_2)
	v_fma_mix_f32 v3, v5, v2, v6 op_sel_hi:[0,1,0]
	v_fma_mix_f32 v5, v5, v2, v1 op_sel:[0,1,0] op_sel_hi:[0,1,0]
	s_delay_alu instid0(VALU_DEP_2) | instskip(NEXT) | instid1(VALU_DEP_2)
	v_div_scale_f32 v2, null, v4, v4, v3
	v_div_scale_f32 v6, null, v4, v4, v5
	v_div_scale_f32 v11, s5, v5, v4, v5
	s_delay_alu instid0(VALU_DEP_3) | instskip(NEXT) | instid1(VALU_DEP_2)
	v_rcp_f32_e32 v7, v2
	v_rcp_f32_e32 v8, v6
	v_div_scale_f32 v10, vcc_lo, v3, v4, v3
	s_delay_alu instid0(TRANS32_DEP_2) | instskip(NEXT) | instid1(TRANS32_DEP_1)
	v_fma_f32 v1, -v2, v7, 1.0
	v_fma_f32 v9, -v6, v8, 1.0
	s_delay_alu instid0(VALU_DEP_1) | instskip(NEXT) | instid1(VALU_DEP_1)
	v_fmac_f32_e32 v8, v9, v8
	v_mul_f32_e32 v12, v11, v8
	s_delay_alu instid0(VALU_DEP_1) | instskip(SKIP_2) | instid1(VALU_DEP_3)
	v_fma_f32 v14, -v6, v12, v11
	v_fmac_f32_e32 v7, v1, v7
	v_mad_co_u64_u32 v[0:1], null, v0, s25, v[69:70]
	v_fmac_f32_e32 v12, v14, v8
	s_delay_alu instid0(VALU_DEP_3) | instskip(NEXT) | instid1(VALU_DEP_3)
	v_mul_f32_e32 v9, v10, v7
	v_mad_co_u64_u32 v[0:1], null, v0, 40, v[52:53]
	s_delay_alu instid0(VALU_DEP_2) | instskip(NEXT) | instid1(VALU_DEP_4)
	v_fma_f32 v13, -v2, v9, v10
	v_fma_f32 v6, -v6, v12, v11
	s_delay_alu instid0(VALU_DEP_2) | instskip(NEXT) | instid1(VALU_DEP_4)
	v_fmac_f32_e32 v9, v13, v7
	v_ashrrev_i32_e32 v1, 31, v0
	s_delay_alu instid0(VALU_DEP_2) | instskip(NEXT) | instid1(VALU_DEP_2)
	v_fma_f32 v2, -v2, v9, v10
	v_lshlrev_b64_e32 v[0:1], 3, v[0:1]
	s_wait_alu 0xfffd
	s_delay_alu instid0(VALU_DEP_2) | instskip(SKIP_3) | instid1(VALU_DEP_2)
	v_div_fmas_f32 v2, v2, v7, v9
	s_mov_b32 vcc_lo, s5
	s_wait_alu 0xfffe
	v_div_fmas_f32 v6, v6, v8, v12
	v_div_fixup_f32 v2, v2, v4, v3
	s_delay_alu instid0(VALU_DEP_2)
	v_div_fixup_f32 v3, v6, v4, v5
	v_add_co_u32 v4, vcc_lo, s72, v0
	s_wait_alu 0xfffd
	v_add_co_ci_u32_e64 v5, null, s73, v1, vcc_lo
	v_mov_b32_e32 v1, 0
	global_store_b64 v[4:5], v[2:3], off
.LBB9_272:                              ;   in Loop: Header=BB9_12 Depth=1
	s_wait_alu 0xfffe
	s_or_b32 exec_lo, exec_lo, s34
	s_mov_b32 s5, -1
	s_mov_b32 s34, exec_lo
	v_cmpx_gt_i32_e32 0x47, v1
; %bb.273:                              ;   in Loop: Header=BB9_12 Depth=1
	v_cmp_eq_u32_e32 vcc_lo, 0, v1
	s_or_not1_b32 s5, vcc_lo, exec_lo
; %bb.274:                              ;   in Loop: Header=BB9_12 Depth=1
	s_wait_alu 0xfffe
	s_or_b32 exec_lo, exec_lo, s34
	s_delay_alu instid0(SALU_CYCLE_1)
	s_and_b32 exec_lo, exec_lo, s5
	s_cbranch_execz .LBB9_302
; %bb.275:                              ;   in Loop: Header=BB9_12 Depth=1
	v_dual_mov_b32 v1, 0x47 :: v_dual_add_nc_u32 v0, s67, v135
	s_delay_alu instid0(VALU_DEP_1)
	v_cmp_gt_i32_e32 vcc_lo, s24, v0
	s_and_b32 s5, vcc_lo, s4
	s_wait_alu 0xfffe
	s_and_saveexec_b32 s34, s5
	s_cbranch_execz .LBB9_277
; %bb.276:                              ;   in Loop: Header=BB9_12 Depth=1
	v_add_nc_u32_e32 v1, v96, v136
	v_add_nc_u32_e32 v5, 0, v136
	ds_load_2addr_stride64_b32 v[1:2], v1 offset1:11
	ds_load_2addr_b32 v[3:4], v5 offset0:40 offset1:41
	ds_load_b32 v5, v5 offset:2976
	s_wait_dscnt 0x1
	v_fma_mix_f32 v6, v3, v1, 0 op_sel_hi:[0,1,0]
	v_fma_mix_f32 v1, v3, v1, 0 op_sel:[0,1,0] op_sel_hi:[0,1,0]
	s_wait_dscnt 0x0
	s_delay_alu instid0(VALU_DEP_2) | instskip(NEXT) | instid1(VALU_DEP_2)
	v_fma_mix_f32 v3, v5, v2, v6 op_sel_hi:[0,1,0]
	v_fma_mix_f32 v5, v5, v2, v1 op_sel:[0,1,0] op_sel_hi:[0,1,0]
	s_delay_alu instid0(VALU_DEP_2) | instskip(NEXT) | instid1(VALU_DEP_2)
	v_div_scale_f32 v2, null, v4, v4, v3
	v_div_scale_f32 v6, null, v4, v4, v5
	v_div_scale_f32 v10, vcc_lo, v3, v4, v3
	s_delay_alu instid0(VALU_DEP_3) | instskip(NEXT) | instid1(VALU_DEP_2)
	v_rcp_f32_e32 v7, v2
	v_rcp_f32_e32 v8, v6
	v_div_scale_f32 v11, s5, v5, v4, v5
	s_delay_alu instid0(TRANS32_DEP_2) | instskip(NEXT) | instid1(TRANS32_DEP_1)
	v_fma_f32 v1, -v2, v7, 1.0
	v_fma_f32 v9, -v6, v8, 1.0
	s_delay_alu instid0(VALU_DEP_1) | instskip(NEXT) | instid1(VALU_DEP_3)
	v_fmac_f32_e32 v8, v9, v8
	v_fmac_f32_e32 v7, v1, v7
	v_mad_co_u64_u32 v[0:1], null, v0, s25, v[74:75]
	s_delay_alu instid0(VALU_DEP_2) | instskip(NEXT) | instid1(VALU_DEP_2)
	v_dual_mul_f32 v12, v11, v8 :: v_dual_mul_f32 v9, v10, v7
	v_mad_co_u64_u32 v[0:1], null, v0, 40, v[52:53]
	s_delay_alu instid0(VALU_DEP_2) | instskip(NEXT) | instid1(VALU_DEP_3)
	v_fma_f32 v13, -v2, v9, v10
	v_fma_f32 v14, -v6, v12, v11
	s_delay_alu instid0(VALU_DEP_1) | instskip(NEXT) | instid1(VALU_DEP_4)
	v_dual_fmac_f32 v9, v13, v7 :: v_dual_fmac_f32 v12, v14, v8
	v_ashrrev_i32_e32 v1, 31, v0
	s_delay_alu instid0(VALU_DEP_2) | instskip(NEXT) | instid1(VALU_DEP_3)
	v_fma_f32 v2, -v2, v9, v10
	v_fma_f32 v6, -v6, v12, v11
	s_delay_alu instid0(VALU_DEP_3) | instskip(SKIP_1) | instid1(VALU_DEP_3)
	v_lshlrev_b64_e32 v[0:1], 3, v[0:1]
	s_wait_alu 0xfffd
	v_div_fmas_f32 v2, v2, v7, v9
	s_mov_b32 vcc_lo, s5
	s_wait_alu 0xfffe
	v_div_fmas_f32 v6, v6, v8, v12
	s_delay_alu instid0(VALU_DEP_2) | instskip(NEXT) | instid1(VALU_DEP_2)
	v_div_fixup_f32 v2, v2, v4, v3
	v_div_fixup_f32 v3, v6, v4, v5
	v_add_co_u32 v4, vcc_lo, s72, v0
	s_wait_alu 0xfffd
	v_add_co_ci_u32_e64 v5, null, s73, v1, vcc_lo
	v_mov_b32_e32 v1, 0
	global_store_b64 v[4:5], v[2:3], off
.LBB9_277:                              ;   in Loop: Header=BB9_12 Depth=1
	s_wait_alu 0xfffe
	s_or_b32 exec_lo, exec_lo, s34
	s_mov_b32 s5, -1
	s_mov_b32 s34, exec_lo
	v_cmpx_gt_i32_e32 0x47, v1
; %bb.278:                              ;   in Loop: Header=BB9_12 Depth=1
	v_cmp_eq_u32_e32 vcc_lo, 0, v1
	s_or_not1_b32 s5, vcc_lo, exec_lo
; %bb.279:                              ;   in Loop: Header=BB9_12 Depth=1
	s_wait_alu 0xfffe
	s_or_b32 exec_lo, exec_lo, s34
	s_delay_alu instid0(SALU_CYCLE_1)
	s_and_b32 exec_lo, exec_lo, s5
	s_cbranch_execz .LBB9_302
; %bb.280:                              ;   in Loop: Header=BB9_12 Depth=1
	v_add_nc_u32_e32 v0, s67, v179
	v_or_b32_e32 v1, s41, v70
	s_delay_alu instid0(VALU_DEP_1) | instskip(SKIP_1) | instid1(VALU_DEP_4)
	v_cmp_gt_i32_e64 s5, s33, v1
	v_mov_b32_e32 v1, 0x47
	v_cmp_gt_i32_e32 vcc_lo, s24, v0
	s_and_b32 s5, vcc_lo, s5
	s_wait_alu 0xfffe
	s_and_saveexec_b32 s34, s5
	s_cbranch_execz .LBB9_282
; %bb.281:                              ;   in Loop: Header=BB9_12 Depth=1
	v_add_nc_u32_e32 v1, v96, v137
	v_add_nc_u32_e32 v5, 0, v137
	ds_load_2addr_stride64_b32 v[1:2], v1 offset1:11
	ds_load_2addr_b32 v[3:4], v5 offset0:40 offset1:41
	ds_load_b32 v5, v5 offset:2976
	s_wait_dscnt 0x1
	v_fma_mix_f32 v6, v3, v1, 0 op_sel_hi:[0,1,0]
	v_fma_mix_f32 v1, v3, v1, 0 op_sel:[0,1,0] op_sel_hi:[0,1,0]
	s_wait_dscnt 0x0
	s_delay_alu instid0(VALU_DEP_2) | instskip(NEXT) | instid1(VALU_DEP_2)
	v_fma_mix_f32 v3, v5, v2, v6 op_sel_hi:[0,1,0]
	v_fma_mix_f32 v5, v5, v2, v1 op_sel:[0,1,0] op_sel_hi:[0,1,0]
	s_delay_alu instid0(VALU_DEP_2) | instskip(NEXT) | instid1(VALU_DEP_2)
	v_div_scale_f32 v2, null, v4, v4, v3
	v_div_scale_f32 v6, null, v4, v4, v5
	v_div_scale_f32 v11, s5, v5, v4, v5
	s_delay_alu instid0(VALU_DEP_3) | instskip(NEXT) | instid1(VALU_DEP_2)
	v_rcp_f32_e32 v7, v2
	v_rcp_f32_e32 v8, v6
	v_div_scale_f32 v10, vcc_lo, v3, v4, v3
	s_delay_alu instid0(TRANS32_DEP_2) | instskip(NEXT) | instid1(TRANS32_DEP_1)
	v_fma_f32 v1, -v2, v7, 1.0
	v_fma_f32 v9, -v6, v8, 1.0
	s_delay_alu instid0(VALU_DEP_1) | instskip(NEXT) | instid1(VALU_DEP_1)
	v_fmac_f32_e32 v8, v9, v8
	v_mul_f32_e32 v12, v11, v8
	s_delay_alu instid0(VALU_DEP_1) | instskip(SKIP_2) | instid1(VALU_DEP_3)
	v_fma_f32 v14, -v6, v12, v11
	v_fmac_f32_e32 v7, v1, v7
	v_mad_co_u64_u32 v[0:1], null, v0, s25, v[70:71]
	v_fmac_f32_e32 v12, v14, v8
	s_delay_alu instid0(VALU_DEP_3) | instskip(NEXT) | instid1(VALU_DEP_3)
	v_mul_f32_e32 v9, v10, v7
	v_mad_co_u64_u32 v[0:1], null, v0, 40, v[52:53]
	s_delay_alu instid0(VALU_DEP_2) | instskip(NEXT) | instid1(VALU_DEP_4)
	v_fma_f32 v13, -v2, v9, v10
	v_fma_f32 v6, -v6, v12, v11
	s_delay_alu instid0(VALU_DEP_2) | instskip(NEXT) | instid1(VALU_DEP_4)
	v_fmac_f32_e32 v9, v13, v7
	v_ashrrev_i32_e32 v1, 31, v0
	s_delay_alu instid0(VALU_DEP_2) | instskip(NEXT) | instid1(VALU_DEP_2)
	v_fma_f32 v2, -v2, v9, v10
	v_lshlrev_b64_e32 v[0:1], 3, v[0:1]
	s_wait_alu 0xfffd
	s_delay_alu instid0(VALU_DEP_2) | instskip(SKIP_3) | instid1(VALU_DEP_2)
	v_div_fmas_f32 v2, v2, v7, v9
	s_mov_b32 vcc_lo, s5
	s_wait_alu 0xfffe
	v_div_fmas_f32 v6, v6, v8, v12
	v_div_fixup_f32 v2, v2, v4, v3
	s_delay_alu instid0(VALU_DEP_2)
	v_div_fixup_f32 v3, v6, v4, v5
	v_add_co_u32 v4, vcc_lo, s72, v0
	s_wait_alu 0xfffd
	v_add_co_ci_u32_e64 v5, null, s73, v1, vcc_lo
	v_mov_b32_e32 v1, 0
	global_store_b64 v[4:5], v[2:3], off
.LBB9_282:                              ;   in Loop: Header=BB9_12 Depth=1
	s_wait_alu 0xfffe
	s_or_b32 exec_lo, exec_lo, s34
	s_mov_b32 s5, -1
	s_mov_b32 s34, exec_lo
	v_cmpx_gt_i32_e32 0x47, v1
; %bb.283:                              ;   in Loop: Header=BB9_12 Depth=1
	v_cmp_eq_u32_e32 vcc_lo, 0, v1
	s_or_not1_b32 s5, vcc_lo, exec_lo
; %bb.284:                              ;   in Loop: Header=BB9_12 Depth=1
	s_wait_alu 0xfffe
	s_or_b32 exec_lo, exec_lo, s34
	s_delay_alu instid0(SALU_CYCLE_1)
	s_and_b32 exec_lo, exec_lo, s5
	s_cbranch_execz .LBB9_302
; %bb.285:                              ;   in Loop: Header=BB9_12 Depth=1
	scratch_load_b32 v0, off, off           ; 4-byte Folded Reload
	s_wait_loadcnt 0x0
	v_dual_mov_b32 v1, 0x47 :: v_dual_add_nc_u32 v0, s67, v0
	s_delay_alu instid0(VALU_DEP_1)
	v_cmp_gt_i32_e32 vcc_lo, s24, v0
	s_and_b32 s5, vcc_lo, s4
	s_wait_alu 0xfffe
	s_and_saveexec_b32 s34, s5
	s_cbranch_execz .LBB9_287
; %bb.286:                              ;   in Loop: Header=BB9_12 Depth=1
	v_add_nc_u32_e32 v1, v96, v139
	v_add_nc_u32_e32 v5, 0, v139
	ds_load_2addr_stride64_b32 v[1:2], v1 offset1:11
	ds_load_2addr_b32 v[3:4], v5 offset0:40 offset1:41
	ds_load_b32 v5, v5 offset:2976
	s_wait_dscnt 0x1
	v_fma_mix_f32 v6, v3, v1, 0 op_sel_hi:[0,1,0]
	v_fma_mix_f32 v1, v3, v1, 0 op_sel:[0,1,0] op_sel_hi:[0,1,0]
	s_wait_dscnt 0x0
	s_delay_alu instid0(VALU_DEP_2) | instskip(NEXT) | instid1(VALU_DEP_2)
	v_fma_mix_f32 v3, v5, v2, v6 op_sel_hi:[0,1,0]
	v_fma_mix_f32 v5, v5, v2, v1 op_sel:[0,1,0] op_sel_hi:[0,1,0]
	s_delay_alu instid0(VALU_DEP_2) | instskip(NEXT) | instid1(VALU_DEP_2)
	v_div_scale_f32 v2, null, v4, v4, v3
	v_div_scale_f32 v6, null, v4, v4, v5
	v_div_scale_f32 v11, s5, v5, v4, v5
	s_delay_alu instid0(VALU_DEP_3) | instskip(NEXT) | instid1(VALU_DEP_2)
	v_rcp_f32_e32 v7, v2
	v_rcp_f32_e32 v8, v6
	v_div_scale_f32 v10, vcc_lo, v3, v4, v3
	s_delay_alu instid0(TRANS32_DEP_2) | instskip(NEXT) | instid1(TRANS32_DEP_1)
	v_fma_f32 v1, -v2, v7, 1.0
	v_fma_f32 v9, -v6, v8, 1.0
	s_delay_alu instid0(VALU_DEP_1) | instskip(NEXT) | instid1(VALU_DEP_1)
	v_fmac_f32_e32 v8, v9, v8
	v_mul_f32_e32 v12, v11, v8
	s_delay_alu instid0(VALU_DEP_1) | instskip(SKIP_2) | instid1(VALU_DEP_3)
	v_fma_f32 v14, -v6, v12, v11
	v_fmac_f32_e32 v7, v1, v7
	v_mad_co_u64_u32 v[0:1], null, v0, s25, v[74:75]
	v_fmac_f32_e32 v12, v14, v8
	s_delay_alu instid0(VALU_DEP_3) | instskip(NEXT) | instid1(VALU_DEP_3)
	v_mul_f32_e32 v9, v10, v7
	v_mad_co_u64_u32 v[0:1], null, v0, 40, v[52:53]
	s_delay_alu instid0(VALU_DEP_2) | instskip(NEXT) | instid1(VALU_DEP_4)
	v_fma_f32 v13, -v2, v9, v10
	v_fma_f32 v6, -v6, v12, v11
	s_delay_alu instid0(VALU_DEP_2) | instskip(NEXT) | instid1(VALU_DEP_4)
	v_fmac_f32_e32 v9, v13, v7
	v_ashrrev_i32_e32 v1, 31, v0
	s_delay_alu instid0(VALU_DEP_2) | instskip(NEXT) | instid1(VALU_DEP_2)
	v_fma_f32 v2, -v2, v9, v10
	v_lshlrev_b64_e32 v[0:1], 3, v[0:1]
	s_wait_alu 0xfffd
	s_delay_alu instid0(VALU_DEP_2) | instskip(SKIP_3) | instid1(VALU_DEP_2)
	v_div_fmas_f32 v2, v2, v7, v9
	s_mov_b32 vcc_lo, s5
	s_wait_alu 0xfffe
	v_div_fmas_f32 v6, v6, v8, v12
	v_div_fixup_f32 v2, v2, v4, v3
	s_delay_alu instid0(VALU_DEP_2)
	v_div_fixup_f32 v3, v6, v4, v5
	v_add_co_u32 v4, vcc_lo, s72, v0
	s_wait_alu 0xfffd
	v_add_co_ci_u32_e64 v5, null, s73, v1, vcc_lo
	v_mov_b32_e32 v1, 0
	global_store_b64 v[4:5], v[2:3], off
.LBB9_287:                              ;   in Loop: Header=BB9_12 Depth=1
	s_wait_alu 0xfffe
	s_or_b32 exec_lo, exec_lo, s34
	s_mov_b32 s5, -1
	s_mov_b32 s34, exec_lo
	v_cmpx_gt_i32_e32 0x47, v1
; %bb.288:                              ;   in Loop: Header=BB9_12 Depth=1
	v_cmp_eq_u32_e32 vcc_lo, 0, v1
	s_or_not1_b32 s5, vcc_lo, exec_lo
; %bb.289:                              ;   in Loop: Header=BB9_12 Depth=1
	s_wait_alu 0xfffe
	s_or_b32 exec_lo, exec_lo, s34
	s_delay_alu instid0(SALU_CYCLE_1)
	s_and_b32 exec_lo, exec_lo, s5
	s_cbranch_execz .LBB9_302
; %bb.290:                              ;   in Loop: Header=BB9_12 Depth=1
	v_add_nc_u32_e32 v0, s67, v180
	v_or_b32_e32 v1, s41, v71
	s_delay_alu instid0(VALU_DEP_1) | instskip(SKIP_1) | instid1(VALU_DEP_4)
	v_cmp_gt_i32_e64 s5, s33, v1
	v_mov_b32_e32 v1, 0x47
	v_cmp_gt_i32_e32 vcc_lo, s24, v0
	s_and_b32 s5, vcc_lo, s5
	s_wait_alu 0xfffe
	s_and_saveexec_b32 s34, s5
	s_cbranch_execz .LBB9_292
; %bb.291:                              ;   in Loop: Header=BB9_12 Depth=1
	v_mov_b32_e32 v2, v138
	s_delay_alu instid0(VALU_DEP_1)
	v_add_nc_u32_e32 v1, v96, v2
	v_add_nc_u32_e32 v5, 0, v2
	ds_load_2addr_stride64_b32 v[1:2], v1 offset1:11
	ds_load_2addr_b32 v[3:4], v5 offset0:40 offset1:41
	ds_load_b32 v5, v5 offset:2976
	s_wait_dscnt 0x1
	v_fma_mix_f32 v6, v3, v1, 0 op_sel_hi:[0,1,0]
	v_fma_mix_f32 v1, v3, v1, 0 op_sel:[0,1,0] op_sel_hi:[0,1,0]
	s_wait_dscnt 0x0
	s_delay_alu instid0(VALU_DEP_2) | instskip(NEXT) | instid1(VALU_DEP_2)
	v_fma_mix_f32 v3, v5, v2, v6 op_sel_hi:[0,1,0]
	v_fma_mix_f32 v5, v5, v2, v1 op_sel:[0,1,0] op_sel_hi:[0,1,0]
	s_delay_alu instid0(VALU_DEP_2) | instskip(NEXT) | instid1(VALU_DEP_2)
	v_div_scale_f32 v2, null, v4, v4, v3
	v_div_scale_f32 v6, null, v4, v4, v5
	v_div_scale_f32 v10, vcc_lo, v3, v4, v3
	s_delay_alu instid0(VALU_DEP_3) | instskip(NEXT) | instid1(VALU_DEP_2)
	v_rcp_f32_e32 v7, v2
	v_rcp_f32_e32 v8, v6
	v_div_scale_f32 v11, s5, v5, v4, v5
	s_delay_alu instid0(TRANS32_DEP_2) | instskip(NEXT) | instid1(TRANS32_DEP_1)
	v_fma_f32 v1, -v2, v7, 1.0
	v_fma_f32 v9, -v6, v8, 1.0
	s_delay_alu instid0(VALU_DEP_2) | instskip(NEXT) | instid1(VALU_DEP_2)
	v_fmac_f32_e32 v7, v1, v7
	v_fmac_f32_e32 v8, v9, v8
	v_mad_co_u64_u32 v[0:1], null, v0, s25, v[71:72]
	s_delay_alu instid0(VALU_DEP_2) | instskip(NEXT) | instid1(VALU_DEP_2)
	v_dual_mul_f32 v9, v10, v7 :: v_dual_mul_f32 v12, v11, v8
	v_mad_co_u64_u32 v[0:1], null, v0, 40, v[52:53]
	s_delay_alu instid0(VALU_DEP_2) | instskip(NEXT) | instid1(VALU_DEP_3)
	v_fma_f32 v13, -v2, v9, v10
	v_fma_f32 v14, -v6, v12, v11
	s_delay_alu instid0(VALU_DEP_1) | instskip(NEXT) | instid1(VALU_DEP_4)
	v_dual_fmac_f32 v9, v13, v7 :: v_dual_fmac_f32 v12, v14, v8
	v_ashrrev_i32_e32 v1, 31, v0
	s_delay_alu instid0(VALU_DEP_2) | instskip(NEXT) | instid1(VALU_DEP_3)
	v_fma_f32 v2, -v2, v9, v10
	v_fma_f32 v6, -v6, v12, v11
	s_delay_alu instid0(VALU_DEP_3) | instskip(SKIP_1) | instid1(VALU_DEP_3)
	v_lshlrev_b64_e32 v[0:1], 3, v[0:1]
	s_wait_alu 0xfffd
	v_div_fmas_f32 v2, v2, v7, v9
	s_mov_b32 vcc_lo, s5
	s_wait_alu 0xfffe
	v_div_fmas_f32 v6, v6, v8, v12
	s_delay_alu instid0(VALU_DEP_2) | instskip(NEXT) | instid1(VALU_DEP_2)
	v_div_fixup_f32 v2, v2, v4, v3
	v_div_fixup_f32 v3, v6, v4, v5
	v_add_co_u32 v4, vcc_lo, s72, v0
	s_wait_alu 0xfffd
	v_add_co_ci_u32_e64 v5, null, s73, v1, vcc_lo
	v_mov_b32_e32 v1, 0
	global_store_b64 v[4:5], v[2:3], off
.LBB9_292:                              ;   in Loop: Header=BB9_12 Depth=1
	s_wait_alu 0xfffe
	s_or_b32 exec_lo, exec_lo, s34
	s_mov_b32 s5, -1
	s_mov_b32 s34, exec_lo
	v_cmpx_gt_i32_e32 0x47, v1
; %bb.293:                              ;   in Loop: Header=BB9_12 Depth=1
	v_cmp_eq_u32_e32 vcc_lo, 0, v1
	s_or_not1_b32 s5, vcc_lo, exec_lo
; %bb.294:                              ;   in Loop: Header=BB9_12 Depth=1
	s_wait_alu 0xfffe
	s_or_b32 exec_lo, exec_lo, s34
	s_delay_alu instid0(SALU_CYCLE_1)
	s_and_b32 exec_lo, exec_lo, s5
	s_cbranch_execz .LBB9_302
; %bb.295:                              ;   in Loop: Header=BB9_12 Depth=1
	scratch_load_b32 v0, off, off offset:4  ; 4-byte Folded Reload
	s_wait_loadcnt 0x0
	v_dual_mov_b32 v1, 0x47 :: v_dual_add_nc_u32 v0, s67, v0
	s_delay_alu instid0(VALU_DEP_1)
	v_cmp_gt_i32_e32 vcc_lo, s24, v0
	s_and_b32 s4, vcc_lo, s4
	s_wait_alu 0xfffe
	s_and_saveexec_b32 s5, s4
	s_cbranch_execz .LBB9_297
; %bb.296:                              ;   in Loop: Header=BB9_12 Depth=1
	v_mov_b32_e32 v2, v140
	s_delay_alu instid0(VALU_DEP_1)
	v_add_nc_u32_e32 v1, v96, v2
	v_add_nc_u32_e32 v5, 0, v2
	ds_load_2addr_stride64_b32 v[1:2], v1 offset1:11
	ds_load_2addr_b32 v[3:4], v5 offset0:40 offset1:41
	ds_load_b32 v5, v5 offset:2976
	s_wait_dscnt 0x1
	v_fma_mix_f32 v6, v3, v1, 0 op_sel_hi:[0,1,0]
	v_fma_mix_f32 v1, v3, v1, 0 op_sel:[0,1,0] op_sel_hi:[0,1,0]
	s_wait_dscnt 0x0
	s_delay_alu instid0(VALU_DEP_2) | instskip(NEXT) | instid1(VALU_DEP_2)
	v_fma_mix_f32 v3, v5, v2, v6 op_sel_hi:[0,1,0]
	v_fma_mix_f32 v5, v5, v2, v1 op_sel:[0,1,0] op_sel_hi:[0,1,0]
	s_delay_alu instid0(VALU_DEP_2) | instskip(NEXT) | instid1(VALU_DEP_2)
	v_div_scale_f32 v2, null, v4, v4, v3
	v_div_scale_f32 v6, null, v4, v4, v5
	v_div_scale_f32 v10, vcc_lo, v3, v4, v3
	s_delay_alu instid0(VALU_DEP_3) | instskip(NEXT) | instid1(VALU_DEP_2)
	v_rcp_f32_e32 v7, v2
	v_rcp_f32_e32 v8, v6
	v_div_scale_f32 v11, s4, v5, v4, v5
	s_delay_alu instid0(TRANS32_DEP_2) | instskip(NEXT) | instid1(TRANS32_DEP_1)
	v_fma_f32 v1, -v2, v7, 1.0
	v_fma_f32 v9, -v6, v8, 1.0
	s_delay_alu instid0(VALU_DEP_2) | instskip(NEXT) | instid1(VALU_DEP_2)
	v_fmac_f32_e32 v7, v1, v7
	v_fmac_f32_e32 v8, v9, v8
	v_mad_co_u64_u32 v[0:1], null, v0, s25, v[74:75]
	s_delay_alu instid0(VALU_DEP_2) | instskip(NEXT) | instid1(VALU_DEP_2)
	v_dual_mul_f32 v9, v10, v7 :: v_dual_mul_f32 v12, v11, v8
	v_mad_co_u64_u32 v[0:1], null, v0, 40, v[52:53]
	s_delay_alu instid0(VALU_DEP_2) | instskip(NEXT) | instid1(VALU_DEP_3)
	v_fma_f32 v13, -v2, v9, v10
	v_fma_f32 v14, -v6, v12, v11
	s_delay_alu instid0(VALU_DEP_1) | instskip(NEXT) | instid1(VALU_DEP_4)
	v_dual_fmac_f32 v9, v13, v7 :: v_dual_fmac_f32 v12, v14, v8
	v_ashrrev_i32_e32 v1, 31, v0
	s_delay_alu instid0(VALU_DEP_2) | instskip(NEXT) | instid1(VALU_DEP_3)
	v_fma_f32 v2, -v2, v9, v10
	v_fma_f32 v6, -v6, v12, v11
	s_delay_alu instid0(VALU_DEP_3) | instskip(SKIP_1) | instid1(VALU_DEP_3)
	v_lshlrev_b64_e32 v[0:1], 3, v[0:1]
	s_wait_alu 0xfffd
	v_div_fmas_f32 v2, v2, v7, v9
	s_mov_b32 vcc_lo, s4
	s_wait_alu 0xfffe
	v_div_fmas_f32 v6, v6, v8, v12
	s_delay_alu instid0(VALU_DEP_2) | instskip(NEXT) | instid1(VALU_DEP_2)
	v_div_fixup_f32 v2, v2, v4, v3
	v_div_fixup_f32 v3, v6, v4, v5
	v_add_co_u32 v4, vcc_lo, s72, v0
	s_wait_alu 0xfffd
	v_add_co_ci_u32_e64 v5, null, s73, v1, vcc_lo
	v_mov_b32_e32 v1, 0
	global_store_b64 v[4:5], v[2:3], off
.LBB9_297:                              ;   in Loop: Header=BB9_12 Depth=1
	s_wait_alu 0xfffe
	s_or_b32 exec_lo, exec_lo, s5
	s_mov_b32 s4, -1
	s_mov_b32 s5, exec_lo
	v_cmpx_gt_i32_e32 0x47, v1
; %bb.298:                              ;   in Loop: Header=BB9_12 Depth=1
	v_cmp_eq_u32_e32 vcc_lo, 0, v1
	s_or_not1_b32 s4, vcc_lo, exec_lo
; %bb.299:                              ;   in Loop: Header=BB9_12 Depth=1
	s_wait_alu 0xfffe
	s_or_b32 exec_lo, exec_lo, s5
	s_delay_alu instid0(SALU_CYCLE_1)
	s_and_b32 exec_lo, exec_lo, s4
	s_cbranch_execz .LBB9_302
; %bb.300:                              ;   in Loop: Header=BB9_12 Depth=1
	v_add_nc_u32_e32 v0, s67, v181
	v_or_b32_e32 v1, s41, v72
	s_delay_alu instid0(VALU_DEP_2) | instskip(NEXT) | instid1(VALU_DEP_2)
	v_cmp_gt_i32_e32 vcc_lo, s24, v0
	v_cmp_gt_i32_e64 s4, s33, v1
	s_and_b32 s4, vcc_lo, s4
	s_wait_alu 0xfffe
	s_and_b32 exec_lo, exec_lo, s4
	s_cbranch_execz .LBB9_302
; %bb.301:                              ;   in Loop: Header=BB9_12 Depth=1
	v_mov_b32_e32 v2, v142
	s_delay_alu instid0(VALU_DEP_1)
	v_add_nc_u32_e32 v1, v96, v2
	v_add_nc_u32_e32 v5, 0, v2
	ds_load_2addr_stride64_b32 v[1:2], v1 offset1:11
	ds_load_2addr_b32 v[3:4], v5 offset0:40 offset1:41
	ds_load_b32 v5, v5 offset:2976
	s_wait_dscnt 0x1
	v_fma_mix_f32 v6, v3, v1, 0 op_sel_hi:[0,1,0]
	v_fma_mix_f32 v1, v3, v1, 0 op_sel:[0,1,0] op_sel_hi:[0,1,0]
	s_wait_dscnt 0x0
	s_delay_alu instid0(VALU_DEP_2) | instskip(NEXT) | instid1(VALU_DEP_2)
	v_fma_mix_f32 v3, v5, v2, v6 op_sel_hi:[0,1,0]
	v_fma_mix_f32 v5, v5, v2, v1 op_sel:[0,1,0] op_sel_hi:[0,1,0]
	s_delay_alu instid0(VALU_DEP_2) | instskip(NEXT) | instid1(VALU_DEP_2)
	v_div_scale_f32 v2, null, v4, v4, v3
	v_div_scale_f32 v6, null, v4, v4, v5
	v_div_scale_f32 v10, vcc_lo, v3, v4, v3
	s_delay_alu instid0(VALU_DEP_3) | instskip(NEXT) | instid1(VALU_DEP_2)
	v_rcp_f32_e32 v7, v2
	v_rcp_f32_e32 v8, v6
	v_div_scale_f32 v11, s4, v5, v4, v5
	s_delay_alu instid0(TRANS32_DEP_2) | instskip(NEXT) | instid1(TRANS32_DEP_1)
	v_fma_f32 v1, -v2, v7, 1.0
	v_fma_f32 v9, -v6, v8, 1.0
	s_delay_alu instid0(VALU_DEP_2) | instskip(NEXT) | instid1(VALU_DEP_2)
	v_fmac_f32_e32 v7, v1, v7
	v_fmac_f32_e32 v8, v9, v8
	v_mad_co_u64_u32 v[0:1], null, v0, s25, v[72:73]
	s_delay_alu instid0(VALU_DEP_2) | instskip(NEXT) | instid1(VALU_DEP_2)
	v_dual_mul_f32 v9, v10, v7 :: v_dual_mul_f32 v12, v11, v8
	v_mad_co_u64_u32 v[0:1], null, v0, 40, v[52:53]
	s_delay_alu instid0(VALU_DEP_2) | instskip(NEXT) | instid1(VALU_DEP_3)
	v_fma_f32 v13, -v2, v9, v10
	v_fma_f32 v14, -v6, v12, v11
	s_delay_alu instid0(VALU_DEP_1) | instskip(NEXT) | instid1(VALU_DEP_4)
	v_dual_fmac_f32 v9, v13, v7 :: v_dual_fmac_f32 v12, v14, v8
	v_ashrrev_i32_e32 v1, 31, v0
	s_delay_alu instid0(VALU_DEP_2) | instskip(NEXT) | instid1(VALU_DEP_3)
	v_fma_f32 v2, -v2, v9, v10
	v_fma_f32 v6, -v6, v12, v11
	s_delay_alu instid0(VALU_DEP_3) | instskip(SKIP_1) | instid1(VALU_DEP_3)
	v_lshlrev_b64_e32 v[0:1], 3, v[0:1]
	s_wait_alu 0xfffd
	v_div_fmas_f32 v2, v2, v7, v9
	s_mov_b32 vcc_lo, s4
	s_wait_alu 0xfffe
	v_div_fmas_f32 v6, v6, v8, v12
	v_add_co_u32 v0, vcc_lo, s72, v0
	v_div_fixup_f32 v2, v2, v4, v3
	s_wait_alu 0xfffd
	v_add_co_ci_u32_e64 v1, null, s73, v1, vcc_lo
	v_div_fixup_f32 v3, v6, v4, v5
	global_store_b64 v[0:1], v[2:3], off
.LBB9_302:                              ;   in Loop: Header=BB9_12 Depth=1
	s_wait_alu 0xfffe
	s_or_b32 exec_lo, exec_lo, s56
	v_dual_mov_b32 v1, 0x47 :: v_dual_add_nc_u32 v0, s67, v144
	s_delay_alu instid0(VALU_DEP_1)
	v_cmp_gt_i32_e32 vcc_lo, s24, v0
	s_and_b32 s4, vcc_lo, s3
	s_wait_alu 0xfffe
	s_and_saveexec_b32 s5, s4
	s_cbranch_execz .LBB9_304
; %bb.303:                              ;   in Loop: Header=BB9_12 Depth=1
	v_add_nc_u32_e32 v1, v98, v145
	v_add_nc_u32_e32 v5, 0, v145
	s_delay_alu instid0(VALU_DEP_2)
	v_add_nc_u32_e32 v1, 0x80, v1
	ds_load_2addr_stride64_b32 v[1:2], v1 offset1:11
	ds_load_2addr_b32 v[3:4], v5 offset0:40 offset1:41
	ds_load_b32 v5, v5 offset:2976
	s_wait_dscnt 0x1
	v_fma_mix_f32 v6, v3, v1, 0 op_sel_hi:[0,1,0]
	v_fma_mix_f32 v1, v3, v1, 0 op_sel:[0,1,0] op_sel_hi:[0,1,0]
	s_wait_dscnt 0x0
	s_delay_alu instid0(VALU_DEP_2) | instskip(NEXT) | instid1(VALU_DEP_2)
	v_fma_mix_f32 v3, v5, v2, v6 op_sel_hi:[0,1,0]
	v_fma_mix_f32 v5, v5, v2, v1 op_sel:[0,1,0] op_sel_hi:[0,1,0]
	s_delay_alu instid0(VALU_DEP_2) | instskip(NEXT) | instid1(VALU_DEP_2)
	v_div_scale_f32 v2, null, v4, v4, v3
	v_div_scale_f32 v6, null, v4, v4, v5
	v_div_scale_f32 v10, vcc_lo, v3, v4, v3
	s_delay_alu instid0(VALU_DEP_3) | instskip(NEXT) | instid1(VALU_DEP_2)
	v_rcp_f32_e32 v7, v2
	v_rcp_f32_e32 v8, v6
	v_div_scale_f32 v11, s4, v5, v4, v5
	s_delay_alu instid0(TRANS32_DEP_2) | instskip(NEXT) | instid1(TRANS32_DEP_1)
	v_fma_f32 v1, -v2, v7, 1.0
	v_fma_f32 v9, -v6, v8, 1.0
	s_delay_alu instid0(VALU_DEP_2) | instskip(NEXT) | instid1(VALU_DEP_2)
	v_fmac_f32_e32 v7, v1, v7
	v_fmac_f32_e32 v8, v9, v8
	v_mad_co_u64_u32 v[0:1], null, v0, s25, v[53:54]
	s_delay_alu instid0(VALU_DEP_2) | instskip(NEXT) | instid1(VALU_DEP_2)
	v_dual_mul_f32 v9, v10, v7 :: v_dual_mul_f32 v12, v11, v8
	v_mul_lo_u32 v0, v0, 40
	s_delay_alu instid0(VALU_DEP_2) | instskip(NEXT) | instid1(VALU_DEP_3)
	v_fma_f32 v1, -v2, v9, v10
	v_fma_f32 v13, -v6, v12, v11
	s_delay_alu instid0(VALU_DEP_2) | instskip(NEXT) | instid1(VALU_DEP_2)
	v_fmac_f32_e32 v9, v1, v7
	v_fmac_f32_e32 v12, v13, v8
	v_ashrrev_i32_e32 v1, 31, v0
	v_or_b32_e32 v0, v0, v97
	s_delay_alu instid0(VALU_DEP_4) | instskip(NEXT) | instid1(VALU_DEP_4)
	v_fma_f32 v2, -v2, v9, v10
	v_fma_f32 v6, -v6, v12, v11
	s_delay_alu instid0(VALU_DEP_3) | instskip(SKIP_1) | instid1(VALU_DEP_3)
	v_lshlrev_b64_e32 v[0:1], 3, v[0:1]
	s_wait_alu 0xfffd
	v_div_fmas_f32 v2, v2, v7, v9
	s_mov_b32 vcc_lo, s4
	s_wait_alu 0xfffe
	v_div_fmas_f32 v6, v6, v8, v12
	s_delay_alu instid0(VALU_DEP_2) | instskip(NEXT) | instid1(VALU_DEP_2)
	v_div_fixup_f32 v2, v2, v4, v3
	v_div_fixup_f32 v3, v6, v4, v5
	v_add_co_u32 v4, vcc_lo, s72, v0
	s_wait_alu 0xfffd
	v_add_co_ci_u32_e64 v5, null, s73, v1, vcc_lo
	v_mov_b32_e32 v1, 0
	global_store_b64 v[4:5], v[2:3], off offset:256
.LBB9_304:                              ;   in Loop: Header=BB9_12 Depth=1
	s_wait_alu 0xfffe
	s_or_b32 exec_lo, exec_lo, s5
	s_mov_b32 s4, -1
	s_mov_b32 s5, exec_lo
	v_cmpx_gt_i32_e32 0x47, v1
; %bb.305:                              ;   in Loop: Header=BB9_12 Depth=1
	v_cmp_eq_u32_e32 vcc_lo, 0, v1
	s_or_not1_b32 s4, vcc_lo, exec_lo
; %bb.306:                              ;   in Loop: Header=BB9_12 Depth=1
	s_wait_alu 0xfffe
	s_or_b32 exec_lo, exec_lo, s5
	s_delay_alu instid0(SALU_CYCLE_1)
	s_and_b32 exec_lo, exec_lo, s4
	s_cbranch_execz .LBB9_10
; %bb.307:                              ;   in Loop: Header=BB9_12 Depth=1
	v_dual_mov_b32 v1, 0x47 :: v_dual_add_nc_u32 v0, s67, v146
	s_delay_alu instid0(VALU_DEP_1)
	v_cmp_gt_i32_e32 vcc_lo, s24, v0
	s_and_b32 s4, vcc_lo, s3
	s_wait_alu 0xfffe
	s_and_saveexec_b32 s5, s4
	s_cbranch_execz .LBB9_309
; %bb.308:                              ;   in Loop: Header=BB9_12 Depth=1
	v_add_nc_u32_e32 v1, v98, v147
	v_add_nc_u32_e32 v5, 0, v147
	s_delay_alu instid0(VALU_DEP_2)
	v_add_nc_u32_e32 v1, 0x80, v1
	ds_load_2addr_stride64_b32 v[1:2], v1 offset1:11
	ds_load_2addr_b32 v[3:4], v5 offset0:40 offset1:41
	ds_load_b32 v5, v5 offset:2976
	s_wait_dscnt 0x1
	v_fma_mix_f32 v6, v3, v1, 0 op_sel_hi:[0,1,0]
	v_fma_mix_f32 v1, v3, v1, 0 op_sel:[0,1,0] op_sel_hi:[0,1,0]
	s_wait_dscnt 0x0
	s_delay_alu instid0(VALU_DEP_2) | instskip(NEXT) | instid1(VALU_DEP_2)
	v_fma_mix_f32 v3, v5, v2, v6 op_sel_hi:[0,1,0]
	v_fma_mix_f32 v5, v5, v2, v1 op_sel:[0,1,0] op_sel_hi:[0,1,0]
	s_delay_alu instid0(VALU_DEP_2) | instskip(NEXT) | instid1(VALU_DEP_2)
	v_div_scale_f32 v2, null, v4, v4, v3
	v_div_scale_f32 v6, null, v4, v4, v5
	v_div_scale_f32 v10, vcc_lo, v3, v4, v3
	s_delay_alu instid0(VALU_DEP_3) | instskip(NEXT) | instid1(VALU_DEP_2)
	v_rcp_f32_e32 v7, v2
	v_rcp_f32_e32 v8, v6
	v_div_scale_f32 v11, s4, v5, v4, v5
	s_delay_alu instid0(TRANS32_DEP_2) | instskip(NEXT) | instid1(TRANS32_DEP_1)
	v_fma_f32 v1, -v2, v7, 1.0
	v_fma_f32 v9, -v6, v8, 1.0
	s_delay_alu instid0(VALU_DEP_2) | instskip(NEXT) | instid1(VALU_DEP_2)
	v_fmac_f32_e32 v7, v1, v7
	v_fmac_f32_e32 v8, v9, v8
	v_mad_co_u64_u32 v[0:1], null, v0, s25, v[53:54]
	s_delay_alu instid0(VALU_DEP_2) | instskip(NEXT) | instid1(VALU_DEP_2)
	v_dual_mul_f32 v9, v10, v7 :: v_dual_mul_f32 v12, v11, v8
	v_mul_lo_u32 v0, v0, 40
	s_delay_alu instid0(VALU_DEP_2) | instskip(NEXT) | instid1(VALU_DEP_3)
	v_fma_f32 v1, -v2, v9, v10
	v_fma_f32 v13, -v6, v12, v11
	s_delay_alu instid0(VALU_DEP_2) | instskip(NEXT) | instid1(VALU_DEP_2)
	v_fmac_f32_e32 v9, v1, v7
	v_fmac_f32_e32 v12, v13, v8
	v_ashrrev_i32_e32 v1, 31, v0
	v_or_b32_e32 v0, v0, v97
	s_delay_alu instid0(VALU_DEP_4) | instskip(NEXT) | instid1(VALU_DEP_4)
	v_fma_f32 v2, -v2, v9, v10
	v_fma_f32 v6, -v6, v12, v11
	s_delay_alu instid0(VALU_DEP_3) | instskip(SKIP_1) | instid1(VALU_DEP_3)
	v_lshlrev_b64_e32 v[0:1], 3, v[0:1]
	s_wait_alu 0xfffd
	v_div_fmas_f32 v2, v2, v7, v9
	s_mov_b32 vcc_lo, s4
	s_wait_alu 0xfffe
	v_div_fmas_f32 v6, v6, v8, v12
	s_delay_alu instid0(VALU_DEP_2) | instskip(NEXT) | instid1(VALU_DEP_2)
	v_div_fixup_f32 v2, v2, v4, v3
	v_div_fixup_f32 v3, v6, v4, v5
	v_add_co_u32 v4, vcc_lo, s72, v0
	s_wait_alu 0xfffd
	v_add_co_ci_u32_e64 v5, null, s73, v1, vcc_lo
	v_mov_b32_e32 v1, 0
	global_store_b64 v[4:5], v[2:3], off offset:256
.LBB9_309:                              ;   in Loop: Header=BB9_12 Depth=1
	s_wait_alu 0xfffe
	s_or_b32 exec_lo, exec_lo, s5
	s_mov_b32 s4, -1
	s_mov_b32 s5, exec_lo
	v_cmpx_gt_i32_e32 0x47, v1
; %bb.310:                              ;   in Loop: Header=BB9_12 Depth=1
	v_cmp_eq_u32_e32 vcc_lo, 0, v1
	s_or_not1_b32 s4, vcc_lo, exec_lo
; %bb.311:                              ;   in Loop: Header=BB9_12 Depth=1
	s_wait_alu 0xfffe
	s_or_b32 exec_lo, exec_lo, s5
	s_delay_alu instid0(SALU_CYCLE_1)
	s_and_b32 exec_lo, exec_lo, s4
	s_cbranch_execz .LBB9_10
; %bb.312:                              ;   in Loop: Header=BB9_12 Depth=1
	v_dual_mov_b32 v1, 0x47 :: v_dual_add_nc_u32 v0, s67, v148
	s_delay_alu instid0(VALU_DEP_1)
	v_cmp_gt_i32_e32 vcc_lo, s24, v0
	s_and_b32 s4, vcc_lo, s3
	s_wait_alu 0xfffe
	s_and_saveexec_b32 s5, s4
	s_cbranch_execz .LBB9_314
; %bb.313:                              ;   in Loop: Header=BB9_12 Depth=1
	v_add_nc_u32_e32 v1, v98, v149
	v_add_nc_u32_e32 v5, 0, v149
	s_delay_alu instid0(VALU_DEP_2)
	v_add_nc_u32_e32 v1, 0x80, v1
	ds_load_2addr_stride64_b32 v[1:2], v1 offset1:11
	ds_load_2addr_b32 v[3:4], v5 offset0:40 offset1:41
	ds_load_b32 v5, v5 offset:2976
	s_wait_dscnt 0x1
	v_fma_mix_f32 v6, v3, v1, 0 op_sel_hi:[0,1,0]
	v_fma_mix_f32 v1, v3, v1, 0 op_sel:[0,1,0] op_sel_hi:[0,1,0]
	s_wait_dscnt 0x0
	s_delay_alu instid0(VALU_DEP_2) | instskip(NEXT) | instid1(VALU_DEP_2)
	v_fma_mix_f32 v3, v5, v2, v6 op_sel_hi:[0,1,0]
	v_fma_mix_f32 v5, v5, v2, v1 op_sel:[0,1,0] op_sel_hi:[0,1,0]
	s_delay_alu instid0(VALU_DEP_2) | instskip(NEXT) | instid1(VALU_DEP_2)
	v_div_scale_f32 v2, null, v4, v4, v3
	v_div_scale_f32 v6, null, v4, v4, v5
	v_div_scale_f32 v10, vcc_lo, v3, v4, v3
	s_delay_alu instid0(VALU_DEP_3) | instskip(NEXT) | instid1(VALU_DEP_2)
	v_rcp_f32_e32 v7, v2
	v_rcp_f32_e32 v8, v6
	v_div_scale_f32 v11, s4, v5, v4, v5
	s_delay_alu instid0(TRANS32_DEP_2) | instskip(NEXT) | instid1(TRANS32_DEP_1)
	v_fma_f32 v1, -v2, v7, 1.0
	v_fma_f32 v9, -v6, v8, 1.0
	s_delay_alu instid0(VALU_DEP_2) | instskip(NEXT) | instid1(VALU_DEP_2)
	v_fmac_f32_e32 v7, v1, v7
	v_fmac_f32_e32 v8, v9, v8
	v_mad_co_u64_u32 v[0:1], null, v0, s25, v[53:54]
	s_delay_alu instid0(VALU_DEP_2) | instskip(NEXT) | instid1(VALU_DEP_2)
	v_dual_mul_f32 v9, v10, v7 :: v_dual_mul_f32 v12, v11, v8
	v_mul_lo_u32 v0, v0, 40
	s_delay_alu instid0(VALU_DEP_2) | instskip(NEXT) | instid1(VALU_DEP_3)
	v_fma_f32 v1, -v2, v9, v10
	v_fma_f32 v13, -v6, v12, v11
	s_delay_alu instid0(VALU_DEP_2) | instskip(NEXT) | instid1(VALU_DEP_2)
	v_fmac_f32_e32 v9, v1, v7
	v_fmac_f32_e32 v12, v13, v8
	v_ashrrev_i32_e32 v1, 31, v0
	v_or_b32_e32 v0, v0, v97
	s_delay_alu instid0(VALU_DEP_4) | instskip(NEXT) | instid1(VALU_DEP_4)
	v_fma_f32 v2, -v2, v9, v10
	v_fma_f32 v6, -v6, v12, v11
	s_delay_alu instid0(VALU_DEP_3) | instskip(SKIP_1) | instid1(VALU_DEP_3)
	v_lshlrev_b64_e32 v[0:1], 3, v[0:1]
	s_wait_alu 0xfffd
	v_div_fmas_f32 v2, v2, v7, v9
	s_mov_b32 vcc_lo, s4
	s_wait_alu 0xfffe
	v_div_fmas_f32 v6, v6, v8, v12
	s_delay_alu instid0(VALU_DEP_2) | instskip(NEXT) | instid1(VALU_DEP_2)
	v_div_fixup_f32 v2, v2, v4, v3
	v_div_fixup_f32 v3, v6, v4, v5
	v_add_co_u32 v4, vcc_lo, s72, v0
	s_wait_alu 0xfffd
	v_add_co_ci_u32_e64 v5, null, s73, v1, vcc_lo
	v_mov_b32_e32 v1, 0
	global_store_b64 v[4:5], v[2:3], off offset:256
.LBB9_314:                              ;   in Loop: Header=BB9_12 Depth=1
	s_wait_alu 0xfffe
	s_or_b32 exec_lo, exec_lo, s5
	s_mov_b32 s4, -1
	s_mov_b32 s5, exec_lo
	v_cmpx_gt_i32_e32 0x47, v1
; %bb.315:                              ;   in Loop: Header=BB9_12 Depth=1
	v_cmp_eq_u32_e32 vcc_lo, 0, v1
	s_or_not1_b32 s4, vcc_lo, exec_lo
; %bb.316:                              ;   in Loop: Header=BB9_12 Depth=1
	s_wait_alu 0xfffe
	s_or_b32 exec_lo, exec_lo, s5
	s_delay_alu instid0(SALU_CYCLE_1)
	s_and_b32 exec_lo, exec_lo, s4
	s_cbranch_execz .LBB9_10
; %bb.317:                              ;   in Loop: Header=BB9_12 Depth=1
	v_add_nc_u32_e32 v0, s67, v150
	s_delay_alu instid0(VALU_DEP_1)
	v_cmp_gt_i32_e32 vcc_lo, s24, v0
	s_and_b32 s3, vcc_lo, s3
	s_wait_alu 0xfffe
	s_and_b32 exec_lo, exec_lo, s3
	s_cbranch_execz .LBB9_10
; %bb.318:                              ;   in Loop: Header=BB9_12 Depth=1
	v_add_nc_u32_e32 v1, v98, v151
	v_add_nc_u32_e32 v5, 0, v151
	s_delay_alu instid0(VALU_DEP_2)
	v_add_nc_u32_e32 v1, 0x80, v1
	ds_load_2addr_stride64_b32 v[1:2], v1 offset1:11
	ds_load_2addr_b32 v[3:4], v5 offset0:40 offset1:41
	ds_load_b32 v5, v5 offset:2976
	s_wait_dscnt 0x1
	v_fma_mix_f32 v6, v3, v1, 0 op_sel_hi:[0,1,0]
	v_fma_mix_f32 v1, v3, v1, 0 op_sel:[0,1,0] op_sel_hi:[0,1,0]
	s_wait_dscnt 0x0
	s_delay_alu instid0(VALU_DEP_2) | instskip(NEXT) | instid1(VALU_DEP_2)
	v_fma_mix_f32 v3, v5, v2, v6 op_sel_hi:[0,1,0]
	v_fma_mix_f32 v5, v5, v2, v1 op_sel:[0,1,0] op_sel_hi:[0,1,0]
	s_delay_alu instid0(VALU_DEP_2) | instskip(NEXT) | instid1(VALU_DEP_2)
	v_div_scale_f32 v2, null, v4, v4, v3
	v_div_scale_f32 v6, null, v4, v4, v5
	v_div_scale_f32 v10, vcc_lo, v3, v4, v3
	s_delay_alu instid0(VALU_DEP_3) | instskip(NEXT) | instid1(VALU_DEP_2)
	v_rcp_f32_e32 v7, v2
	v_rcp_f32_e32 v8, v6
	v_div_scale_f32 v11, s3, v5, v4, v5
	s_delay_alu instid0(TRANS32_DEP_2) | instskip(NEXT) | instid1(TRANS32_DEP_1)
	v_fma_f32 v1, -v2, v7, 1.0
	v_fma_f32 v9, -v6, v8, 1.0
	s_delay_alu instid0(VALU_DEP_2) | instskip(NEXT) | instid1(VALU_DEP_2)
	v_fmac_f32_e32 v7, v1, v7
	v_fmac_f32_e32 v8, v9, v8
	v_mad_co_u64_u32 v[0:1], null, v0, s25, v[53:54]
	s_delay_alu instid0(VALU_DEP_2) | instskip(NEXT) | instid1(VALU_DEP_2)
	v_dual_mul_f32 v9, v10, v7 :: v_dual_mul_f32 v12, v11, v8
	v_mul_lo_u32 v0, v0, 40
	s_delay_alu instid0(VALU_DEP_2) | instskip(NEXT) | instid1(VALU_DEP_3)
	v_fma_f32 v1, -v2, v9, v10
	v_fma_f32 v13, -v6, v12, v11
	s_delay_alu instid0(VALU_DEP_2) | instskip(NEXT) | instid1(VALU_DEP_2)
	v_fmac_f32_e32 v9, v1, v7
	v_fmac_f32_e32 v12, v13, v8
	v_ashrrev_i32_e32 v1, 31, v0
	v_or_b32_e32 v0, v0, v97
	s_delay_alu instid0(VALU_DEP_4) | instskip(NEXT) | instid1(VALU_DEP_4)
	v_fma_f32 v2, -v2, v9, v10
	v_fma_f32 v6, -v6, v12, v11
	s_delay_alu instid0(VALU_DEP_3) | instskip(SKIP_1) | instid1(VALU_DEP_3)
	v_lshlrev_b64_e32 v[0:1], 3, v[0:1]
	s_wait_alu 0xfffd
	v_div_fmas_f32 v2, v2, v7, v9
	s_mov_b32 vcc_lo, s3
	s_wait_alu 0xfffe
	v_div_fmas_f32 v6, v6, v8, v12
	v_add_co_u32 v0, vcc_lo, s72, v0
	v_div_fixup_f32 v2, v2, v4, v3
	s_wait_alu 0xfffd
	v_add_co_ci_u32_e64 v1, null, s73, v1, vcc_lo
	v_div_fixup_f32 v3, v6, v4, v5
	global_store_b64 v[0:1], v[2:3], off offset:256
	s_branch .LBB9_10
.LBB9_319:
	v_readlane_b32 s50, v255, 8
	v_readlane_b32 s51, v255, 9
	;; [unrolled: 1-line block ×6, first 2 shown]
	s_and_not1_b32 vcc_lo, exec_lo, s3
	s_wait_alu 0xfffe
	s_cbranch_vccnz .LBB9_8
.LBB9_320:
	s_abs_i32 s0, s97
	s_abs_i32 s3, s48
	s_cvt_f32_u32 s1, s0
	s_sub_co_i32 s2, 0, s0
	v_mov_b32_e32 v21, s34
	s_delay_alu instid0(SALU_CYCLE_1) | instskip(NEXT) | instid1(TRANS32_DEP_1)
	v_rcp_iflag_f32_e32 v0, s1
	v_readfirstlane_b32 s1, v0
	s_mul_f32 s1, s1, 0x4f7ffffe
	s_wait_alu 0xfffe
	s_delay_alu instid0(SALU_CYCLE_2) | instskip(SKIP_1) | instid1(SALU_CYCLE_2)
	s_cvt_u32_f32 s1, s1
	s_wait_alu 0xfffe
	s_mul_i32 s2, s2, s1
	s_wait_alu 0xfffe
	s_mul_hi_u32 s2, s1, s2
	s_wait_alu 0xfffe
	s_add_co_i32 s1, s1, s2
	s_xor_b32 s2, s48, s97
	s_wait_alu 0xfffe
	s_mul_hi_u32 s1, s3, s1
	s_ashr_i32 s2, s2, 31
	s_wait_alu 0xfffe
	s_mul_i32 s4, s1, s0
	s_wait_alu 0xfffe
	s_sub_co_i32 s3, s3, s4
	s_add_co_i32 s4, s1, 1
	s_wait_alu 0xfffe
	s_sub_co_i32 s5, s3, s0
	s_cmp_ge_u32 s3, s0
	s_cselect_b32 s1, s4, s1
	s_wait_alu 0xfffe
	s_cselect_b32 s3, s5, s3
	s_add_co_i32 s4, s1, 1
	s_wait_alu 0xfffe
	s_cmp_ge_u32 s3, s0
	s_cselect_b32 s0, s4, s1
	s_abs_i32 s1, s95
	s_wait_alu 0xfffe
	s_xor_b32 s0, s0, s2
	s_cvt_f32_u32 s3, s1
	s_wait_alu 0xfffe
	s_sub_co_i32 s2, s0, s2
	s_sub_co_i32 s0, 0, s1
	s_wait_alu 0xfffe
	s_mul_i32 s4, s2, s97
	v_rcp_iflag_f32_e32 v0, s3
	s_wait_alu 0xfffe
	s_sub_co_i32 s4, s48, s4
	s_wait_alu 0xfffe
	s_abs_i32 s5, s4
	s_delay_alu instid0(TRANS32_DEP_1) | instskip(SKIP_2) | instid1(SALU_CYCLE_2)
	v_readfirstlane_b32 s3, v0
	s_mul_f32 s3, s3, 0x4f7ffffe
	s_wait_alu 0xfffe
	s_cvt_u32_f32 s3, s3
	s_wait_alu 0xfffe
	s_delay_alu instid0(SALU_CYCLE_2)
	s_mul_i32 s0, s0, s3
	s_wait_alu 0xfffe
	s_mul_hi_u32 s0, s3, s0
	s_wait_alu 0xfffe
	s_add_co_i32 s3, s3, s0
	s_wait_alu 0xfffe
	s_mul_hi_u32 s0, s5, s3
	s_xor_b32 s3, s4, s95
	s_wait_alu 0xfffe
	s_mul_i32 s6, s0, s1
	s_ashr_i32 s3, s3, 31
	s_wait_alu 0xfffe
	s_sub_co_i32 s5, s5, s6
	s_add_co_i32 s6, s0, 1
	s_wait_alu 0xfffe
	s_sub_co_i32 s16, s5, s1
	s_cmp_ge_u32 s5, s1
	s_cselect_b32 s0, s6, s0
	s_cselect_b32 s5, s16, s5
	s_wait_alu 0xfffe
	s_add_co_i32 s6, s0, 1
	s_cmp_ge_u32 s5, s1
	s_wait_alu 0xfffe
	s_cselect_b32 s0, s6, s0
	s_abs_i32 s1, s96
	s_wait_alu 0xfffe
	s_xor_b32 s0, s0, s3
	s_cvt_f32_u32 s5, s1
	s_wait_alu 0xfffe
	s_sub_co_i32 s6, s0, s3
	s_sub_co_i32 s0, 0, s1
	s_wait_alu 0xfffe
	s_mul_i32 s3, s6, s95
	v_rcp_iflag_f32_e32 v0, s5
	s_wait_alu 0xfffe
	s_sub_co_i32 s3, s4, s3
	s_wait_alu 0xfffe
	s_abs_i32 s4, s3
	s_delay_alu instid0(TRANS32_DEP_1) | instskip(SKIP_2) | instid1(SALU_CYCLE_2)
	v_readfirstlane_b32 s5, v0
	s_mul_f32 s5, s5, 0x4f7ffffe
	s_wait_alu 0xfffe
	s_cvt_u32_f32 s5, s5
	s_wait_alu 0xfffe
	s_delay_alu instid0(SALU_CYCLE_2)
	s_mul_i32 s0, s0, s5
	s_wait_alu 0xfffe
	s_mul_hi_u32 s0, s5, s0
	s_wait_alu 0xfffe
	s_add_co_i32 s5, s5, s0
	s_wait_alu 0xfffe
	s_mul_hi_u32 s0, s4, s5
	s_xor_b32 s5, s3, s96
	s_wait_alu 0xfffe
	s_mul_i32 s16, s0, s1
	s_ashr_i32 s5, s5, 31
	s_sub_co_i32 s4, s4, s16
	s_add_co_i32 s16, s0, 1
	s_wait_alu 0xfffe
	s_sub_co_i32 s17, s4, s1
	s_cmp_ge_u32 s4, s1
	s_cselect_b32 s0, s16, s0
	s_cselect_b32 s4, s17, s4
	s_wait_alu 0xfffe
	s_add_co_i32 s16, s0, 1
	s_cmp_ge_u32 s4, s1
	s_cselect_b32 s0, s16, s0
	s_wait_alu 0xfffe
	s_xor_b32 s0, s0, s5
	s_wait_alu 0xfffe
	s_sub_co_i32 s0, s0, s5
	s_mov_b32 s5, 0
	s_wait_alu 0xfffe
	s_mul_i32 s1, s0, s96
	s_wait_alu 0xfffe
	s_sub_co_i32 s1, s3, s1
	s_wait_alu 0xfffe
	s_abs_i32 s4, s1
	s_ashr_i32 s1, s1, 31
	s_wait_alu 0xfffe
	s_mul_u64 s[16:17], s[4:5], s[52:53]
	s_xor_b32 s1, s1, s93
	s_mul_i32 s3, s17, s55
	s_wait_alu 0xfffe
	s_sub_co_i32 s3, s4, s3
	s_add_co_i32 s4, s17, 1
	s_wait_alu 0xfffe
	s_sub_co_i32 s16, s3, s55
	s_cmp_ge_u32 s3, s55
	s_cselect_b32 s4, s4, s17
	s_cselect_b32 s3, s16, s3
	s_wait_alu 0xfffe
	s_add_co_i32 s16, s4, 1
	s_cmp_ge_u32 s3, s55
	s_cselect_b32 s3, s16, s4
	s_abs_i32 s20, s58
	s_wait_alu 0xfffe
	s_xor_b32 s3, s3, s1
	s_cvt_f32_u32 s4, s20
	s_wait_alu 0xfffe
	s_sub_co_i32 s1, s3, s1
	s_cmp_eq_u64 s[18:19], 0
	v_rcp_iflag_f32_e32 v0, s4
	s_delay_alu instid0(TRANS32_DEP_1)
	v_readfirstlane_b32 s4, v0
	s_cbranch_scc1 .LBB9_322
; %bb.321:
	s_mul_i32 s3, s2, s42
	v_mov_b32_e32 v0, 0
	s_wait_alu 0xfffe
	s_add_co_i32 s16, s1, s3
	s_delay_alu instid0(SALU_CYCLE_1) | instskip(NEXT) | instid1(SALU_CYCLE_1)
	s_ashr_i32 s17, s16, 31
	s_lshl_b64 s[16:17], s[16:17], 2
	s_delay_alu instid0(SALU_CYCLE_1) | instskip(SKIP_3) | instid1(VALU_DEP_1)
	s_add_nc_u64 s[16:17], s[18:19], s[16:17]
	global_load_b32 v0, v0, s[16:17]
	s_wait_loadcnt 0x0
	v_ashrrev_i32_e32 v1, 31, v0
	v_lshrrev_b32_e32 v1, 27, v1
	s_delay_alu instid0(VALU_DEP_1) | instskip(NEXT) | instid1(VALU_DEP_1)
	v_add_nc_u32_e32 v0, v0, v1
	v_ashrrev_i32_e32 v0, 5, v0
	s_delay_alu instid0(VALU_DEP_1)
	v_min_i32_e32 v21, s34, v0
.LBB9_322:
	v_bfe_u32 v74, v95, 1, 9
	s_lshl_b32 s3, s0, 1
	s_wait_alu 0xfffe
	s_lshl_b32 s18, s1, 3
	v_or_b32_e32 v1, s3, v86
	s_mul_i32 s0, s2, s47
	v_add_nc_u32_e32 v0, s18, v74
	s_wait_alu 0xfffe
	s_ashr_i32 s1, s0, 31
	s_mul_i32 s16, s6, s33
	s_wait_alu 0xfffe
	s_add_nc_u64 s[8:9], s[8:9], s[0:1]
	v_cmp_le_i32_e64 s1, s33, v1
	v_cmp_le_i32_e64 s0, s24, v0
	s_add_co_i32 s16, s3, s16
	v_lshl_add_u32 v73, v52, 2, 0
	s_mul_i32 s16, s16, s46
	s_and_b32 s19, 0xffff, s27
	s_ashr_i32 s17, s16, 31
	s_or_b32 s0, s0, s1
	v_cmp_gt_i32_e32 vcc_lo, s33, v1
	s_wait_alu 0xfffe
	s_and_saveexec_b32 s1, s0
	s_wait_alu 0xfffe
	s_xor_b32 s0, exec_lo, s1
; %bb.323:
	v_mad_u32_u24 v0, 0xb0, v84, v73
	v_mov_b32_e32 v1, 0
	ds_store_b32 v0, v1
                                        ; implicit-def: $vgpr0
; %bb.324:
	s_wait_alu 0xfffe
	s_or_saveexec_b32 s1, s0
	s_add_nc_u64 s[8:9], s[8:9], s[16:17]
	s_mul_i32 s19, s19, 0x10001
	s_wait_alu 0xfffe
	s_xor_b32 exec_lo, exec_lo, s1
	s_cbranch_execz .LBB9_326
; %bb.325:
	v_mul_lo_u32 v0, v0, s35
	v_mul_lo_u32 v1, v86, s51
	s_delay_alu instid0(VALU_DEP_1) | instskip(NEXT) | instid1(VALU_DEP_1)
	v_add3_u32 v0, v1, v52, v0
	v_ashrrev_i32_e32 v1, 31, v0
	s_delay_alu instid0(VALU_DEP_1) | instskip(NEXT) | instid1(VALU_DEP_1)
	v_lshlrev_b64_e32 v[0:1], 3, v[0:1]
	v_add_co_u32 v0, s0, s8, v0
	s_wait_alu 0xf1ff
	s_delay_alu instid0(VALU_DEP_2) | instskip(SKIP_4) | instid1(VALU_DEP_1)
	v_add_co_ci_u32_e64 v1, null, s9, v1, s0
	global_load_b64 v[0:1], v[0:1], off
	s_wait_loadcnt 0x0
	v_cvt_f16_f32_e32 v0, v0
	v_cvt_f16_f32_e32 v1, v1
	v_pack_b32_f16 v0, v0, v1
	v_mad_u32_u24 v1, 0xb0, v84, v73
	s_delay_alu instid0(VALU_DEP_2)
	v_pk_mul_f16 v0, v0, s19
	ds_store_b32 v1, v0
.LBB9_326:
	s_or_b32 exec_lo, exec_lo, s1
	v_lshrrev_b32_e32 v0, 1, v94
	s_xor_b32 s1, vcc_lo, -1
	s_delay_alu instid0(VALU_DEP_1) | instskip(NEXT) | instid1(VALU_DEP_1)
	v_add_nc_u32_e32 v0, s18, v0
	v_cmp_le_i32_e64 s0, s24, v0
	s_wait_alu 0xfffe
	s_or_b32 s0, s0, s1
	s_wait_alu 0xfffe
	s_and_saveexec_b32 s16, s0
	s_delay_alu instid0(SALU_CYCLE_1)
	s_xor_b32 s0, exec_lo, s16
; %bb.327:
	v_mad_u32_u24 v0, 0xb0, v94, v73
	v_mov_b32_e32 v1, 0
                                        ; implicit-def: $vgpr94
	ds_store_b32 v0, v1
                                        ; implicit-def: $vgpr0
; %bb.328:
	s_wait_alu 0xfffe
	s_and_not1_saveexec_b32 s0, s0
	s_cbranch_execz .LBB9_330
; %bb.329:
	v_mul_lo_u32 v0, v0, s35
	v_mul_lo_u32 v1, v86, s51
	s_delay_alu instid0(VALU_DEP_1) | instskip(NEXT) | instid1(VALU_DEP_1)
	v_add3_u32 v0, v1, v52, v0
	v_ashrrev_i32_e32 v1, 31, v0
	s_delay_alu instid0(VALU_DEP_1) | instskip(NEXT) | instid1(VALU_DEP_1)
	v_lshlrev_b64_e32 v[0:1], 3, v[0:1]
	v_add_co_u32 v0, vcc_lo, s8, v0
	s_wait_alu 0xfffd
	s_delay_alu instid0(VALU_DEP_2) | instskip(SKIP_4) | instid1(VALU_DEP_1)
	v_add_co_ci_u32_e64 v1, null, s9, v1, vcc_lo
	global_load_b64 v[0:1], v[0:1], off
	s_wait_loadcnt 0x0
	v_cvt_f16_f32_e32 v0, v0
	v_cvt_f16_f32_e32 v1, v1
	v_pack_b32_f16 v0, v0, v1
	v_mad_u32_u24 v1, 0xb0, v94, v73
	s_delay_alu instid0(VALU_DEP_2)
	v_pk_mul_f16 v0, v0, s19
	ds_store_b32 v1, v0
.LBB9_330:
	s_wait_alu 0xfffe
	s_or_b32 exec_lo, exec_lo, s0
	v_lshrrev_b32_e32 v0, 1, v93
	s_delay_alu instid0(VALU_DEP_1) | instskip(NEXT) | instid1(VALU_DEP_1)
	v_add_nc_u32_e32 v0, s18, v0
	v_cmp_le_i32_e32 vcc_lo, s24, v0
	s_or_b32 s0, vcc_lo, s1
	s_wait_alu 0xfffe
	s_and_saveexec_b32 s16, s0
	s_delay_alu instid0(SALU_CYCLE_1)
	s_xor_b32 s0, exec_lo, s16
; %bb.331:
	v_mad_u32_u24 v0, 0xb0, v93, v73
	v_mov_b32_e32 v1, 0
                                        ; implicit-def: $vgpr93
	ds_store_b32 v0, v1
                                        ; implicit-def: $vgpr0
; %bb.332:
	s_wait_alu 0xfffe
	s_and_not1_saveexec_b32 s0, s0
	s_cbranch_execz .LBB9_334
; %bb.333:
	v_mul_lo_u32 v0, v0, s35
	v_mul_lo_u32 v1, v86, s51
	s_delay_alu instid0(VALU_DEP_1) | instskip(NEXT) | instid1(VALU_DEP_1)
	v_add3_u32 v0, v1, v52, v0
	v_ashrrev_i32_e32 v1, 31, v0
	s_delay_alu instid0(VALU_DEP_1) | instskip(NEXT) | instid1(VALU_DEP_1)
	v_lshlrev_b64_e32 v[0:1], 3, v[0:1]
	v_add_co_u32 v0, vcc_lo, s8, v0
	s_wait_alu 0xfffd
	s_delay_alu instid0(VALU_DEP_2) | instskip(SKIP_4) | instid1(VALU_DEP_1)
	v_add_co_ci_u32_e64 v1, null, s9, v1, vcc_lo
	global_load_b64 v[0:1], v[0:1], off
	s_wait_loadcnt 0x0
	v_cvt_f16_f32_e32 v0, v0
	v_cvt_f16_f32_e32 v1, v1
	v_pack_b32_f16 v0, v0, v1
	v_mad_u32_u24 v1, 0xb0, v93, v73
	s_delay_alu instid0(VALU_DEP_2)
	v_pk_mul_f16 v0, v0, s19
	ds_store_b32 v1, v0
.LBB9_334:
	s_wait_alu 0xfffe
	s_or_b32 exec_lo, exec_lo, s0
	v_lshrrev_b32_e32 v0, 1, v92
	s_delay_alu instid0(VALU_DEP_1) | instskip(NEXT) | instid1(VALU_DEP_1)
	v_add_nc_u32_e32 v0, s18, v0
	v_cmp_le_i32_e32 vcc_lo, s24, v0
	s_or_b32 s0, vcc_lo, s1
	s_wait_alu 0xfffe
	s_and_saveexec_b32 s16, s0
	s_delay_alu instid0(SALU_CYCLE_1)
	s_xor_b32 s0, exec_lo, s16
; %bb.335:
	v_mad_u32_u24 v0, 0xb0, v92, v73
	v_mov_b32_e32 v1, 0
                                        ; implicit-def: $vgpr92
	ds_store_b32 v0, v1
                                        ; implicit-def: $vgpr0
; %bb.336:
	s_wait_alu 0xfffe
	s_and_not1_saveexec_b32 s0, s0
	s_cbranch_execz .LBB9_338
; %bb.337:
	v_mul_lo_u32 v0, v0, s35
	v_mul_lo_u32 v1, v86, s51
	s_delay_alu instid0(VALU_DEP_1) | instskip(NEXT) | instid1(VALU_DEP_1)
	v_add3_u32 v0, v1, v52, v0
	v_ashrrev_i32_e32 v1, 31, v0
	s_delay_alu instid0(VALU_DEP_1) | instskip(NEXT) | instid1(VALU_DEP_1)
	v_lshlrev_b64_e32 v[0:1], 3, v[0:1]
	v_add_co_u32 v0, vcc_lo, s8, v0
	s_wait_alu 0xfffd
	s_delay_alu instid0(VALU_DEP_2) | instskip(SKIP_4) | instid1(VALU_DEP_1)
	v_add_co_ci_u32_e64 v1, null, s9, v1, vcc_lo
	global_load_b64 v[0:1], v[0:1], off
	s_wait_loadcnt 0x0
	v_cvt_f16_f32_e32 v0, v0
	v_cvt_f16_f32_e32 v1, v1
	v_pack_b32_f16 v0, v0, v1
	v_mad_u32_u24 v1, 0xb0, v92, v73
	s_delay_alu instid0(VALU_DEP_2)
	v_pk_mul_f16 v0, v0, s19
	ds_store_b32 v1, v0
.LBB9_338:
	s_wait_alu 0xfffe
	s_or_b32 exec_lo, exec_lo, s0
	v_lshrrev_b32_e32 v0, 1, v91
	s_delay_alu instid0(VALU_DEP_1) | instskip(NEXT) | instid1(VALU_DEP_1)
	v_add_nc_u32_e32 v0, s18, v0
	v_cmp_le_i32_e32 vcc_lo, s24, v0
	s_or_b32 s0, vcc_lo, s1
	s_wait_alu 0xfffe
	s_and_saveexec_b32 s16, s0
	s_delay_alu instid0(SALU_CYCLE_1)
	s_xor_b32 s0, exec_lo, s16
; %bb.339:
	v_mad_u32_u24 v0, 0xb0, v91, v73
	v_mov_b32_e32 v1, 0
                                        ; implicit-def: $vgpr91
	ds_store_b32 v0, v1
                                        ; implicit-def: $vgpr0
; %bb.340:
	s_wait_alu 0xfffe
	s_and_not1_saveexec_b32 s0, s0
	s_cbranch_execz .LBB9_342
; %bb.341:
	v_mul_lo_u32 v0, v0, s35
	v_mul_lo_u32 v1, v86, s51
	s_delay_alu instid0(VALU_DEP_1) | instskip(NEXT) | instid1(VALU_DEP_1)
	v_add3_u32 v0, v1, v52, v0
	v_ashrrev_i32_e32 v1, 31, v0
	s_delay_alu instid0(VALU_DEP_1) | instskip(NEXT) | instid1(VALU_DEP_1)
	v_lshlrev_b64_e32 v[0:1], 3, v[0:1]
	v_add_co_u32 v0, vcc_lo, s8, v0
	s_wait_alu 0xfffd
	s_delay_alu instid0(VALU_DEP_2) | instskip(SKIP_4) | instid1(VALU_DEP_1)
	v_add_co_ci_u32_e64 v1, null, s9, v1, vcc_lo
	global_load_b64 v[0:1], v[0:1], off
	s_wait_loadcnt 0x0
	v_cvt_f16_f32_e32 v0, v0
	v_cvt_f16_f32_e32 v1, v1
	v_pack_b32_f16 v0, v0, v1
	v_mad_u32_u24 v1, 0xb0, v91, v73
	s_delay_alu instid0(VALU_DEP_2)
	v_pk_mul_f16 v0, v0, s19
	ds_store_b32 v1, v0
.LBB9_342:
	s_wait_alu 0xfffe
	s_or_b32 exec_lo, exec_lo, s0
	v_lshrrev_b32_e32 v0, 1, v90
	s_delay_alu instid0(VALU_DEP_1) | instskip(NEXT) | instid1(VALU_DEP_1)
	v_add_nc_u32_e32 v0, s18, v0
	v_cmp_le_i32_e32 vcc_lo, s24, v0
	s_or_b32 s0, vcc_lo, s1
	s_wait_alu 0xfffe
	s_and_saveexec_b32 s16, s0
	s_delay_alu instid0(SALU_CYCLE_1)
	s_xor_b32 s0, exec_lo, s16
; %bb.343:
	v_mad_u32_u24 v0, 0xb0, v90, v73
	v_mov_b32_e32 v1, 0
                                        ; implicit-def: $vgpr90
	ds_store_b32 v0, v1
                                        ; implicit-def: $vgpr0
; %bb.344:
	s_wait_alu 0xfffe
	s_and_not1_saveexec_b32 s0, s0
	s_cbranch_execz .LBB9_346
; %bb.345:
	v_mul_lo_u32 v0, v0, s35
	v_mul_lo_u32 v1, v86, s51
	s_delay_alu instid0(VALU_DEP_1) | instskip(NEXT) | instid1(VALU_DEP_1)
	v_add3_u32 v0, v1, v52, v0
	v_ashrrev_i32_e32 v1, 31, v0
	s_delay_alu instid0(VALU_DEP_1) | instskip(NEXT) | instid1(VALU_DEP_1)
	v_lshlrev_b64_e32 v[0:1], 3, v[0:1]
	v_add_co_u32 v0, vcc_lo, s8, v0
	s_wait_alu 0xfffd
	s_delay_alu instid0(VALU_DEP_2) | instskip(SKIP_4) | instid1(VALU_DEP_1)
	v_add_co_ci_u32_e64 v1, null, s9, v1, vcc_lo
	global_load_b64 v[0:1], v[0:1], off
	s_wait_loadcnt 0x0
	v_cvt_f16_f32_e32 v0, v0
	v_cvt_f16_f32_e32 v1, v1
	v_pack_b32_f16 v0, v0, v1
	v_mad_u32_u24 v1, 0xb0, v90, v73
	s_delay_alu instid0(VALU_DEP_2)
	v_pk_mul_f16 v0, v0, s19
	ds_store_b32 v1, v0
.LBB9_346:
	s_wait_alu 0xfffe
	s_or_b32 exec_lo, exec_lo, s0
	v_lshrrev_b32_e32 v0, 1, v89
	s_delay_alu instid0(VALU_DEP_1) | instskip(NEXT) | instid1(VALU_DEP_1)
	v_add_nc_u32_e32 v0, s18, v0
	v_cmp_le_i32_e32 vcc_lo, s24, v0
	s_or_b32 s0, vcc_lo, s1
	s_wait_alu 0xfffe
	s_and_saveexec_b32 s16, s0
	s_delay_alu instid0(SALU_CYCLE_1)
	s_xor_b32 s0, exec_lo, s16
; %bb.347:
	v_mad_u32_u24 v0, 0xb0, v89, v73
	v_mov_b32_e32 v1, 0
                                        ; implicit-def: $vgpr89
	ds_store_b32 v0, v1
                                        ; implicit-def: $vgpr0
; %bb.348:
	s_wait_alu 0xfffe
	s_or_saveexec_b32 s16, s0
	s_mul_f32 s0, s4, 0x4f7ffffe
	s_xor_b32 exec_lo, exec_lo, s16
	s_cbranch_execz .LBB9_350
; %bb.349:
	v_mul_lo_u32 v0, v0, s35
	v_mul_lo_u32 v1, v86, s51
	s_delay_alu instid0(VALU_DEP_1) | instskip(NEXT) | instid1(VALU_DEP_1)
	v_add3_u32 v0, v1, v52, v0
	v_ashrrev_i32_e32 v1, 31, v0
	s_delay_alu instid0(VALU_DEP_1) | instskip(NEXT) | instid1(VALU_DEP_1)
	v_lshlrev_b64_e32 v[0:1], 3, v[0:1]
	v_add_co_u32 v0, vcc_lo, s8, v0
	s_wait_alu 0xfffd
	s_delay_alu instid0(VALU_DEP_2) | instskip(SKIP_4) | instid1(VALU_DEP_1)
	v_add_co_ci_u32_e64 v1, null, s9, v1, vcc_lo
	global_load_b64 v[0:1], v[0:1], off
	s_wait_loadcnt 0x0
	v_cvt_f16_f32_e32 v0, v0
	v_cvt_f16_f32_e32 v1, v1
	v_pack_b32_f16 v0, v0, v1
	v_mad_u32_u24 v1, 0xb0, v89, v73
	s_delay_alu instid0(VALU_DEP_2)
	v_pk_mul_f16 v0, v0, s19
	ds_store_b32 v1, v0
.LBB9_350:
	s_or_b32 exec_lo, exec_lo, s16
	v_lshrrev_b32_e32 v0, 1, v88
	s_wait_alu 0xfffe
	s_cvt_u32_f32 s16, s0
	s_sub_co_i32 s4, 0, s20
	s_delay_alu instid0(VALU_DEP_1) | instskip(NEXT) | instid1(VALU_DEP_1)
	v_add_nc_u32_e32 v0, s18, v0
	v_cmp_le_i32_e32 vcc_lo, s24, v0
	s_or_b32 s0, vcc_lo, s1
	s_wait_alu 0xfffe
	s_and_saveexec_b32 s1, s0
	s_wait_alu 0xfffe
	s_xor_b32 s0, exec_lo, s1
; %bb.351:
	v_mad_u32_u24 v0, 0xb0, v88, v73
	v_mov_b32_e32 v1, 0
                                        ; implicit-def: $vgpr88
	ds_store_b32 v0, v1
                                        ; implicit-def: $vgpr0
; %bb.352:
	s_wait_alu 0xfffe
	s_or_saveexec_b32 s0, s0
	s_mul_i32 s4, s4, s16
	s_wait_alu 0xfffe
	s_xor_b32 exec_lo, exec_lo, s0
	s_cbranch_execz .LBB9_354
; %bb.353:
	v_mul_lo_u32 v0, v0, s35
	v_mul_lo_u32 v1, v86, s51
	s_delay_alu instid0(VALU_DEP_1) | instskip(NEXT) | instid1(VALU_DEP_1)
	v_add3_u32 v0, v1, v52, v0
	v_ashrrev_i32_e32 v1, 31, v0
	s_delay_alu instid0(VALU_DEP_1) | instskip(NEXT) | instid1(VALU_DEP_1)
	v_lshlrev_b64_e32 v[0:1], 3, v[0:1]
	v_add_co_u32 v0, vcc_lo, s8, v0
	s_wait_alu 0xfffd
	s_delay_alu instid0(VALU_DEP_2) | instskip(SKIP_4) | instid1(VALU_DEP_1)
	v_add_co_ci_u32_e64 v1, null, s9, v1, vcc_lo
	global_load_b64 v[0:1], v[0:1], off
	s_wait_loadcnt 0x0
	v_cvt_f16_f32_e32 v0, v0
	v_cvt_f16_f32_e32 v1, v1
	v_pack_b32_f16 v0, v0, v1
	v_mad_u32_u24 v1, 0xb0, v88, v73
	s_delay_alu instid0(VALU_DEP_2)
	v_pk_mul_f16 v0, v0, s19
	ds_store_b32 v1, v0
.LBB9_354:
	s_or_b32 exec_lo, exec_lo, s0
	v_lshrrev_b32_e32 v77, 3, v52
	v_and_b32_e32 v75, 7, v52
	s_delay_alu instid0(VALU_DEP_2) | instskip(SKIP_3) | instid1(VALU_DEP_4)
	v_xor_b32_e32 v0, v87, v77
	v_and_b32_e32 v1, v87, v77
	v_and_b32_e32 v2, 1, v77
	v_add_nc_u32_e32 v20, v87, v77
	v_lshrrev_b16 v0, 1, v0
	s_delay_alu instid0(VALU_DEP_3) | instskip(SKIP_1) | instid1(VALU_DEP_2)
	v_or_b32_e32 v3, s3, v2
	s_mul_hi_u32 s3, s16, s4
	v_add_nc_u16 v0, v1, v0
	s_delay_alu instid0(VALU_DEP_2) | instskip(SKIP_1) | instid1(VALU_DEP_3)
	v_cmp_le_i32_e64 s0, s33, v3
	v_cmp_gt_i32_e32 vcc_lo, s33, v3
	v_and_b32_e32 v0, 0xffff, v0
	s_delay_alu instid0(VALU_DEP_1) | instskip(SKIP_1) | instid1(VALU_DEP_2)
	v_add_nc_u32_e32 v1, s18, v0
	v_mul_lo_u32 v0, s51, v2
	v_cmp_le_i32_e64 s1, s24, v1
	s_or_b32 s0, s1, s0
	s_wait_alu 0xfffe
	s_and_saveexec_b32 s1, s0
	s_wait_alu 0xfffe
	s_xor_b32 s0, exec_lo, s1
	s_cbranch_execz .LBB9_356
; %bb.355:
	v_mul_u32_u24_e32 v1, 0xb0, v20
	v_lshlrev_b32_e32 v2, 2, v75
	s_delay_alu instid0(VALU_DEP_1)
	v_add3_u32 v1, 0, v1, v2
	v_mov_b32_e32 v2, 0
	ds_store_b32 v1, v2 offset:128
                                        ; implicit-def: $vgpr1
.LBB9_356:
	s_wait_alu 0xfffe
	s_or_saveexec_b32 s1, s0
	v_add3_u32 v0, v0, v75, 32
	v_lshl_add_u32 v76, v75, 2, 0
	s_abs_i32 s4, s2
	s_add_co_i32 s16, s16, s3
	s_wait_alu 0xfffe
	s_xor_b32 exec_lo, exec_lo, s1
	s_cbranch_execz .LBB9_358
; %bb.357:
	v_mad_co_u64_u32 v[1:2], null, v1, s35, v[0:1]
	s_delay_alu instid0(VALU_DEP_1) | instskip(NEXT) | instid1(VALU_DEP_1)
	v_ashrrev_i32_e32 v2, 31, v1
	v_lshlrev_b64_e32 v[1:2], 3, v[1:2]
	s_delay_alu instid0(VALU_DEP_1) | instskip(SKIP_1) | instid1(VALU_DEP_2)
	v_add_co_u32 v1, s0, s8, v1
	s_wait_alu 0xf1ff
	v_add_co_ci_u32_e64 v2, null, s9, v2, s0
	global_load_b64 v[1:2], v[1:2], off
	s_wait_loadcnt 0x0
	v_cvt_f16_f32_e32 v1, v1
	v_cvt_f16_f32_e32 v2, v2
	s_delay_alu instid0(VALU_DEP_1) | instskip(SKIP_1) | instid1(VALU_DEP_2)
	v_pack_b32_f16 v1, v1, v2
	v_mad_u32_u24 v2, 0xb0, v20, v76
	v_pk_mul_f16 v1, v1, s19
	ds_store_b32 v2, v1 offset:128
.LBB9_358:
	s_or_b32 exec_lo, exec_lo, s1
	v_add_nc_u32_e32 v1, 8, v20
	s_xor_b32 s1, vcc_lo, -1
	s_mov_b32 s17, s5
	s_delay_alu instid0(VALU_DEP_1) | instskip(NEXT) | instid1(VALU_DEP_1)
	v_lshrrev_b32_e32 v2, 1, v1
	v_add_nc_u32_e32 v2, s18, v2
	s_delay_alu instid0(VALU_DEP_1)
	v_cmp_le_i32_e64 s0, s24, v2
	s_wait_alu 0xfffe
	s_or_b32 s0, s0, s1
	s_wait_alu 0xfffe
	s_and_saveexec_b32 s1, s0
	s_wait_alu 0xfffe
	s_xor_b32 s0, exec_lo, s1
	s_cbranch_execz .LBB9_360
; %bb.359:
	v_mul_u32_u24_e32 v0, 0xb0, v1
	v_lshlrev_b32_e32 v1, 2, v75
                                        ; implicit-def: $vgpr2
	s_delay_alu instid0(VALU_DEP_1)
	v_add3_u32 v0, 0, v0, v1
	v_mov_b32_e32 v1, 0
	ds_store_b32 v0, v1 offset:128
                                        ; implicit-def: $vgpr0
                                        ; implicit-def: $vgpr1
.LBB9_360:
	s_wait_alu 0xfffe
	s_or_saveexec_b32 s21, s0
	s_mul_u64 s[0:1], s[4:5], s[16:17]
	s_ashr_i32 s3, s2, 31
	s_xor_b32 exec_lo, exec_lo, s21
	s_cbranch_execz .LBB9_362
; %bb.361:
	v_mad_co_u64_u32 v[2:3], null, v2, s35, v[0:1]
	v_mad_u32_u24 v1, 0xb0, v1, v76
	s_delay_alu instid0(VALU_DEP_2) | instskip(NEXT) | instid1(VALU_DEP_1)
	v_ashrrev_i32_e32 v3, 31, v2
	v_lshlrev_b64_e32 v[2:3], 3, v[2:3]
	s_delay_alu instid0(VALU_DEP_1) | instskip(SKIP_1) | instid1(VALU_DEP_2)
	v_add_co_u32 v2, vcc_lo, s8, v2
	s_wait_alu 0xfffd
	v_add_co_ci_u32_e64 v3, null, s9, v3, vcc_lo
	global_load_b64 v[2:3], v[2:3], off
	s_wait_loadcnt 0x0
	v_cvt_f16_f32_e32 v0, v2
	v_cvt_f16_f32_e32 v2, v3
	s_delay_alu instid0(VALU_DEP_1) | instskip(NEXT) | instid1(VALU_DEP_1)
	v_pack_b32_f16 v0, v0, v2
	v_pk_mul_f16 v0, v0, s19
	ds_store_b32 v1, v0 offset:128
.LBB9_362:
	s_or_b32 exec_lo, exec_lo, s21
	v_lshrrev_b32_e32 v22, 2, v52
	v_dual_mov_b32 v96, 0 :: v_dual_and_b32 v23, 0x1ff0, v85
	v_and_b32_e32 v78, 15, v52
	v_readlane_b32 s8, v255, 2
	s_delay_alu instid0(VALU_DEP_4) | instskip(NEXT) | instid1(VALU_DEP_4)
	v_and_b32_e32 v0, 0xfc, v22
	v_mad_u32_u24 v1, 0xb0, v23, 0
	v_readlane_b32 s9, v255, 3
	v_mul_u32_u24_e32 v81, 0xb0, v78
	s_wait_loadcnt_dscnt 0x0
	v_lshlrev_b32_e32 v79, 2, v0
	s_barrier_signal -1
	s_barrier_wait -1
	global_inv scope:SCOPE_SE
	s_wait_alu 0xfffe
	s_mul_i32 s1, s1, s20
	v_add3_u32 v0, v1, v81, v79
	s_mul_i32 s0, s6, s9
	s_wait_alu 0xfffe
	s_sub_co_i32 s4, s4, s1
	s_ashr_i32 s1, s0, 31
	s_wait_alu 0xfffe
	s_sub_co_i32 s5, s4, s20
	ds_load_b128 v[8:11], v0
	ds_load_b128 v[12:15], v0 offset:32
	ds_load_b128 v[16:19], v0 offset:64
	;; [unrolled: 1-line block ×4, first 2 shown]
	v_readlane_b32 s28, v255, 4
	s_cmp_ge_u32 s4, s20
	v_readlane_b32 s29, v255, 5
	s_wait_alu 0xfffe
	s_cselect_b32 s4, s5, s4
	v_add_nc_u32_e32 v106, -1, v21
	s_wait_alu 0xfffe
	s_sub_co_i32 s5, s4, s20
	s_cmp_ge_u32 s4, s20
	s_mul_u64 s[8:9], s[28:29], s[2:3]
	s_wait_alu 0xfffe
	s_cselect_b32 s4, s5, s4
	s_add_nc_u64 s[8:9], s[10:11], s[8:9]
	v_readlane_b32 s10, v255, 0
	v_lshrrev_b32_e32 v21, 4, v52
	v_lshlrev_b32_e32 v24, 1, v52
	v_readlane_b32 s31, v255, 7
	v_readlane_b32 s11, v255, 1
	s_wait_alu 0xfffe
	s_xor_b32 s4, s4, s3
	v_cmp_lt_i32_e32 vcc_lo, s67, v106
	s_wait_alu 0xfffe
	s_sub_co_i32 s4, s4, s3
	v_add_nc_u32_e32 v21, v21, v83
	v_and_b32_e32 v24, 30, v24
	s_wait_alu 0xfffe
	s_ashr_i32 s5, s4, 31
	s_mul_u64 s[10:11], s[10:11], s[2:3]
	s_mul_i32 s2, s6, s31
	s_wait_alu 0xfffe
	s_mul_u64 s[4:5], s[44:45], s[4:5]
	s_add_nc_u64 s[6:7], s[12:13], s[10:11]
	s_ashr_i32 s3, s2, 31
	s_and_b32 vcc_lo, exec_lo, vcc_lo
	s_mov_b32 s10, -1
	v_readlane_b32 s30, v255, 6
	s_wait_loadcnt_dscnt 0x0
	s_barrier_signal -1
	s_barrier_wait -1
	global_inv scope:SCOPE_SE
	s_wait_alu 0xfffe
	s_cbranch_vccnz .LBB9_366
; %bb.363:
	v_dual_mov_b32 v82, 32 :: v_dual_add_nc_u32 v25, s18, v21
	v_dual_mov_b32 v41, 0 :: v_dual_lshlrev_b32 v80, 4, v84
	v_lshrrev_b32_e32 v27, 1, v52
	s_delay_alu instid0(VALU_DEP_3)
	v_add_nc_u32_e32 v26, 4, v25
	v_mul_hi_u32 v29, s38, v25
	s_ashr_i32 s27, s26, 31
	v_mov_b32_e32 v43, v41
	s_ashr_i32 s37, s36, 31
	v_mul_hi_u32 v30, s38, v26
	s_wait_alu 0xfffe
	v_dual_mov_b32 v72, s27 :: v_dual_add_nc_u32 v31, v27, v80
	v_lshlrev_b32_e32 v28, 2, v52
	v_dual_mov_b32 v70, s37 :: v_dual_add_nc_u32 v29, v25, v29
	v_mov_b32_e32 v69, s36
	v_mul_lo_u32 v55, s26, v20
	v_dual_mov_b32 v71, s26 :: v_dual_add_nc_u32 v30, v26, v30
	s_delay_alu instid0(VALU_DEP_4) | instskip(SKIP_2) | instid1(VALU_DEP_4)
	v_lshrrev_b32_e32 v29, s39, v29
	v_and_or_b32 v40, v28, 4, 32
	v_and_b32_e32 v42, 28, v28
	v_lshrrev_b32_e32 v30, s39, v30
	v_mul_lo_u32 v44, s36, v20
	v_mul_lo_u32 v28, v29, s24
	s_movk_i32 s10, 0x140
	s_lshl_b32 s12, s26, 3
	v_mul_lo_u32 v29, v30, s24
	s_wait_alu 0xfffe
	v_mad_u32_u24 v89, 0x50, v21, s10
	s_movk_i32 s10, 0x1080
	v_add_nc_u32_e32 v57, s12, v55
	s_wait_alu 0xfffe
	v_mad_u32_u24 v98, 0xb0, v20, s10
	v_sub_nc_u32_e32 v25, v25, v28
	s_lshl_b32 s10, s36, 3
	v_mul_lo_u32 v59, s26, v31
	v_sub_nc_u32_e32 v26, v26, v29
	s_wait_alu 0xfffe
	v_add_nc_u32_e32 v46, s10, v44
	v_mad_co_i64_i32 v[63:64], null, v25, s40, 0
	v_and_b32_e32 v25, 16, v80
	v_mad_co_i64_i32 v[65:66], null, v26, s40, 0
	v_and_b32_e32 v26, 0x1f8, v27
	v_and_or_b32 v27, v52, 14, v23
	s_delay_alu instid0(VALU_DEP_4)
	v_mul_u32_u24_e32 v103, 0xb0, v25
	v_add_nc_u32_e32 v61, s12, v57
	v_add_nc_u32_e32 v50, s10, v46
	v_add_nc_u16 v26, v25, v26
	v_lshrrev_b32_e32 v25, 1, v27
	v_mul_lo_u32 v48, s36, v31
	v_add_nc_u32_e32 v67, s12, v61
	v_mbcnt_lo_u32_b32 v94, -1, 0
	v_lshrrev_b16 v26, 1, v26
	v_mul_u32_u24_e32 v99, 0x50, v25
	v_lshlrev_b32_e32 v25, 1, v22
	v_add_nc_u32_e32 v53, s10, v50
	s_movk_i32 s11, 0x580
	v_and_b32_e32 v97, 0xffff, v26
	s_movk_i32 s13, 0xb00
	v_and_b32_e32 v26, 0x1f8, v25
	v_or_b32_e32 v27, 6, v25
	v_or_b32_e32 v25, 7, v25
	v_mul_u32_u24_e32 v87, 0x50, v21
	v_mul_u32_u24_e32 v88, 0xb0, v20
	s_wait_alu 0xfffe
	v_mad_u32_u24 v91, 0xb0, v20, s11
	v_ashrrev_i32_e32 v56, 31, v55
	v_mul_u32_u24_e32 v90, 0xb0, v31
	v_ashrrev_i32_e32 v58, 31, v57
	v_ashrrev_i32_e32 v60, 31, v59
	v_mad_u32_u24 v93, 0xb0, v20, s13
	v_ashrrev_i32_e32 v62, 31, v61
	v_ashrrev_i32_e32 v68, 31, v67
	v_xor_b32_e32 v95, 16, v94
	v_ashrrev_i32_e32 v49, 31, v48
	v_ashrrev_i32_e32 v45, 31, v44
	;; [unrolled: 1-line block ×5, first 2 shown]
	v_mul_u32_u24_e32 v102, 0xb0, v26
	v_mul_u32_u24_e32 v100, 0xb0, v27
	;; [unrolled: 1-line block ×3, first 2 shown]
	s_mov_b32 s10, 0
	s_branch .LBB9_367
.LBB9_364:
                                        ; implicit-def: $sgpr48_sgpr49
	s_load_b64 s[46:47], s[0:1], 0x74
	v_cvt_f32_u32_e32 v1, s50
	s_branch .LBB9_2
.LBB9_365:
                                        ; implicit-def: $sgpr54_sgpr55
	s_load_b64 s[38:39], s[0:1], 0x5c
	s_branch .LBB9_5
.LBB9_366:
                                        ; implicit-def: $vgpr87
                                        ; implicit-def: $vgpr63_vgpr64
                                        ; implicit-def: $vgpr89
                                        ; implicit-def: $vgpr65_vgpr66
                                        ; implicit-def: $vgpr71_vgpr72
                                        ; implicit-def: $vgpr80
                                        ; implicit-def: $vgpr90
                                        ; implicit-def: $vgpr59_vgpr60
                                        ; implicit-def: $vgpr40
                                        ; implicit-def: $vgpr88
                                        ; implicit-def: $vgpr42
                                        ; implicit-def: $vgpr55_vgpr56
                                        ; implicit-def: $vgpr91
                                        ; implicit-def: $vgpr57_vgpr58
                                        ; implicit-def: $vgpr93
                                        ; implicit-def: $vgpr61_vgpr62
                                        ; implicit-def: $vgpr98
                                        ; implicit-def: $vgpr67_vgpr68
                                        ; implicit-def: $vgpr103
                                        ; implicit-def: $vgpr99
                                        ; implicit-def: $vgpr97
                                        ; implicit-def: $vgpr94
                                        ; implicit-def: $vgpr95
                                        ; implicit-def: $vgpr82
                                        ; implicit-def: $vgpr69_vgpr70
                                        ; implicit-def: $vgpr48_vgpr49
                                        ; implicit-def: $vgpr44_vgpr45
                                        ; implicit-def: $vgpr46_vgpr47
                                        ; implicit-def: $vgpr50_vgpr51
                                        ; implicit-def: $vgpr53_vgpr54
                                        ; implicit-def: $vgpr102
                                        ; implicit-def: $vgpr100
                                        ; implicit-def: $vgpr101
.LBB9_367:
	v_lshlrev_b32_e32 v104, 1, v24
	v_lshlrev_b32_e32 v92, 1, v78
	s_add_nc_u64 s[12:13], s[8:9], s[0:1]
	s_add_nc_u64 s[14:15], s[14:15], s[4:5]
	s_wait_alu 0xfffe
	s_and_not1_b32 vcc_lo, exec_lo, s10
	s_add_nc_u64 s[10:11], s[6:7], s[2:3]
	s_wait_alu 0xfffe
	s_cbranch_vccnz .LBB9_371
; %bb.368:
	v_dual_mov_b32 v41, 0 :: v_dual_add_nc_u32 v24, s18, v21
	v_dual_mov_b32 v105, 0xfeffffff :: v_dual_lshlrev_b32 v30, 2, v52
	v_mul_u32_u24_e32 v88, 0xb0, v20
	s_delay_alu instid0(VALU_DEP_3) | instskip(SKIP_1) | instid1(VALU_DEP_4)
	v_dual_mov_b32 v43, v41 :: v_dual_add_nc_u32 v26, 4, v24
	v_mul_hi_u32 v27, s38, v24
	v_dual_mov_b32 v35, v41 :: v_dual_and_b32 v42, 28, v30
	s_delay_alu instid0(VALU_DEP_3) | instskip(SKIP_1) | instid1(VALU_DEP_3)
	v_mul_hi_u32 v28, s38, v26
	v_add_co_u32 v69, s0, s14, v104
	v_dual_mov_b32 v34, v41 :: v_dual_lshlrev_b32 v33, 2, v42
	v_dual_mov_b32 v96, v41 :: v_dual_add_nc_u32 v27, v24, v27
	s_wait_alu 0xf1ff
	v_add_co_ci_u32_e64 v70, null, s15, 0, s0
	v_add_nc_u32_e32 v28, v26, v28
	s_movk_i32 s0, 0x140
	v_mul_u32_u24_e32 v87, 0x50, v21
	s_wait_alu 0xfffe
	v_mad_u32_u24 v89, 0x50, v21, s0
	v_lshrrev_b32_e32 v21, s39, v27
	v_add3_u32 v72, 0, v88, v33
	v_mov_b32_e32 v33, v41
	v_lshrrev_b32_e32 v28, s39, v28
	v_mbcnt_lo_u32_b32 v94, -1, 0
	v_mul_lo_u32 v21, v21, s24
	v_lshrrev_b32_e32 v29, 1, v52
	v_mul_lo_u32 v55, s26, v20
	v_mul_lo_u32 v28, v28, s24
	v_xor_b32_e32 v95, 16, v94
	v_and_or_b32 v23, v52, 14, v23
	s_lshl_b32 s0, s26, 3
	v_mov_b32_e32 v36, v41
	v_sub_nc_u32_e32 v21, v24, v21
	v_cmp_gt_i32_e32 vcc_lo, 32, v95
	v_lshlrev_b32_e32 v80, 4, v84
	v_sub_nc_u32_e32 v24, v26, v28
	s_wait_alu 0xfffe
	v_add_nc_u32_e32 v57, s0, v55
	v_mad_co_i64_i32 v[63:64], null, v21, s40, 0
	v_and_b32_e32 v21, 16, v80
	v_mad_co_i64_i32 v[65:66], null, v24, s40, 0
	v_dual_mov_b32 v39, v41 :: v_dual_and_b32 v24, 0x1f8, v29
	s_delay_alu instid0(VALU_DEP_3) | instskip(SKIP_2) | instid1(VALU_DEP_4)
	v_mad_u32_u24 v26, 0xb0, v21, 0
	v_mul_u32_u24_e32 v103, 0xb0, v21
	v_dual_mov_b32 v28, v41 :: v_dual_add_nc_u32 v61, s0, v57
	v_add_nc_u16 v24, v21, v24
	v_lshrrev_b32_e32 v21, 1, v23
	v_and_b32_e32 v31, 4, v30
	s_movk_i32 s1, 0x580
	v_add_nc_u32_e32 v67, s0, v61
	v_lshrrev_b16 v24, 1, v24
	v_mul_u32_u24_e32 v99, 0x50, v21
	s_wait_alu 0xfffd
	v_cndmask_b32_e32 v21, v94, v95, vcc_lo
	v_add_nc_u32_e32 v27, v29, v80
	s_wait_alu 0xfffe
	v_mad_u32_u24 v91, 0xb0, v20, s1
	v_and_b32_e32 v97, 0xffff, v24
	s_movk_i32 s1, 0xb00
	s_movk_i32 s0, 0x1080
	v_mad_u32_u24 v30, 0xb0, v27, 0
	v_dual_mov_b32 v37, v41 :: v_dual_lshlrev_b32 v32, 2, v31
	s_wait_alu 0xfffe
	v_mad_u32_u24 v93, 0xb0, v20, s1
	v_mad_u32_u24 v98, 0xb0, v20, s0
	v_mul_lo_u32 v44, s36, v20
	v_lshlrev_b32_e32 v20, 2, v97
	v_add3_u32 v71, v30, v32, 0x80
	v_mov_b32_e32 v32, v41
	v_or_b32_e32 v40, 32, v31
	v_dual_mov_b32 v31, v41 :: v_dual_lshlrev_b32 v116, 2, v31
	v_add3_u32 v111, 0, v99, v20
	v_lshlrev_b32_e32 v20, 1, v22
	s_lshl_b32 s0, s36, 3
	v_dual_mov_b32 v82, 32 :: v_dual_add_nc_u32 v25, 0, v104
	v_mul_lo_u32 v59, s26, v27
	v_mul_u32_u24_e32 v90, 0xb0, v27
	v_mul_lo_u32 v48, s36, v27
	s_wait_alu 0xfffe
	v_add_nc_u32_e32 v46, s0, v44
	v_dual_mov_b32 v27, v41 :: v_dual_lshlrev_b32 v112, 2, v21
	v_and_b32_e32 v21, 0x1f8, v20
	v_or_b32_e32 v22, 6, v20
	v_or_b32_e32 v20, 7, v20
	v_mov_b32_e32 v23, v41
	v_ashrrev_i32_e32 v60, 31, v59
	v_ashrrev_i32_e32 v56, 31, v55
	v_mul_u32_u24_e32 v100, 0xb0, v22
	v_mul_u32_u24_e32 v101, 0xb0, v20
	v_add_nc_u32_e32 v20, v25, v87
	v_dual_mov_b32 v25, v41 :: v_dual_add_nc_u32 v50, s0, v46
	v_mov_b32_e32 v22, v41
	v_mul_u32_u24_e32 v102, 0xb0, v21
	v_dual_mov_b32 v38, v41 :: v_dual_add_nc_u32 v107, 0x580, v72
	s_delay_alu instid0(VALU_DEP_4)
	v_add_nc_u32_e32 v53, s0, v50
	v_ashrrev_i32_e32 v58, 31, v57
	v_dual_mov_b32 v29, v41 :: v_dual_add_nc_u32 v108, 0xb00, v72
	v_ashrrev_i32_e32 v62, 31, v61
	v_add_nc_u32_e32 v109, 0x1080, v72
	v_add3_u32 v110, v26, v81, v79
	v_ashrrev_i32_e32 v49, 31, v48
	v_ashrrev_i32_e32 v45, 31, v44
	;; [unrolled: 1-line block ×5, first 2 shown]
	v_add3_u32 v113, v26, v102, v92
	v_add3_u32 v114, v26, v100, v92
	;; [unrolled: 1-line block ×3, first 2 shown]
	v_lshlrev_b32_e32 v117, 2, v42
	v_add_nc_u32_e32 v118, 0x1400, v20
	v_mov_b32_e32 v30, v41
	v_mov_b32_e32 v24, v41
	v_ashrrev_i32_e32 v68, 31, v67
	v_mov_b32_e32 v26, v41
	v_dual_mov_b32 v20, v41 :: v_dual_mov_b32 v21, v41
	s_ashr_i32 s27, s26, 31
	s_ashr_i32 s37, s36, 31
	s_lshl_b32 s16, s67, 5
.LBB9_369:                              ; =>This Inner Loop Header: Depth=1
	s_delay_alu instid0(SALU_CYCLE_1)
	s_ashr_i32 s17, s16, 31
	v_lshlrev_b64_e32 v[119:120], 1, v[63:64]
	s_lshl_b64 s[0:1], s[16:17], 1
	v_lshlrev_b64_e32 v[121:122], 1, v[65:66]
	s_wait_alu 0xfffe
	v_add_co_u32 v133, vcc_lo, v69, s0
	s_wait_alu 0xfffd
	v_add_co_ci_u32_e64 v134, null, s1, v70, vcc_lo
	v_lshlrev_b64_e32 v[123:124], 2, v[59:60]
	s_mul_u64 s[2:3], s[16:17], s[26:27]
	v_lshlrev_b64_e32 v[125:126], 2, v[55:56]
	s_wait_alu 0xfffe
	s_lshl_b64 s[0:1], s[2:3], 2
	v_add_co_u32 v119, vcc_lo, v133, v119
	v_lshlrev_b64_e32 v[127:128], 2, v[57:58]
	s_wait_alu 0xfffd
	v_add_co_ci_u32_e64 v120, null, v134, v120, vcc_lo
	v_add_co_u32 v121, vcc_lo, v133, v121
	s_wait_alu 0xfffe
	s_add_nc_u64 s[0:1], s[12:13], s[0:1]
	v_lshlrev_b64_e32 v[129:130], 2, v[61:62]
	s_wait_alu 0xfffd
	v_add_co_ci_u32_e64 v122, null, v134, v122, vcc_lo
	s_wait_alu 0xfffe
	v_add_co_u32 v123, vcc_lo, s0, v123
	v_lshlrev_b64_e32 v[131:132], 2, v[67:68]
	s_wait_alu 0xfffd
	v_add_co_ci_u32_e64 v124, null, s1, v124, vcc_lo
	v_add_co_u32 v125, vcc_lo, s0, v125
	s_wait_alu 0xfffd
	v_add_co_ci_u32_e64 v126, null, s1, v126, vcc_lo
	v_add_co_u32 v127, vcc_lo, s0, v127
	;; [unrolled: 3-line block ×4, first 2 shown]
	s_wait_alu 0xfffd
	v_add_co_ci_u32_e64 v134, null, s1, v132, vcc_lo
	s_clause 0x1
	global_load_b32 v149, v[119:120], off
	global_load_b32 v150, v[121:122], off
	v_add_co_u32 v119, vcc_lo, v123, v116
	s_wait_alu 0xfffd
	v_add_co_ci_u32_e64 v120, null, 0, v124, vcc_lo
	v_add_co_u32 v123, vcc_lo, v125, v117
	s_wait_alu 0xfffd
	v_add_co_ci_u32_e64 v124, null, 0, v126, vcc_lo
	;; [unrolled: 3-line block ×5, first 2 shown]
	s_clause 0x4
	global_load_b128 v[119:122], v[119:120], off offset:128
	global_load_b128 v[123:126], v[123:124], off
	global_load_b128 v[127:130], v[127:128], off
	;; [unrolled: 1-line block ×4, first 2 shown]
	v_lshlrev_b64_e32 v[139:140], 2, v[48:49]
	s_mul_u64 s[0:1], s[16:17], s[36:37]
	v_lshlrev_b64_e32 v[141:142], 2, v[44:45]
	s_wait_alu 0xfffe
	s_lshl_b64 s[0:1], s[0:1], 2
	v_lshlrev_b64_e32 v[143:144], 2, v[46:47]
	s_wait_alu 0xfffe
	s_add_nc_u64 s[0:1], s[10:11], s[0:1]
	v_lshlrev_b64_e32 v[145:146], 2, v[50:51]
	s_wait_alu 0xfffe
	v_add_co_u32 v139, vcc_lo, s0, v139
	v_lshlrev_b64_e32 v[147:148], 2, v[53:54]
	s_wait_alu 0xfffd
	v_add_co_ci_u32_e64 v140, null, s1, v140, vcc_lo
	v_add_co_u32 v141, vcc_lo, s0, v141
	s_wait_alu 0xfffd
	v_add_co_ci_u32_e64 v142, null, s1, v142, vcc_lo
	v_add_co_u32 v143, vcc_lo, s0, v143
	;; [unrolled: 3-line block ×9, first 2 shown]
	s_wait_alu 0xfffd
	v_add_co_ci_u32_e64 v164, null, 0, v154, vcc_lo
	v_dual_mov_b32 v171, v105 :: v_dual_mov_b32 v172, v96
	s_add_co_i32 s67, s67, 1
	s_add_co_i32 s16, s16, 32
	s_wait_alu 0xfffe
	v_cmp_lt_i32_e32 vcc_lo, s67, v106
	s_wait_loadcnt 0x5
	ds_store_2addr_b32 v118, v149, v150 offset0:128 offset1:208
	s_wait_loadcnt 0x4
	ds_store_b128 v71, v[119:122]
	s_wait_loadcnt 0x3
	ds_store_b128 v72, v[123:126]
	;; [unrolled: 2-line block ×5, first 2 shown]
	s_wait_dscnt 0x0
	s_barrier_signal -1
	s_barrier_wait -1
	global_inv scope:SCOPE_SE
	ds_load_b128 v[127:130], v110
	ds_load_b128 v[131:134], v110 offset:32
	ds_load_b128 v[135:138], v110 offset:64
	;; [unrolled: 1-line block ×4, first 2 shown]
	s_wait_loadcnt_dscnt 0x0
	s_barrier_signal -1
	s_barrier_wait -1
	global_inv scope:SCOPE_SE
	s_clause 0x4
	global_load_b128 v[147:150], v[147:148], off offset:128
	global_load_b128 v[151:154], v[151:152], off
	global_load_b128 v[155:158], v[155:156], off
	;; [unrolled: 1-line block ×4, first 2 shown]
	s_and_b32 vcc_lo, exec_lo, vcc_lo
	v_wmma_f32_16x16x16_f16 v[119:126], v[127:130], v[8:11], 0
	s_delay_alu instid0(VALU_DEP_1) | instskip(NEXT) | instid1(VALU_DEP_1)
	v_wmma_f32_16x16x16_f16 v[119:126], v[131:134], v[12:15], v[119:126]
	v_wmma_f32_16x16x16_f16 v[119:126], v[135:138], v[16:19], v[119:126]
	s_delay_alu instid0(VALU_DEP_1) | instskip(NEXT) | instid1(VALU_DEP_1)
	v_wmma_f32_16x16x16_f16 v[119:126], v[139:142], v[4:7], v[119:126]
	v_wmma_f32_16x16x16_f16 v[119:126], v[143:146], v[0:3], v[119:126]
	v_add_nc_u32_e32 v96, 0x1600, v111
	v_add_nc_u32_e32 v105, 0x1608, v111
	ds_load_2addr_b32 v[167:168], v96 offset1:1
	ds_load_2addr_b32 v[169:170], v105 offset1:1
	s_wait_loadcnt 0x4
	ds_store_b128 v71, v[147:150]
	s_wait_loadcnt 0x3
	ds_store_b128 v72, v[151:154]
	;; [unrolled: 2-line block ×5, first 2 shown]
	s_wait_dscnt 0x6
	v_lshrrev_b32_e32 v105, 16, v167
	v_cvt_f32_f16_e64 v96, v167
	v_cvt_f32_f16_e64 v127, v168
	v_lshrrev_b32_e32 v128, 16, v168
	s_wait_dscnt 0x5
	v_lshrrev_b32_e32 v130, 16, v169
	v_lshrrev_b32_e32 v168, 16, v170
	v_cvt_f32_f16_e32 v105, v105
	v_cvt_f32_f16_e64 v129, v169
	v_cvt_f32_f16_e64 v167, v170
	v_cvt_f32_f16_e64 v128, v128
	v_cvt_f32_f16_e64 v130, v130
	v_cvt_f32_f16_e64 v131, v168
	v_dual_add_f32 v96, v119, v96 :: v_dual_add_f32 v119, v120, v105
	s_delay_alu instid0(VALU_DEP_4) | instskip(NEXT) | instid1(VALU_DEP_4)
	v_dual_add_f32 v120, v121, v127 :: v_dual_add_f32 v121, v122, v128
	v_dual_add_f32 v122, v123, v129 :: v_dual_add_f32 v123, v124, v130
	s_delay_alu instid0(VALU_DEP_3) | instskip(NEXT) | instid1(VALU_DEP_3)
	v_dual_add_f32 v124, v125, v167 :: v_dual_add_f32 v105, 0x40051340, v96
	v_dual_add_f32 v125, v126, v131 :: v_dual_add_f32 v128, 0x40051340, v121
	s_delay_alu instid0(VALU_DEP_4) | instskip(NEXT) | instid1(VALU_DEP_4)
	v_dual_add_f32 v126, 0x40051340, v119 :: v_dual_add_f32 v127, 0x40051340, v120
	v_dual_add_f32 v129, 0x40051340, v122 :: v_dual_add_f32 v130, 0x40051340, v123
	s_delay_alu instid0(VALU_DEP_3) | instskip(NEXT) | instid1(VALU_DEP_3)
	v_dual_add_f32 v131, 0x40051340, v124 :: v_dual_add_f32 v132, 0x40051340, v125
	v_max3_num_f32 v105, v171, v105, v126
	s_wait_dscnt 0x0
	s_barrier_signal -1
	s_barrier_wait -1
	global_inv scope:SCOPE_SE
	v_max3_num_f32 v105, v105, v127, v128
	s_delay_alu instid0(VALU_DEP_1) | instskip(NEXT) | instid1(VALU_DEP_1)
	v_max3_num_f32 v105, v105, v129, v130
	v_max3_num_f32 v105, v105, v131, v132
	ds_bpermute_b32 v126, v112, v105
	s_wait_dscnt 0x0
	v_max_num_f32_e32 v126, v126, v126
	s_delay_alu instid0(VALU_DEP_1) | instskip(NEXT) | instid1(VALU_DEP_1)
	v_max_num_f32_e32 v105, v105, v126
	v_sub_f32_e32 v119, v119, v105
	s_delay_alu instid0(VALU_DEP_1)
	v_mul_f32_e32 v128, 0x3fb8aa3b, v119
	v_sub_f32_e32 v120, v120, v105
	v_sub_f32_e32 v96, v96, v105
	;; [unrolled: 1-line block ×4, first 2 shown]
	v_fma_f32 v138, 0x3fb8aa3b, v119, -v128
	v_mul_f32_e32 v129, 0x3fb8aa3b, v120
	v_mul_f32_e32 v127, 0x3fb8aa3b, v96
	v_rndne_f32_e32 v139, v128
	s_delay_alu instid0(VALU_DEP_4) | instskip(NEXT) | instid1(VALU_DEP_4)
	v_dual_sub_f32 v125, v125, v105 :: v_dual_fmac_f32 v138, 0x32a5705f, v119
	v_fma_f32 v140, 0x3fb8aa3b, v120, -v129
	s_delay_alu instid0(VALU_DEP_4)
	v_fma_f32 v136, 0x3fb8aa3b, v96, -v127
	v_sub_f32_e32 v123, v123, v105
	v_rndne_f32_e32 v137, v127
	v_sub_f32_e32 v128, v128, v139
	v_rndne_f32_e32 v141, v129
	v_dual_fmac_f32 v136, 0x32a5705f, v96 :: v_dual_sub_f32 v121, v121, v105
	s_delay_alu instid0(VALU_DEP_4) | instskip(NEXT) | instid1(VALU_DEP_4)
	v_dual_mul_f32 v132, 0x3fb8aa3b, v123 :: v_dual_sub_f32 v127, v127, v137
	v_add_f32_e32 v128, v128, v138
	s_delay_alu instid0(VALU_DEP_4) | instskip(NEXT) | instid1(VALU_DEP_3)
	v_dual_fmac_f32 v140, 0x32a5705f, v120 :: v_dual_sub_f32 v129, v129, v141
	v_fma_f32 v146, 0x3fb8aa3b, v123, -v132
	s_delay_alu instid0(VALU_DEP_4) | instskip(NEXT) | instid1(VALU_DEP_4)
	v_add_f32_e32 v127, v127, v136
	v_exp_f32_e32 v128, v128
	s_delay_alu instid0(VALU_DEP_3) | instskip(NEXT) | instid1(VALU_DEP_3)
	v_dual_sub_f32 v126, v171, v105 :: v_dual_add_f32 v129, v129, v140
	v_fmac_f32_e32 v146, 0x32a5705f, v123
	s_delay_alu instid0(VALU_DEP_3) | instskip(NEXT) | instid1(VALU_DEP_2)
	v_exp_f32_e32 v127, v127
	v_dual_mul_f32 v130, 0x3fb8aa3b, v121 :: v_dual_mul_f32 v135, 0x3fb8aa3b, v126
	v_mul_f32_e32 v133, 0x3fb8aa3b, v124
	v_mul_f32_e32 v131, 0x3fb8aa3b, v122
	v_cvt_i32_f32_e32 v137, v137
	v_cvt_i32_f32_e32 v139, v139
	v_fma_f32 v142, 0x3fb8aa3b, v121, -v130
	v_rndne_f32_e32 v143, v130
	v_fma_f32 v144, 0x3fb8aa3b, v122, -v131
	v_rndne_f32_e32 v145, v131
	v_ldexp_f32 v127, v127, v137
	v_ldexp_f32 v128, v128, v139
	v_cmp_ngt_f32_e64 s0, 0xc2ce8ed0, v119
	v_cmp_ngt_f32_e64 s8, 0xc2ce8ed0, v96
	v_rndne_f32_e32 v167, v132
	v_rndne_f32_e32 v169, v133
	v_fma_f32 v173, 0x3fb8aa3b, v126, -v135
	v_fmac_f32_e32 v142, 0x32a5705f, v121
	v_dual_sub_f32 v130, v130, v143 :: v_dual_sub_f32 v131, v131, v145
	v_fmac_f32_e32 v144, 0x32a5705f, v122
	s_wait_alu 0xf1ff
	v_cndmask_b32_e64 v127, 0, v127, s8
	v_cndmask_b32_e64 v128, 0, v128, s0
	v_cmp_nlt_f32_e64 s0, 0x42b17218, v119
	v_cmp_nlt_f32_e64 s8, 0x42b17218, v96
	v_fma_f32 v168, 0x3fb8aa3b, v124, -v133
	v_dual_sub_f32 v133, v133, v169 :: v_dual_sub_f32 v132, v132, v167
	v_add_f32_e32 v131, v131, v144
	v_fmac_f32_e32 v173, 0x32a5705f, v126
	s_wait_alu 0xf1ff
	v_cndmask_b32_e64 v96, 0x7f800000, v127, s8
	v_cndmask_b32_e64 v127, 0x7f800000, v128, s0
	v_add_f32_e32 v130, v130, v142
	v_exp_f32_e32 v129, v129
	v_exp_f32_e32 v131, v131
	v_cvt_i32_f32_e32 v141, v141
	v_cvt_i32_f32_e32 v143, v143
	v_exp_f32_e32 v130, v130
	v_cvt_i32_f32_e32 v145, v145
	v_rndne_f32_e32 v174, v135
	v_mul_f32_e32 v134, 0x3fb8aa3b, v125
	v_cmp_ngt_f32_e64 s1, 0xc2ce8ed0, v120
	v_cmp_ngt_f32_e64 s2, 0xc2ce8ed0, v121
	v_ldexp_f32 v129, v129, v141
	v_ldexp_f32 v131, v131, v145
	v_cmp_ngt_f32_e64 s3, 0xc2ce8ed0, v122
	v_sub_f32_e32 v135, v135, v174
	v_ldexp_f32 v130, v130, v143
	v_fma_f32 v170, 0x3fb8aa3b, v125, -v134
	v_rndne_f32_e32 v171, v134
	s_wait_alu 0xf1ff
	v_cndmask_b32_e64 v119, 0, v129, s1
	v_cmp_nlt_f32_e64 s1, 0x42b17218, v120
	v_cndmask_b32_e64 v120, 0, v130, s2
	v_cmp_nlt_f32_e64 s2, 0x42b17218, v121
	;; [unrolled: 2-line block ×3, first 2 shown]
	v_dual_fmac_f32 v168, 0x32a5705f, v124 :: v_dual_add_f32 v135, v135, v173
	v_fmac_f32_e32 v170, 0x32a5705f, v125
	s_wait_alu 0xf1ff
	v_cndmask_b32_e64 v119, 0x7f800000, v119, s1
	v_cndmask_b32_e64 v129, 0x7f800000, v121, s3
	v_add_f32_e32 v121, v96, v127
	v_sub_f32_e32 v134, v134, v171
	v_dual_add_f32 v132, v132, v146 :: v_dual_add_f32 v133, v133, v168
	v_exp_f32_e32 v135, v135
	s_delay_alu instid0(VALU_DEP_2) | instskip(NEXT) | instid1(VALU_DEP_2)
	v_dual_add_f32 v131, v119, v121 :: v_dual_add_f32 v134, v134, v170
	v_exp_f32_e32 v132, v132
	s_delay_alu instid0(VALU_DEP_2)
	v_exp_f32_e32 v133, v133
	v_cvt_i32_f32_e32 v167, v167
	v_cvt_i32_f32_e32 v169, v169
	v_exp_f32_e32 v134, v134
	v_cvt_i32_f32_e32 v171, v171
	v_cvt_i32_f32_e32 v174, v174
	v_cmp_ngt_f32_e64 s4, 0xc2ce8ed0, v123
	v_cmp_ngt_f32_e64 s5, 0xc2ce8ed0, v124
	v_cmp_ngt_f32_e64 s6, 0xc2ce8ed0, v125
	v_ldexp_f32 v132, v132, v167
	v_ldexp_f32 v133, v133, v169
	;; [unrolled: 1-line block ×3, first 2 shown]
	v_cmp_ngt_f32_e64 s7, 0xc2ce8ed0, v126
	v_ldexp_f32 v134, v134, v171
	s_wait_alu 0xf1ff
	v_cndmask_b32_e64 v122, 0, v132, s4
	v_cmp_nlt_f32_e64 s4, 0x42b17218, v123
	v_cndmask_b32_e64 v123, 0, v133, s5
	v_cmp_nlt_f32_e64 s5, 0x42b17218, v124
	;; [unrolled: 2-line block ×4, first 2 shown]
	v_cndmask_b32_e64 v128, 0x7f800000, v120, s2
	v_cmp_le_f32_e64 s0, 0xc1a00000, v126
	s_wait_alu 0xf1ff
	v_cndmask_b32_e64 v130, 0x7f800000, v122, s4
	v_cndmask_b32_e64 v143, 0x7f800000, v123, s5
	;; [unrolled: 1-line block ×4, first 2 shown]
	v_cvt_f16_f32_e64 v123, v128
	v_cvt_f16_f32_e32 v96, v96
	v_cvt_f16_f32_e32 v127, v127
	v_cndmask_b32_e64 v145, 0, v120, s0
	v_cvt_f16_f32_e32 v120, v119
	v_cvt_f16_f32_e64 v124, v129
	v_cvt_f16_f32_e64 v125, v130
	;; [unrolled: 1-line block ×5, first 2 shown]
	v_perm_b32 v120, v123, v120, 0x5040100
	v_perm_b32 v119, v127, v96, 0x5040100
	s_delay_alu instid0(VALU_DEP_4) | instskip(NEXT) | instid1(VALU_DEP_4)
	v_dual_add_f32 v96, v128, v131 :: v_dual_and_b32 v123, 0xffff, v132
	v_perm_b32 v122, v126, v122, 0x5040100
	v_perm_b32 v121, v125, v124, 0x5040100
	s_delay_alu instid0(VALU_DEP_3) | instskip(NEXT) | instid1(VALU_DEP_4)
	v_add_f32_e32 v96, v129, v96
	v_mul_u32_u24_e32 v146, 0x10001, v123
	ds_load_u16 v124, v113 offset:352
	ds_load_u16 v123, v113
	ds_load_u16 v127, v113 offset:32
	ds_load_u16 v131, v113 offset:64
	;; [unrolled: 1-line block ×11, first 2 shown]
	ds_load_u16 v126, v114
	ds_load_u16 v134, v114 offset:64
	ds_load_u16 v142, v114 offset:128
	s_wait_dscnt 0xf
	ds_load_u16_d16_hi v124, v113 offset:528
	ds_load_u16 v136, v113 offset:448
	v_add_f32_e32 v96, v130, v96
	ds_load_u16 v130, v114 offset:32
	s_wait_dscnt 0x11
	ds_load_u16_d16_hi v123, v113 offset:176
	s_wait_dscnt 0x11
	ds_load_u16_d16_hi v127, v113 offset:208
	;; [unrolled: 2-line block ×6, first 2 shown]
	ds_load_u16_d16_hi v132, v113 offset:592
	ds_load_u16_d16_hi v140, v113 offset:656
	s_wait_dscnt 0x11
	ds_load_u16_d16_hi v125, v113 offset:880
	s_wait_dscnt 0x11
	;; [unrolled: 2-line block ×4, first 2 shown]
	ds_load_u16_d16_hi v137, v113 offset:976
	ds_load_u16 v141, v113 offset:832
	s_wait_dscnt 0x12
	ds_load_u16_d16_hi v126, v115
	s_wait_dscnt 0x12
	ds_load_u16_d16_hi v134, v115 offset:64
	s_wait_dscnt 0x12
	ds_load_u16_d16_hi v142, v115 offset:128
	ds_load_u16 v138, v114 offset:96
	s_wait_dscnt 0x12
	ds_load_u16_d16_hi v136, v113 offset:624
	s_wait_dscnt 0x5
	ds_load_u16_d16_hi v141, v113 offset:1008
	ds_load_u16_d16_hi v130, v115 offset:32
	s_wait_dscnt 0x3
	ds_load_u16_d16_hi v138, v115 offset:96
	v_add_f32_e32 v96, v143, v96
	v_pk_mul_f16 v36, v36, v146
	v_pk_mul_f16 v37, v37, v146
	;; [unrolled: 1-line block ×20, first 2 shown]
	v_add_f32_e32 v96, v144, v96
	v_wmma_f16_16x16x16_f16 v[36:39], v[123:126], v[119:122], v[36:39]
	v_wmma_f16_16x16x16_f16 v[28:31], v[131:134], v[119:122], v[28:31]
	s_wait_dscnt 0x1
	v_wmma_f16_16x16x16_f16 v[32:35], v[127:130], v[119:122], v[32:35]
	s_wait_dscnt 0x0
	v_wmma_f16_16x16x16_f16 v[24:27], v[135:138], v[119:122], v[24:27]
	v_fmac_f32_e32 v96, v172, v145
	v_wmma_f16_16x16x16_f16 v[20:23], v[139:142], v[119:122], v[20:23]
	s_wait_loadcnt 0x0
	s_barrier_signal -1
	s_barrier_wait -1
	global_inv scope:SCOPE_SE
	s_wait_alu 0xfffe
	s_cbranch_vccnz .LBB9_369
; %bb.370:
	v_dual_mov_b32 v70, s37 :: v_dual_mov_b32 v69, s36
	v_dual_mov_b32 v72, s27 :: v_dual_mov_b32 v71, s26
	s_branch .LBB9_372
.LBB9_371:
	v_mov_b32_e32 v23, 0
	s_delay_alu instid0(VALU_DEP_1)
	v_dual_mov_b32 v105, 0xfeffffff :: v_dual_mov_b32 v22, v23
	v_dual_mov_b32 v21, v23 :: v_dual_mov_b32 v20, v23
	;; [unrolled: 1-line block ×10, first 2 shown]
.LBB9_372:
	s_lshl_b32 s0, s67, 5
	v_lshlrev_b64_e32 v[63:64], 1, v[63:64]
	s_wait_alu 0xfffe
	s_ashr_i32 s1, s0, 31
	v_mul_lo_u32 v72, s0, v72
	s_wait_alu 0xfffe
	v_mul_lo_u32 v106, s1, v71
	v_mul_hi_u32 v109, s0, v71
	v_mul_lo_u32 v71, s0, v71
	s_lshl_b64 s[2:3], s[0:1], 1
	v_lshlrev_b64_e32 v[65:66], 1, v[65:66]
	s_wait_alu 0xfffe
	s_add_nc_u64 s[2:3], s[14:15], s[2:3]
	v_lshlrev_b64_e32 v[59:60], 2, v[59:60]
	s_wait_alu 0xfffe
	v_add_co_u32 v107, s2, s2, v104
	v_add_nc_u32_e32 v72, v72, v106
	s_wait_alu 0xf1ff
	v_add_co_ci_u32_e64 v108, null, s3, 0, s2
	s_delay_alu instid0(VALU_DEP_3) | instskip(NEXT) | instid1(VALU_DEP_3)
	v_add_co_u32 v63, vcc_lo, v107, v63
	v_add_nc_u32_e32 v72, v72, v109
	s_wait_alu 0xfffd
	s_delay_alu instid0(VALU_DEP_3) | instskip(SKIP_1) | instid1(VALU_DEP_3)
	v_add_co_ci_u32_e64 v64, null, v108, v64, vcc_lo
	v_add_co_u32 v65, vcc_lo, v107, v65
	v_lshlrev_b64_e32 v[71:72], 2, v[71:72]
	s_wait_alu 0xfffd
	v_add_co_ci_u32_e64 v66, null, v108, v66, vcc_lo
	v_lshlrev_b64_e32 v[55:56], 2, v[55:56]
	v_lshlrev_b64_e32 v[114:115], 2, v[42:43]
	s_clause 0x1
	global_load_b32 v116, v[63:64], off
	global_load_b32 v117, v[65:66], off
	v_add_co_u32 v106, vcc_lo, s12, v71
	s_wait_alu 0xfffd
	v_add_co_ci_u32_e64 v107, null, s13, v72, vcc_lo
	v_lshlrev_b64_e32 v[71:72], 2, v[40:41]
	s_delay_alu instid0(VALU_DEP_3) | instskip(SKIP_1) | instid1(VALU_DEP_3)
	v_add_co_u32 v41, vcc_lo, v106, v59
	s_wait_alu 0xfffd
	v_add_co_ci_u32_e64 v60, null, v107, v60, vcc_lo
	v_mul_hi_u32 v118, s0, v69
	s_delay_alu instid0(VALU_DEP_3) | instskip(SKIP_1) | instid1(VALU_DEP_3)
	v_add_co_u32 v59, vcc_lo, v41, v71
	s_wait_alu 0xfffd
	v_add_co_ci_u32_e64 v60, null, v60, v72, vcc_lo
	v_add_co_u32 v41, vcc_lo, v106, v55
	s_wait_alu 0xfffd
	v_add_co_ci_u32_e64 v43, null, v107, v56, vcc_lo
	v_lshlrev_b64_e32 v[55:56], 2, v[57:58]
	s_delay_alu instid0(VALU_DEP_3) | instskip(SKIP_1) | instid1(VALU_DEP_3)
	v_add_co_u32 v63, vcc_lo, v41, v114
	s_wait_alu 0xfffd
	v_add_co_ci_u32_e64 v64, null, v43, v115, vcc_lo
	v_lshlrev_b64_e32 v[57:58], 2, v[67:68]
	s_delay_alu instid0(VALU_DEP_4) | instskip(SKIP_3) | instid1(VALU_DEP_3)
	v_add_co_u32 v41, vcc_lo, v106, v55
	s_wait_alu 0xfffd
	v_add_co_ci_u32_e64 v43, null, v107, v56, vcc_lo
	v_lshlrev_b64_e32 v[55:56], 2, v[61:62]
	v_add_co_u32 v65, vcc_lo, v41, v114
	s_wait_alu 0xfffd
	s_delay_alu instid0(VALU_DEP_3) | instskip(SKIP_1) | instid1(VALU_DEP_4)
	v_add_co_ci_u32_e64 v66, null, v43, v115, vcc_lo
	v_lshlrev_b64_e32 v[46:47], 2, v[46:47]
	v_add_co_u32 v41, vcc_lo, v106, v55
	s_wait_alu 0xfffd
	v_add_co_ci_u32_e64 v43, null, v107, v56, vcc_lo
	v_add_co_u32 v55, vcc_lo, v106, v57
	s_wait_alu 0xfffd
	v_add_co_ci_u32_e64 v56, null, v107, v58, vcc_lo
	;; [unrolled: 3-line block ×4, first 2 shown]
	s_clause 0x4
	global_load_b128 v[55:58], v[59:60], off
	global_load_b128 v[59:62], v[63:64], off
	;; [unrolled: 1-line block ×5, first 2 shown]
	v_mul_lo_u32 v43, s0, v70
	v_mul_lo_u32 v67, s1, v69
	v_add_nc_u32_e32 v68, 0, v104
	v_lshlrev_b32_e32 v104, 2, v42
	v_lshlrev_b32_e32 v70, 2, v40
	v_lshlrev_b64_e32 v[40:41], 2, v[48:49]
	v_lshlrev_b64_e32 v[48:49], 2, v[50:51]
	;; [unrolled: 1-line block ×3, first 2 shown]
	v_add_nc_u32_e32 v119, 0, v103
	v_add_nc_u32_e32 v67, v43, v67
	v_lshlrev_b64_e32 v[42:43], 2, v[44:45]
	v_mul_lo_u32 v44, s0, v69
	v_add_nc_u32_e32 v53, v68, v87
	v_add_nc_u32_e32 v54, v68, v89
	;; [unrolled: 1-line block ×3, first 2 shown]
	v_add3_u32 v67, v119, v81, v79
	v_add3_u32 v118, 0, v90, v70
	;; [unrolled: 1-line block ×4, first 2 shown]
	v_lshlrev_b64_e32 v[44:45], 2, v[44:45]
	v_add3_u32 v93, 0, v93, v104
	v_add3_u32 v121, 0, v98, v104
	s_wait_loadcnt 0x6
	ds_store_b32 v53, v116 offset:5632
	s_wait_loadcnt 0x5
	ds_store_b32 v54, v117 offset:5632
	s_wait_loadcnt 0x4
	ds_store_b128 v118, v[55:58]
	s_wait_loadcnt 0x3
	ds_store_b128 v120, v[59:62]
	;; [unrolled: 2-line block ×5, first 2 shown]
	v_add_co_u32 v44, vcc_lo, s10, v44
	s_wait_alu 0xfffd
	v_add_co_ci_u32_e64 v45, null, s11, v45, vcc_lo
	s_wait_dscnt 0x0
	s_delay_alu instid0(VALU_DEP_2) | instskip(SKIP_1) | instid1(VALU_DEP_2)
	v_add_co_u32 v40, vcc_lo, v44, v40
	s_wait_alu 0xfffd
	v_add_co_ci_u32_e64 v41, null, v45, v41, vcc_lo
	v_add_co_u32 v42, vcc_lo, v44, v42
	s_wait_alu 0xfffd
	v_add_co_ci_u32_e64 v43, null, v45, v43, vcc_lo
	;; [unrolled: 3-line block ×10, first 2 shown]
	s_barrier_signal -1
	s_barrier_wait -1
	global_inv scope:SCOPE_SE
	ds_load_b128 v[48:51], v67
	ds_load_b128 v[53:56], v67 offset:32
	ds_load_b128 v[57:60], v67 offset:64
	;; [unrolled: 1-line block ×4, first 2 shown]
	s_wait_loadcnt_dscnt 0x0
	s_barrier_signal -1
	s_barrier_wait -1
	global_inv scope:SCOPE_SE
	s_clause 0x4
	global_load_b128 v[69:72], v[40:41], off
	global_load_b128 v[87:90], v[42:43], off
	;; [unrolled: 1-line block ×5, first 2 shown]
	v_lshlrev_b32_e32 v40, 2, v97
	v_cmp_lt_i32_e32 vcc_lo, v95, v82
	s_delay_alu instid0(VALU_DEP_2) | instskip(NEXT) | instid1(VALU_DEP_1)
	v_add3_u32 v40, 0, v99, v40
	v_add_nc_u32_e32 v41, 0x1600, v40
	v_add_nc_u32_e32 v40, 0x1608, v40
	ds_load_2addr_b32 v[97:98], v41 offset1:1
	ds_load_2addr_b32 v[103:104], v40 offset1:1
	v_wmma_f32_16x16x16_f16 v[40:47], v[48:51], v[8:11], 0
	s_wait_loadcnt 0x4
	ds_store_b128 v118, v[69:72]
	s_wait_loadcnt 0x3
	ds_store_b128 v120, v[87:90]
	;; [unrolled: 2-line block ×5, first 2 shown]
	v_wmma_f32_16x16x16_f16 v[40:47], v[53:56], v[12:15], v[40:47]
	s_wait_dscnt 0x6
	v_lshrrev_b32_e32 v9, 16, v97
	v_cvt_f32_f16_e32 v8, v97
	v_cvt_f32_f16_e32 v10, v98
	s_wait_dscnt 0x0
	v_wmma_f32_16x16x16_f16 v[40:47], v[57:60], v[16:19], v[40:47]
	s_barrier_signal -1
	s_barrier_wait -1
	global_inv scope:SCOPE_SE
	v_wmma_f32_16x16x16_f16 v[40:47], v[61:64], v[4:7], v[40:47]
	v_lshrrev_b32_e32 v4, 16, v98
	v_lshrrev_b32_e32 v6, 16, v103
	v_cvt_f32_f16_e32 v5, v103
	v_cvt_f32_f16_e32 v7, v104
	v_wmma_f32_16x16x16_f16 v[40:47], v[65:68], v[0:3], v[40:47]
	v_cvt_f32_f16_e32 v0, v9
	v_cvt_f32_f16_e32 v2, v4
	v_lshrrev_b32_e32 v1, 16, v104
	v_cvt_f32_f16_e32 v3, v6
	v_add_f32_e32 v4, v40, v8
	v_add_f32_e32 v0, v41, v0
	;; [unrolled: 1-line block ×4, first 2 shown]
	v_cvt_f32_f16_e32 v1, v1
	v_add_f32_e32 v8, 0x40051340, v4
	v_add_f32_e32 v9, 0x40051340, v0
	;; [unrolled: 1-line block ×3, first 2 shown]
	v_dual_add_f32 v3, v45, v3 :: v_dual_add_f32 v10, 0x40051340, v6
	v_add_f32_e32 v11, 0x40051340, v2
	s_delay_alu instid0(VALU_DEP_4) | instskip(SKIP_3) | instid1(VALU_DEP_4)
	v_max3_num_f32 v8, v105, v8, v9
	v_add_f32_e32 v7, v46, v7
	v_add_f32_e32 v1, v47, v1
	v_dual_add_f32 v9, 0x40051340, v5 :: v_dual_add_f32 v12, 0x40051340, v3
	v_max3_num_f32 v8, v8, v10, v11
	s_wait_alu 0xfffd
	v_cndmask_b32_e32 v10, v94, v95, vcc_lo
	v_add_f32_e32 v11, 0x40051340, v7
	v_add_f32_e32 v13, 0x40051340, v1
	v_add3_u32 v55, v119, v102, v92
	v_max3_num_f32 v8, v8, v9, v12
	v_add3_u32 v16, v119, v100, v92
	v_add3_u32 v56, v119, v101, v92
	s_delay_alu instid0(VALU_DEP_3) | instskip(SKIP_4) | instid1(VALU_DEP_1)
	v_max3_num_f32 v8, v8, v11, v13
	v_lshlrev_b32_e32 v53, 2, v10
	ds_bpermute_b32 v9, v53, v8
	s_wait_dscnt 0x0
	v_max_num_f32_e32 v9, v9, v9
	v_max_num_f32_e32 v54, v8, v9
	s_delay_alu instid0(VALU_DEP_1) | instskip(NEXT) | instid1(VALU_DEP_1)
	v_sub_f32_e32 v5, v5, v54
	v_dual_sub_f32 v4, v4, v54 :: v_dual_mul_f32 v13, 0x3fb8aa3b, v5
	s_delay_alu instid0(VALU_DEP_1) | instskip(SKIP_2) | instid1(VALU_DEP_4)
	v_dual_sub_f32 v0, v0, v54 :: v_dual_mul_f32 v9, 0x3fb8aa3b, v4
	v_sub_f32_e32 v3, v3, v54
	v_cmp_ngt_f32_e32 vcc_lo, 0xc2ce8ed0, v4
	v_fma_f32 v47, 0x3fb8aa3b, v5, -v13
	s_delay_alu instid0(VALU_DEP_4) | instskip(SKIP_3) | instid1(VALU_DEP_3)
	v_mul_f32_e32 v10, 0x3fb8aa3b, v0
	v_fma_f32 v19, 0x3fb8aa3b, v4, -v9
	v_sub_f32_e32 v8, v105, v54
	v_dual_sub_f32 v7, v7, v54 :: v_dual_mul_f32 v14, 0x3fb8aa3b, v3
	v_dual_sub_f32 v6, v6, v54 :: v_dual_fmac_f32 v19, 0x32a5705f, v4
	s_delay_alu instid0(VALU_DEP_3) | instskip(NEXT) | instid1(VALU_DEP_3)
	v_dual_sub_f32 v1, v1, v54 :: v_dual_mul_f32 v18, 0x3fb8aa3b, v8
	v_dual_sub_f32 v2, v2, v54 :: v_dual_mul_f32 v15, 0x3fb8aa3b, v7
	v_rndne_f32_e32 v40, v9
	s_delay_alu instid0(VALU_DEP_3) | instskip(NEXT) | instid1(VALU_DEP_4)
	v_mul_f32_e32 v17, 0x3fb8aa3b, v1
	v_rndne_f32_e32 v61, v18
	v_mul_f32_e32 v11, 0x3fb8aa3b, v6
	s_delay_alu instid0(VALU_DEP_4) | instskip(SKIP_1) | instid1(VALU_DEP_4)
	v_dual_mul_f32 v12, 0x3fb8aa3b, v2 :: v_dual_sub_f32 v9, v9, v40
	v_fma_f32 v60, 0x3fb8aa3b, v8, -v18
	v_sub_f32_e32 v18, v18, v61
	s_delay_alu instid0(VALU_DEP_4) | instskip(NEXT) | instid1(VALU_DEP_4)
	v_rndne_f32_e32 v44, v11
	v_fma_f32 v45, 0x3fb8aa3b, v2, -v12
	v_rndne_f32_e32 v46, v12
	v_fma_f32 v43, 0x3fb8aa3b, v6, -v11
	v_fma_f32 v49, 0x3fb8aa3b, v3, -v14
	v_sub_f32_e32 v11, v11, v44
	v_dual_fmac_f32 v45, 0x32a5705f, v2 :: v_dual_fmac_f32 v60, 0x32a5705f, v8
	s_delay_alu instid0(VALU_DEP_3) | instskip(SKIP_3) | instid1(VALU_DEP_4)
	v_dual_sub_f32 v12, v12, v46 :: v_dual_fmac_f32 v49, 0x32a5705f, v3
	v_fma_f32 v41, 0x3fb8aa3b, v0, -v10
	v_rndne_f32_e32 v42, v10
	v_rndne_f32_e32 v50, v14
	v_add_f32_e32 v12, v12, v45
	v_cvt_i32_f32_e32 v46, v46
	v_rndne_f32_e32 v48, v13
	v_fma_f32 v51, 0x3fb8aa3b, v7, -v15
	v_dual_fmac_f32 v41, 0x32a5705f, v0 :: v_dual_sub_f32 v10, v10, v42
	v_exp_f32_e32 v12, v12
	v_dual_fmac_f32 v47, 0x32a5705f, v5 :: v_dual_sub_f32 v14, v14, v50
	s_delay_alu instid0(VALU_DEP_2) | instskip(SKIP_2) | instid1(VALU_DEP_4)
	v_dual_sub_f32 v13, v13, v48 :: v_dual_add_f32 v10, v10, v41
	v_fmac_f32_e32 v51, 0x32a5705f, v7
	v_rndne_f32_e32 v57, v15
	v_add_f32_e32 v14, v14, v49
	v_cvt_i32_f32_e32 v40, v40
	v_exp_f32_e32 v10, v10
	s_delay_alu instid0(TRANS32_DEP_2)
	v_ldexp_f32 v12, v12, v46
	v_add_f32_e32 v9, v9, v19
	v_exp_f32_e32 v14, v14
	v_fma_f32 v58, 0x3fb8aa3b, v1, -v17
	v_rndne_f32_e32 v59, v17
	v_cvt_i32_f32_e32 v42, v42
	v_exp_f32_e32 v9, v9
	s_delay_alu instid0(VALU_DEP_3) | instskip(SKIP_4) | instid1(VALU_DEP_4)
	v_dual_fmac_f32 v43, 0x32a5705f, v6 :: v_dual_fmac_f32 v58, 0x32a5705f, v1
	v_cvt_i32_f32_e32 v50, v50
	v_dual_sub_f32 v15, v15, v57 :: v_dual_add_f32 v18, v18, v60
	v_ldexp_f32 v10, v10, v42
	v_cvt_i32_f32_e32 v19, v61
	v_ldexp_f32 v14, v14, v50
	v_add_f32_e32 v11, v11, v43
	s_delay_alu instid0(TRANS32_DEP_1)
	v_ldexp_f32 v9, v9, v40
	v_exp_f32_e32 v18, v18
	v_cvt_i32_f32_e32 v44, v44
	v_cvt_i32_f32_e32 v48, v48
	v_exp_f32_e32 v11, v11
	s_wait_alu 0xfffd
	v_cndmask_b32_e32 v9, 0, v9, vcc_lo
	v_cmp_ngt_f32_e32 vcc_lo, 0xc2ce8ed0, v0
	v_sub_f32_e32 v17, v17, v59
	v_cvt_i32_f32_e32 v59, v59
	v_cvt_i32_f32_e32 v57, v57
	s_wait_alu 0xfffd
	v_cndmask_b32_e32 v10, 0, v10, vcc_lo
	v_add_f32_e32 v17, v17, v58
	v_ldexp_f32 v18, v18, v19
	v_add_f32_e32 v13, v13, v47
	v_ldexp_f32 v11, v11, v44
	v_cmp_ngt_f32_e32 vcc_lo, 0xc2ce8ed0, v6
	v_exp_f32_e32 v17, v17
	v_add_f32_e32 v15, v15, v51
	v_exp_f32_e32 v13, v13
	s_delay_alu instid0(VALU_DEP_1) | instskip(NEXT) | instid1(TRANS32_DEP_3)
	v_exp_f32_e32 v15, v15
	v_ldexp_f32 v17, v17, v59
	s_wait_alu 0xfffd
	v_cndmask_b32_e32 v11, 0, v11, vcc_lo
	v_cmp_ngt_f32_e32 vcc_lo, 0xc2ce8ed0, v2
	s_delay_alu instid0(TRANS32_DEP_2) | instskip(NEXT) | instid1(TRANS32_DEP_1)
	v_ldexp_f32 v13, v13, v48
	v_ldexp_f32 v15, v15, v57
	s_wait_alu 0xfffd
	v_cndmask_b32_e32 v12, 0, v12, vcc_lo
	v_cmp_ngt_f32_e32 vcc_lo, 0xc2ce8ed0, v5
	s_wait_alu 0xfffd
	v_cndmask_b32_e32 v13, 0, v13, vcc_lo
	v_cmp_ngt_f32_e32 vcc_lo, 0xc2ce8ed0, v3
	;; [unrolled: 3-line block ×4, first 2 shown]
	s_wait_alu 0xfffd
	v_cndmask_b32_e32 v18, 0, v18, vcc_lo
	v_cmp_nlt_f32_e32 vcc_lo, 0x42b17218, v4
	s_wait_alu 0xfffd
	v_cndmask_b32_e32 v57, 0x7f800000, v9, vcc_lo
	v_cmp_nlt_f32_e32 vcc_lo, 0x42b17218, v0
	s_wait_alu 0xfffd
	v_cndmask_b32_e32 v58, 0x7f800000, v10, vcc_lo
	v_cmp_nlt_f32_e32 vcc_lo, 0x42b17218, v8
	s_delay_alu instid0(VALU_DEP_2)
	v_add_f32_e32 v4, v57, v58
	s_wait_alu 0xfffd
	v_cndmask_b32_e32 v0, 0x7f800000, v18, vcc_lo
	v_cmp_nlt_f32_e32 vcc_lo, 0x42b17218, v6
	s_wait_alu 0xfffd
	v_cndmask_b32_e32 v59, 0x7f800000, v11, vcc_lo
	v_cmp_le_f32_e32 vcc_lo, 0xc1a00000, v8
	s_wait_alu 0xfffd
	v_cndmask_b32_e32 v60, 0, v0, vcc_lo
	v_cmp_ngt_f32_e32 vcc_lo, 0xc2ce8ed0, v1
	s_wait_alu 0xfffd
	v_cndmask_b32_e32 v0, 0, v17, vcc_lo
	v_cmp_nlt_f32_e32 vcc_lo, 0x42b17218, v2
	v_add_f32_e32 v2, v59, v4
	v_cvt_f16_f32_e32 v4, v60
	s_wait_alu 0xfffd
	v_cndmask_b32_e32 v61, 0x7f800000, v12, vcc_lo
	v_cmp_nlt_f32_e32 vcc_lo, 0x42b17218, v5
	s_delay_alu instid0(VALU_DEP_2)
	v_add_f32_e32 v2, v61, v2
	s_wait_alu 0xfffd
	v_cndmask_b32_e32 v62, 0x7f800000, v13, vcc_lo
	v_cmp_nlt_f32_e32 vcc_lo, 0x42b17218, v3
	ds_load_u16 v12, v55
	ds_load_u16 v8, v55 offset:32
	ds_load_u16 v13, v55 offset:352
	;; [unrolled: 1-line block ×9, first 2 shown]
	v_and_b32_e32 v3, 0xffff, v4
	s_wait_alu 0xfffd
	v_cndmask_b32_e32 v63, 0x7f800000, v14, vcc_lo
	ds_load_u16 v14, v55 offset:704
	ds_load_u16 v10, v55 offset:736
	;; [unrolled: 1-line block ×6, first 2 shown]
	v_cmp_nlt_f32_e32 vcc_lo, 0x42b17218, v7
	v_mul_u32_u24_e32 v66, 0x10001, v3
	s_wait_alu 0xfffd
	v_cndmask_b32_e32 v64, 0x7f800000, v15, vcc_lo
	v_cmp_nlt_f32_e32 vcc_lo, 0x42b17218, v1
	s_wait_dscnt 0xd
	ds_load_u16_d16_hi v13, v55 offset:528
	ds_load_u16_d16_hi v12, v55 offset:176
	;; [unrolled: 1-line block ×3, first 2 shown]
	s_wait_dscnt 0xf
	ds_load_u16_d16_hi v40, v55 offset:240
	s_wait_dscnt 0xe
	ds_load_u16_d16_hi v44, v55 offset:272
	;; [unrolled: 2-line block ×4, first 2 shown]
	ds_load_u16_d16_hi v41, v55 offset:592
	s_wait_dscnt 0xe
	ds_load_u16_d16_hi v45, v55 offset:624
	ds_load_u16_d16_hi v49, v55 offset:656
	ds_load_u16 v15, v16
	s_wait_dscnt 0x10
	ds_load_u16_d16_hi v14, v55 offset:880
	s_wait_dscnt 0x10
	ds_load_u16_d16_hi v10, v55 offset:912
	;; [unrolled: 2-line block ×4, first 2 shown]
	ds_load_u16 v50, v55 offset:832
	ds_load_u16 v11, v16 offset:32
	s_wait_dscnt 0x12
	ds_load_u16_d16_hi v43, v56 offset:64
	s_wait_dscnt 0x12
	ds_load_u16_d16_hi v51, v56 offset:128
	ds_load_u16 v47, v16 offset:96
	s_wait_alu 0xfffd
	v_dual_cndmask_b32 v65, 0x7f800000, v0 :: v_dual_add_f32 v0, v62, v2
	v_pk_mul_f16 v16, v28, v66
	v_pk_mul_f16 v4, v32, v66
	s_wait_dscnt 0x9
	ds_load_u16_d16_hi v15, v56
	s_wait_dscnt 0x5
	ds_load_u16_d16_hi v50, v55 offset:1008
	s_wait_dscnt 0x5
	ds_load_u16_d16_hi v11, v56 offset:32
	;; [unrolled: 2-line block ×3, first 2 shown]
	v_add_f32_e32 v18, v63, v0
	v_pk_mul_f16 v5, v33, v66
	v_pk_mul_f16 v0, v36, v66
	;; [unrolled: 1-line block ×4, first 2 shown]
	v_add_f32_e32 v28, v64, v18
	v_pk_mul_f16 v7, v35, v66
	v_pk_mul_f16 v17, v29, v66
	;; [unrolled: 1-line block ×4, first 2 shown]
	v_add_f32_e32 v32, v65, v28
	v_cvt_f16_f32_e32 v28, v59
	v_cvt_f16_f32_e32 v29, v61
	;; [unrolled: 1-line block ×4, first 2 shown]
	v_fmac_f32_e32 v32, v96, v60
	v_cvt_f16_f32_e32 v34, v65
	v_cvt_f16_f32_e32 v35, v63
	;; [unrolled: 1-line block ×4, first 2 shown]
	ds_bpermute_b32 v33, v53, v32
	v_pk_mul_f16 v2, v38, v66
	v_pk_mul_f16 v3, v39, v66
	;; [unrolled: 1-line block ×10, first 2 shown]
	v_perm_b32 v31, v34, v31, 0x5040100
	v_perm_b32 v30, v35, v30, 0x5040100
	;; [unrolled: 1-line block ×4, first 2 shown]
	v_cmp_gt_u32_e32 vcc_lo, 16, v52
	s_wait_loadcnt_dscnt 0x0
	s_barrier_signal -1
	s_barrier_wait -1
	global_inv scope:SCOPE_SE
	s_and_saveexec_b32 s0, vcc_lo
	s_cbranch_execz .LBB9_374
; %bb.373:
	v_or_b32_e32 v34, v80, v52
	v_add_f32_e32 v32, v32, v33
	s_delay_alu instid0(VALU_DEP_2)
	v_mad_i32_i24 v33, 0xb0, v34, 0
	ds_store_2addr_b32 v33, v54, v32 offset0:40 offset1:41
.LBB9_374:
	s_wait_alu 0xfffe
	s_or_b32 exec_lo, exec_lo, s0
	v_cmp_eq_u32_e64 s0, 0, v86
	v_cmp_ne_u32_e64 s1, 0, v86
	s_wait_loadcnt_dscnt 0x0
	s_barrier_signal -1
	s_barrier_wait -1
	global_inv scope:SCOPE_SE
	s_and_saveexec_b32 s2, s1
	s_wait_alu 0xfffe
	s_xor_b32 s1, exec_lo, s2
	s_cbranch_execz .LBB9_376
; %bb.375:
	s_wait_loadcnt 0x0
	s_barrier_signal -1
	s_barrier_wait -1
	global_inv scope:SCOPE_SE
                                        ; implicit-def: $vgpr53
                                        ; implicit-def: $vgpr85
.LBB9_376:
	s_wait_alu 0xfffe
	s_or_saveexec_b32 s4, s1
	v_wmma_f16_16x16x16_f16 v[0:3], v[12:15], v[28:31], v[0:3]
	v_wmma_f16_16x16x16_f16 v[4:7], v[8:11], v[28:31], v[4:7]
	;; [unrolled: 1-line block ×5, first 2 shown]
	s_wait_alu 0xfffe
	s_xor_b32 exec_lo, exec_lo, s4
	s_cbranch_execz .LBB9_380
; %bb.377:
	v_add_nc_u32_e32 v8, v80, v52
	s_mov_b32 s3, 0
	s_delay_alu instid0(VALU_DEP_1)
	v_mad_i32_i24 v12, 0xb0, v8, 0
	ds_load_b64 v[10:11], v12 offset:160
	s_wait_loadcnt_dscnt 0x0
	s_barrier_signal -1
	s_barrier_wait -1
	global_inv scope:SCOPE_SE
	ds_bpermute_b32 v8, v53, v10
	s_wait_dscnt 0x0
	v_dual_max_num_f32 v9, v10, v10 :: v_dual_max_num_f32 v8, v8, v8
	s_delay_alu instid0(VALU_DEP_1) | instskip(NEXT) | instid1(VALU_DEP_1)
	v_max_num_f32_e32 v8, v9, v8
	v_sub_f32_e32 v9, v10, v8
	s_delay_alu instid0(VALU_DEP_1) | instskip(SKIP_1) | instid1(VALU_DEP_2)
	v_mul_f32_e32 v10, 0x3fb8aa3b, v9
	v_cmp_ngt_f32_e64 s1, 0xc2ce8ed0, v9
	v_fma_f32 v13, 0x3fb8aa3b, v9, -v10
	v_rndne_f32_e32 v14, v10
	s_delay_alu instid0(VALU_DEP_1) | instskip(NEXT) | instid1(VALU_DEP_1)
	v_dual_fmamk_f32 v13, v9, 0x32a5705f, v13 :: v_dual_sub_f32 v10, v10, v14
	v_add_f32_e32 v10, v10, v13
	v_cvt_i32_f32_e32 v13, v14
	s_delay_alu instid0(VALU_DEP_2) | instskip(NEXT) | instid1(TRANS32_DEP_1)
	v_exp_f32_e32 v10, v10
	v_ldexp_f32 v10, v10, v13
	s_wait_alu 0xf1ff
	s_delay_alu instid0(VALU_DEP_1) | instskip(SKIP_2) | instid1(VALU_DEP_1)
	v_cndmask_b32_e64 v10, 0, v10, s1
	v_cmp_nlt_f32_e64 s1, 0x42b17218, v9
	s_wait_alu 0xf1ff
	v_cndmask_b32_e64 v9, 0x7f800000, v10, s1
	s_delay_alu instid0(VALU_DEP_1)
	v_mul_f32_e32 v10, v11, v9
	ds_bpermute_b32 v10, v53, v10
	s_wait_dscnt 0x0
	v_fmac_f32_e32 v10, v11, v9
	ds_store_b64 v12, v[9:10] offset:160
	s_and_saveexec_b32 s1, vcc_lo
	s_cbranch_execz .LBB9_379
; %bb.378:
	v_or_b32_e32 v9, v85, v52
	s_add_co_i32 s2, s50, ttmp9
	s_wait_alu 0xfffe
	s_lshl_b32 s2, s2, 4
	s_wait_alu 0xfffe
	s_lshl_b64 s[2:3], s[2:3], 3
	v_lshlrev_b32_e32 v11, 3, v9
	v_mov_b32_e32 v9, v10
	s_wait_alu 0xfffe
	s_add_nc_u64 s[2:3], s[22:23], s[2:3]
	global_store_b64 v11, v[8:9], s[2:3]
.LBB9_379:
	s_wait_alu 0xfffe
	s_or_b32 exec_lo, exec_lo, s1
.LBB9_380:
	s_delay_alu instid0(SALU_CYCLE_1) | instskip(SKIP_2) | instid1(VALU_DEP_1)
	s_or_b32 exec_lo, exec_lo, s4
	v_or_b32_e32 v8, v80, v78
	s_mov_b32 s1, 0
	v_mul_i32_i24_e32 v8, 0xb0, v8
	s_delay_alu instid0(VALU_DEP_1)
	v_add3_u32 v8, 0, v8, v79
	ds_store_2addr_b32 v8, v0, v1 offset1:1
	ds_store_2addr_b32 v8, v2, v3 offset0:2 offset1:3
	ds_store_2addr_b32 v8, v4, v5 offset0:8 offset1:9
	;; [unrolled: 1-line block ×9, first 2 shown]
	s_wait_storecnt 0x0
	s_wait_loadcnt_dscnt 0x0
	s_barrier_signal -1
	s_barrier_wait -1
	global_inv scope:SCOPE_SE
	s_and_saveexec_b32 s2, s0
	s_cbranch_execz .LBB9_382
; %bb.381:
	v_bfe_u32 v0, v84, 1, 4
	v_add_nc_u32_e32 v1, 1, v74
	v_add_nc_u32_e32 v2, 2, v74
	;; [unrolled: 1-line block ×4, first 2 shown]
	v_and_or_b32 v0, 0x3e0, v84, v0
	v_lshlrev_b32_e32 v3, 1, v1
	v_and_b32_e32 v1, 15, v1
	v_lshlrev_b32_e32 v4, 1, v2
	v_lshlrev_b32_e32 v9, 1, v6
	v_mad_u32_u24 v5, 0xb0, v0, 0
	v_mad_u32_u24 v0, 0xb0, v0, v73
	v_and_or_b32 v3, 0x7e0, v3, v1
	v_and_b32_e32 v1, 15, v2
	v_and_b32_e32 v10, 15, v6
	v_add_nc_u32_e32 v2, 0xa0, v5
	v_lshlrev_b32_e32 v19, 1, v17
	v_mad_u32_u24 v5, 0xb0, v3, 0
	v_and_or_b32 v8, 0x7e0, v4, v1
	ds_load_2addr_stride64_b32 v[0:1], v0 offset1:11
	v_mad_u32_u24 v4, 0xb0, v3, v73
	ds_load_2addr_stride64_b32 v[2:3], v2 offset1:11
	v_add_nc_u32_e32 v7, 0xa0, v5
	v_mad_u32_u24 v11, 0xb0, v8, 0
	ds_load_2addr_stride64_b32 v[4:5], v4 offset1:11
	ds_load_2addr_stride64_b32 v[6:7], v7 offset1:11
	v_mad_u32_u24 v8, 0xb0, v8, v73
	v_and_or_b32 v12, 0x7e0, v9, v10
	v_add_nc_u32_e32 v10, 0xa0, v11
	ds_load_2addr_stride64_b32 v[8:9], v8 offset1:11
	ds_load_2addr_stride64_b32 v[10:11], v10 offset1:11
	v_mad_u32_u24 v13, 0xb0, v12, 0
	v_mad_u32_u24 v12, 0xb0, v12, v73
	v_and_b32_e32 v17, 15, v17
	v_mul_u32_u24_e32 v16, 40, v74
	s_mul_i32 s0, ttmp9, 0x280
	v_add_nc_u32_e32 v14, 0xa0, v13
	ds_load_2addr_stride64_b32 v[12:13], v12 offset1:11
	ds_load_2addr_stride64_b32 v[14:15], v14 offset1:11
	s_wait_dscnt 0x6
	v_fma_mix_f32 v18, v2, v0, 0 op_sel_hi:[0,1,0]
	v_fma_mix_f32 v2, v2, v0, 0 op_sel:[0,1,0] op_sel_hi:[0,1,0]
	v_add_lshl_u32 v16, v16, v52, 3
	s_wait_alu 0xfffe
	s_lshl_b64 s[4:5], s[0:1], 3
	s_lshl_b32 s0, s50, 5
	v_fma_mix_f32 v0, v3, v1, v18 op_sel_hi:[0,1,0]
	s_wait_dscnt 0x4
	v_fma_mix_f32 v18, v6, v4, 0 op_sel_hi:[0,1,0]
	v_fma_mix_f32 v1, v3, v1, v2 op_sel:[0,1,0] op_sel_hi:[0,1,0]
	v_fma_mix_f32 v3, v6, v4, 0 op_sel:[0,1,0] op_sel_hi:[0,1,0]
	v_and_or_b32 v6, 0x7e0, v19, v17
	v_add_nc_u32_e32 v4, 5, v74
	v_fma_mix_f32 v2, v7, v5, v18 op_sel_hi:[0,1,0]
	s_wait_alu 0xfffe
	s_add_nc_u64 s[4:5], s[22:23], s[4:5]
	v_fma_mix_f32 v3, v7, v5, v3 op_sel:[0,1,0] op_sel_hi:[0,1,0]
	s_wait_dscnt 0x2
	v_fma_mix_f32 v5, v10, v8, 0 op_sel_hi:[0,1,0]
	v_fma_mix_f32 v7, v10, v8, 0 op_sel:[0,1,0] op_sel_hi:[0,1,0]
	v_mad_u32_u24 v8, 0xb0, v6, 0
	v_lshlrev_b32_e32 v10, 1, v4
	v_and_b32_e32 v17, 15, v4
	v_fma_mix_f32 v4, v11, v9, v5 op_sel_hi:[0,1,0]
	v_fma_mix_f32 v5, v11, v9, v7 op_sel:[0,1,0] op_sel_hi:[0,1,0]
	v_add_nc_u32_e32 v7, 0xa0, v8
	v_mad_u32_u24 v8, 0xb0, v6, v73
	v_and_or_b32 v17, 0x7e0, v10, v17
	v_add_nc_u32_e32 v10, 6, v74
	s_wait_dscnt 0x0
	v_fma_mix_f32 v11, v14, v12, 0 op_sel_hi:[0,1,0]
	v_fma_mix_f32 v12, v14, v12, 0 op_sel:[0,1,0] op_sel_hi:[0,1,0]
	ds_load_2addr_stride64_b32 v[6:7], v7 offset1:11
	v_mad_u32_u24 v14, 0xb0, v17, 0
	ds_load_2addr_stride64_b32 v[8:9], v8 offset1:11
	v_lshlrev_b32_e32 v18, 1, v10
	v_and_b32_e32 v19, 15, v10
	v_mad_u32_u24 v17, 0xb0, v17, v73
	v_add_nc_u32_e32 v14, 0xa0, v14
	v_fma_mix_f32 v10, v15, v13, v11 op_sel_hi:[0,1,0]
	v_fma_mix_f32 v11, v15, v13, v12 op_sel:[0,1,0] op_sel_hi:[0,1,0]
	v_and_or_b32 v18, 0x7e0, v18, v19
	v_add_nc_u32_e32 v19, 7, v74
	ds_load_2addr_stride64_b32 v[12:13], v14 offset1:11
	ds_load_2addr_stride64_b32 v[14:15], v17 offset1:11
	s_lshl_b64 s[0:1], s[0:1], 3
	v_add_nc_u32_e32 v17, 0x3c0, v16
	v_mad_u32_u24 v20, 0xb0, v18, 0
	s_wait_alu 0xfffe
	s_add_nc_u64 s[0:1], s[4:5], s[0:1]
	v_lshlrev_b32_e32 v21, 1, v19
	v_and_b32_e32 v19, 15, v19
	s_clause 0x3
	global_store_b64 v16, v[0:1], s[0:1]
	global_store_b64 v16, v[2:3], s[0:1] offset:320
	global_store_b64 v16, v[4:5], s[0:1] offset:640
	global_store_b64 v17, v[10:11], s[0:1]
	v_add_nc_u32_e32 v0, 0xa0, v20
	v_mad_u32_u24 v2, 0xb0, v18, v73
	ds_load_2addr_stride64_b32 v[0:1], v0 offset1:11
	ds_load_2addr_stride64_b32 v[2:3], v2 offset1:11
	v_and_or_b32 v10, 0x7e0, v21, v19
	s_wait_dscnt 0x4
	v_fma_mix_f32 v4, v6, v8, 0 op_sel_hi:[0,1,0]
	v_fma_mix_f32 v5, v6, v8, 0 op_sel:[0,1,0] op_sel_hi:[0,1,0]
	v_add_nc_u32_e32 v8, 8, v74
	v_add_nc_u32_e32 v21, 10, v74
	v_mad_u32_u24 v6, 0xb0, v10, 0
	v_fma_mix_f32 v4, v7, v9, v4 op_sel_hi:[0,1,0]
	v_fma_mix_f32 v5, v7, v9, v5 op_sel:[0,1,0] op_sel_hi:[0,1,0]
	v_mad_u32_u24 v9, 0xb0, v10, v73
	v_lshlrev_b32_e32 v10, 1, v8
	v_and_b32_e32 v17, 15, v8
	s_wait_dscnt 0x2
	v_fma_mix_f32 v11, v12, v14, 0 op_sel_hi:[0,1,0]
	v_add_nc_u32_e32 v6, 0xa0, v6
	v_fma_mix_f32 v12, v12, v14, 0 op_sel:[0,1,0] op_sel_hi:[0,1,0]
	ds_load_2addr_stride64_b32 v[6:7], v6 offset1:11
	ds_load_2addr_stride64_b32 v[8:9], v9 offset1:11
	v_and_or_b32 v17, 0x7e0, v10, v17
	v_fma_mix_f32 v10, v13, v15, v11 op_sel_hi:[0,1,0]
	v_fma_mix_f32 v11, v13, v15, v12 op_sel:[0,1,0] op_sel_hi:[0,1,0]
	v_add_nc_u32_e32 v12, 9, v74
	s_wait_dscnt 0x2
	v_fma_mix_f32 v18, v0, v2, 0 op_sel_hi:[0,1,0]
	v_mad_u32_u24 v13, 0xb0, v17, 0
	v_fma_mix_f32 v2, v0, v2, 0 op_sel:[0,1,0] op_sel_hi:[0,1,0]
	v_mad_u32_u24 v17, 0xb0, v17, v73
	v_lshlrev_b32_e32 v19, 1, v12
	v_and_b32_e32 v12, 15, v12
	v_add_nc_u32_e32 v13, 0xa0, v13
	v_fma_mix_f32 v0, v1, v3, v18 op_sel_hi:[0,1,0]
	v_fma_mix_f32 v1, v1, v3, v2 op_sel:[0,1,0] op_sel_hi:[0,1,0]
	v_add_nc_u32_e32 v14, 0x500, v16
	v_and_or_b32 v18, 0x7e0, v19, v12
	ds_load_2addr_stride64_b32 v[2:3], v13 offset1:11
	ds_load_2addr_stride64_b32 v[12:13], v17 offset1:11
	v_add_nc_u32_e32 v15, 0x640, v16
	v_add_nc_u32_e32 v17, 0x780, v16
	s_clause 0x2
	global_store_b64 v14, v[4:5], s[0:1]
	global_store_b64 v15, v[10:11], s[0:1]
	;; [unrolled: 1-line block ×3, first 2 shown]
	s_wait_dscnt 0x2
	v_fma_mix_f32 v19, v6, v8, 0 op_sel_hi:[0,1,0]
	v_mad_u32_u24 v20, 0xb0, v18, 0
	v_fma_mix_f32 v1, v6, v8, 0 op_sel:[0,1,0] op_sel_hi:[0,1,0]
	v_lshlrev_b32_e32 v6, 1, v21
	v_and_b32_e32 v8, 15, v21
	v_fma_mix_f32 v0, v7, v9, v19 op_sel_hi:[0,1,0]
	v_add_nc_u32_e32 v4, 0xa0, v20
	v_fma_mix_f32 v1, v7, v9, v1 op_sel:[0,1,0] op_sel_hi:[0,1,0]
	v_mad_u32_u24 v7, 0xb0, v18, v73
	v_and_or_b32 v8, 0x7e0, v6, v8
	v_add_nc_u32_e32 v9, 11, v74
	ds_load_2addr_stride64_b32 v[4:5], v4 offset1:11
	v_add_nc_u32_e32 v14, 0x8c0, v16
	ds_load_2addr_stride64_b32 v[6:7], v7 offset1:11
	s_wait_dscnt 0x2
	v_fma_mix_f32 v10, v2, v12, 0 op_sel_hi:[0,1,0]
	v_fma_mix_f32 v11, v2, v12, 0 op_sel:[0,1,0] op_sel_hi:[0,1,0]
	v_mad_u32_u24 v12, 0xb0, v8, 0
	v_lshlrev_b32_e32 v15, 1, v9
	v_and_b32_e32 v9, 15, v9
	v_fma_mix_f32 v2, v3, v13, v10 op_sel_hi:[0,1,0]
	v_fma_mix_f32 v3, v3, v13, v11 op_sel:[0,1,0] op_sel_hi:[0,1,0]
	v_add_nc_u32_e32 v10, 0xa0, v12
	v_add_nc_u32_e32 v13, 12, v74
	v_and_or_b32 v12, 0x7e0, v15, v9
	v_mad_u32_u24 v11, 0xb0, v8, v73
	ds_load_2addr_stride64_b32 v[8:9], v10 offset1:11
	ds_load_2addr_stride64_b32 v[10:11], v11 offset1:11
	v_mad_u32_u24 v17, 0xb0, v12, 0
	v_lshlrev_b32_e32 v18, 1, v13
	v_and_b32_e32 v13, 15, v13
	v_add_nc_u32_e32 v15, 0xa00, v16
	s_clause 0x1
	global_store_b64 v14, v[0:1], s[0:1]
	global_store_b64 v15, v[2:3], s[0:1]
	v_add_nc_u32_e32 v1, 0xa0, v17
	v_and_or_b32 v14, 0x7e0, v18, v13
	v_mad_u32_u24 v12, 0xb0, v12, v73
	s_wait_dscnt 0x2
	v_fma_mix_f32 v0, v4, v6, 0 op_sel_hi:[0,1,0]
	v_fma_mix_f32 v4, v4, v6, 0 op_sel:[0,1,0] op_sel_hi:[0,1,0]
	ds_load_2addr_stride64_b32 v[2:3], v1 offset1:11
	v_mad_u32_u24 v6, 0xb0, v14, 0
	ds_load_2addr_stride64_b32 v[12:13], v12 offset1:11
	v_add_nc_u32_e32 v15, 13, v74
	v_fma_mix_f32 v1, v5, v7, v4 op_sel:[0,1,0] op_sel_hi:[0,1,0]
	v_fma_mix_f32 v0, v5, v7, v0 op_sel_hi:[0,1,0]
	v_add_nc_u32_e32 v4, 0xa0, v6
	v_mad_u32_u24 v6, 0xb0, v14, v73
	v_lshlrev_b32_e32 v14, 1, v15
	v_and_b32_e32 v15, 15, v15
	v_add_nc_u32_e32 v17, 0xb40, v16
	s_wait_dscnt 0x2
	v_fma_mix_f32 v18, v8, v10, 0 op_sel_hi:[0,1,0]
	v_fma_mix_f32 v8, v8, v10, 0 op_sel:[0,1,0] op_sel_hi:[0,1,0]
	ds_load_2addr_stride64_b32 v[4:5], v4 offset1:11
	ds_load_2addr_stride64_b32 v[6:7], v6 offset1:11
	v_and_or_b32 v10, 0x7e0, v14, v15
	v_add_nc_u32_e32 v14, 14, v74
	global_store_b64 v17, v[0:1], s[0:1]
	v_fma_mix_f32 v0, v9, v11, v18 op_sel_hi:[0,1,0]
	v_fma_mix_f32 v1, v9, v11, v8 op_sel:[0,1,0] op_sel_hi:[0,1,0]
	v_mad_u32_u24 v8, 0xb0, v10, 0
	v_lshlrev_b32_e32 v9, 1, v14
	v_and_b32_e32 v11, 15, v14
	s_wait_dscnt 0x2
	v_fma_mix_f32 v14, v2, v12, 0 op_sel_hi:[0,1,0]
	v_mad_u32_u24 v10, 0xb0, v10, v73
	v_add_nc_u32_e32 v8, 0xa0, v8
	v_fma_mix_f32 v12, v2, v12, 0 op_sel:[0,1,0] op_sel_hi:[0,1,0]
	v_and_or_b32 v15, 0x7e0, v9, v11
	v_fma_mix_f32 v2, v3, v13, v14 op_sel_hi:[0,1,0]
	ds_load_2addr_stride64_b32 v[8:9], v8 offset1:11
	ds_load_2addr_stride64_b32 v[10:11], v10 offset1:11
	v_add_nc_u32_e32 v18, 15, v74
	v_mad_u32_u24 v14, 0xb0, v15, 0
	v_fma_mix_f32 v3, v3, v13, v12 op_sel:[0,1,0] op_sel_hi:[0,1,0]
	s_wait_dscnt 0x2
	v_fma_mix_f32 v12, v4, v6, 0 op_sel_hi:[0,1,0]
	v_mad_u32_u24 v15, 0xb0, v15, v73
	v_add_nc_u32_e32 v17, 0xc80, v16
	v_add_nc_u32_e32 v13, 0xa0, v14
	v_lshlrev_b32_e32 v14, 1, v18
	v_and_b32_e32 v18, 15, v18
	v_fma_mix_f32 v6, v4, v6, 0 op_sel:[0,1,0] op_sel_hi:[0,1,0]
	v_fma_mix_f32 v4, v5, v7, v12 op_sel_hi:[0,1,0]
	ds_load_2addr_stride64_b32 v[12:13], v13 offset1:11
	v_add_nc_u32_e32 v19, 0xdc0, v16
	v_and_or_b32 v18, 0x7e0, v14, v18
	ds_load_2addr_stride64_b32 v[14:15], v15 offset1:11
	global_store_b64 v17, v[0:1], s[0:1]
	v_add_nc_u32_e32 v17, v83, v77
	v_fma_mix_f32 v5, v5, v7, v6 op_sel:[0,1,0] op_sel_hi:[0,1,0]
	v_mad_u32_u24 v0, 0xb0, v18, 0
	v_add_nc_u32_e32 v6, 0xf00, v16
	s_clause 0x1
	global_store_b64 v19, v[2:3], s[0:1]
	global_store_b64 v6, v[4:5], s[0:1]
	s_wait_dscnt 0x2
	v_fma_mix_f32 v1, v8, v10, 0 op_sel_hi:[0,1,0]
	v_add_nc_u32_e32 v2, 0xa0, v0
	v_lshlrev_b32_e32 v4, 1, v17
	v_and_b32_e32 v5, 15, v17
	v_mad_u32_u24 v6, 0xb0, v18, v73
	v_fma_mix_f32 v7, v8, v10, 0 op_sel:[0,1,0] op_sel_hi:[0,1,0]
	v_fma_mix_f32 v0, v9, v11, v1 op_sel_hi:[0,1,0]
	ds_load_2addr_stride64_b32 v[2:3], v2 offset1:11
	v_and_or_b32 v8, 0x1fe0, v4, v5
	ds_load_2addr_stride64_b32 v[4:5], v6 offset1:11
	v_fma_mix_f32 v1, v9, v11, v7 op_sel:[0,1,0] op_sel_hi:[0,1,0]
	v_add_nc_u32_e32 v9, 4, v17
	s_wait_dscnt 0x2
	v_fma_mix_f32 v6, v12, v14, 0 op_sel_hi:[0,1,0]
	v_mad_u32_u24 v7, 0xb0, v8, 0
	v_fma_mix_f32 v10, v12, v14, 0 op_sel:[0,1,0] op_sel_hi:[0,1,0]
	v_mad_u32_u24 v8, 0xb0, v8, v76
	v_lshlrev_b32_e32 v12, 1, v9
	v_and_b32_e32 v14, 15, v9
	v_add_nc_u32_e32 v18, 0x1040, v16
	v_add_nc_u32_e32 v11, 0xa0, v7
	;; [unrolled: 1-line block ×3, first 2 shown]
	v_fma_mix_f32 v6, v13, v15, v6 op_sel_hi:[0,1,0]
	v_and_or_b32 v12, 0x3fe0, v12, v14
	v_fma_mix_f32 v7, v13, v15, v10 op_sel:[0,1,0] op_sel_hi:[0,1,0]
	v_add_nc_u32_e32 v13, 0x1180, v16
	ds_load_2addr_stride64_b32 v[8:9], v11 offset1:11
	ds_load_2addr_stride64_b32 v[10:11], v19 offset1:11
	s_clause 0x1
	global_store_b64 v18, v[0:1], s[0:1]
	global_store_b64 v13, v[6:7], s[0:1]
	v_mad_u32_u24 v1, 0xb0, v12, 0
	v_add_nc_u32_e32 v6, 8, v17
	s_wait_dscnt 0x2
	v_fma_mix_f32 v0, v2, v4, 0 op_sel_hi:[0,1,0]
	v_fma_mix_f32 v2, v2, v4, 0 op_sel:[0,1,0] op_sel_hi:[0,1,0]
	v_mad_u32_u24 v4, 0xb0, v12, v76
	v_add_nc_u32_e32 v7, 0xa0, v1
	v_lshlrev_b32_e32 v12, 1, v6
	v_and_b32_e32 v6, 15, v6
	v_fma_mix_f32 v0, v3, v5, v0 op_sel_hi:[0,1,0]
	v_fma_mix_f32 v1, v3, v5, v2 op_sel:[0,1,0] op_sel_hi:[0,1,0]
	ds_load_2addr_stride64_b32 v[2:3], v7 offset1:11
	v_add_nc_u32_e32 v7, 12, v17
	v_and_or_b32 v6, 0x3fe0, v12, v6
	v_add_nc_u32_e32 v4, 0x80, v4
	v_add_nc_u32_e32 v22, 0x12c0, v16
	v_mul_u32_u24_e32 v12, 40, v17
	v_lshlrev_b32_e32 v16, 1, v7
	v_mad_u32_u24 v14, 0xb0, v6, 0
	v_and_b32_e32 v7, 15, v7
	v_mad_u32_u24 v15, 0xb0, v6, v76
	ds_load_2addr_stride64_b32 v[4:5], v4 offset1:11
	s_wait_dscnt 0x2
	v_fma_mix_f32 v13, v8, v10, 0 op_sel_hi:[0,1,0]
	v_fma_mix_f32 v8, v8, v10, 0 op_sel:[0,1,0] op_sel_hi:[0,1,0]
	v_add_nc_u32_e32 v10, 0xa0, v14
	v_and_or_b32 v7, 0x3fe0, v16, v7
	v_add_nc_u32_e32 v17, 0x80, v15
	ds_load_2addr_stride64_b32 v[14:15], v10 offset1:11
	ds_load_2addr_stride64_b32 v[16:17], v17 offset1:11
	v_mad_u32_u24 v10, 0xb0, v7, 0
	v_mad_u32_u24 v18, 0xb0, v7, v76
	v_fma_mix_f32 v6, v9, v11, v13 op_sel_hi:[0,1,0]
	v_or_b32_e32 v12, v12, v75
	v_mov_b32_e32 v13, 0
	v_add_nc_u32_e32 v19, 0xa0, v10
	v_add_nc_u32_e32 v20, 0x80, v18
	ds_load_2addr_stride64_b32 v[18:19], v19 offset1:11
	ds_load_2addr_stride64_b32 v[20:21], v20 offset1:11
	v_fma_mix_f32 v7, v9, v11, v8 op_sel:[0,1,0] op_sel_hi:[0,1,0]
	s_wait_dscnt 0x4
	v_fma_mix_f32 v23, v2, v4, 0 op_sel_hi:[0,1,0]
	v_fma_mix_f32 v4, v2, v4, 0 op_sel:[0,1,0] op_sel_hi:[0,1,0]
	v_dual_mov_b32 v11, v13 :: v_dual_add_nc_u32 v10, 0xa0, v12
	v_lshlrev_b64_e32 v[8:9], 3, v[12:13]
	s_delay_alu instid0(VALU_DEP_4) | instskip(NEXT) | instid1(VALU_DEP_4)
	v_fma_mix_f32 v2, v3, v5, v23 op_sel_hi:[0,1,0]
	v_fma_mix_f32 v3, v3, v5, v4 op_sel:[0,1,0] op_sel_hi:[0,1,0]
	s_wait_dscnt 0x2
	v_fma_mix_f32 v23, v14, v16, 0 op_sel_hi:[0,1,0]
	v_lshlrev_b64_e32 v[4:5], 3, v[10:11]
	v_add_nc_u32_e32 v10, 0x140, v12
	v_add_nc_u32_e32 v12, 0x1e0, v12
	v_fma_mix_f32 v16, v14, v16, 0 op_sel:[0,1,0] op_sel_hi:[0,1,0]
	s_wait_alu 0xfffe
	v_add_co_u32 v8, vcc_lo, s0, v8
	v_lshlrev_b64_e32 v[10:11], 3, v[10:11]
	v_lshlrev_b64_e32 v[12:13], 3, v[12:13]
	s_wait_alu 0xfffd
	v_add_co_ci_u32_e64 v9, null, s1, v9, vcc_lo
	v_add_co_u32 v4, vcc_lo, s0, v4
	v_fma_mix_f32 v14, v15, v17, v23 op_sel_hi:[0,1,0]
	v_fma_mix_f32 v15, v15, v17, v16 op_sel:[0,1,0] op_sel_hi:[0,1,0]
	s_wait_dscnt 0x0
	v_fma_mix_f32 v16, v18, v20, 0 op_sel_hi:[0,1,0]
	v_fma_mix_f32 v17, v18, v20, 0 op_sel:[0,1,0] op_sel_hi:[0,1,0]
	s_wait_alu 0xfffd
	v_add_co_ci_u32_e64 v5, null, s1, v5, vcc_lo
	v_add_co_u32 v10, vcc_lo, s0, v10
	s_wait_alu 0xfffd
	v_add_co_ci_u32_e64 v11, null, s1, v11, vcc_lo
	v_add_co_u32 v12, vcc_lo, s0, v12
	v_fma_mix_f32 v16, v19, v21, v16 op_sel_hi:[0,1,0]
	v_fma_mix_f32 v17, v19, v21, v17 op_sel:[0,1,0] op_sel_hi:[0,1,0]
	s_wait_alu 0xfffd
	v_add_co_ci_u32_e64 v13, null, s1, v13, vcc_lo
	s_clause 0x4
	global_store_b64 v22, v[0:1], s[0:1]
	global_store_b64 v[8:9], v[6:7], off offset:256
	global_store_b64 v[4:5], v[2:3], off offset:256
	;; [unrolled: 1-line block ×4, first 2 shown]
.LBB9_382:
	s_wait_alu 0xfffe
	s_or_b32 exec_lo, exec_lo, s2
	s_wait_loadcnt 0x0
	s_wait_storecnt 0x0
	s_barrier_signal -1
	s_barrier_wait -1
	global_inv scope:SCOPE_SE
	s_endpgm
	.section	.rodata,"a",@progbits
	.p2align	6, 0x0
	.amdhsa_kernel _ZL18flash_attn_ext_f16ILi80ELi80ELi8ELi2ELb0ELb0EEvPKcS1_S1_S1_S1_PKiPfP15HIP_vector_typeIfLj2EEffffjfiS5_IjLj3EEiiiiiiiiiiiliiliiiiil
		.amdhsa_group_segment_fixed_size 0
		.amdhsa_private_segment_fixed_size 12
		.amdhsa_kernarg_size 464
		.amdhsa_user_sgpr_count 2
		.amdhsa_user_sgpr_dispatch_ptr 0
		.amdhsa_user_sgpr_queue_ptr 0
		.amdhsa_user_sgpr_kernarg_segment_ptr 1
		.amdhsa_user_sgpr_dispatch_id 0
		.amdhsa_user_sgpr_private_segment_size 0
		.amdhsa_wavefront_size32 1
		.amdhsa_uses_dynamic_stack 0
		.amdhsa_enable_private_segment 1
		.amdhsa_system_sgpr_workgroup_id_x 1
		.amdhsa_system_sgpr_workgroup_id_y 0
		.amdhsa_system_sgpr_workgroup_id_z 0
		.amdhsa_system_sgpr_workgroup_info 0
		.amdhsa_system_vgpr_workitem_id 1
		.amdhsa_next_free_vgpr 256
		.amdhsa_next_free_sgpr 105
		.amdhsa_reserve_vcc 1
		.amdhsa_float_round_mode_32 0
		.amdhsa_float_round_mode_16_64 0
		.amdhsa_float_denorm_mode_32 3
		.amdhsa_float_denorm_mode_16_64 3
		.amdhsa_fp16_overflow 0
		.amdhsa_workgroup_processor_mode 1
		.amdhsa_memory_ordered 1
		.amdhsa_forward_progress 1
		.amdhsa_inst_pref_size 255
		.amdhsa_round_robin_scheduling 0
		.amdhsa_exception_fp_ieee_invalid_op 0
		.amdhsa_exception_fp_denorm_src 0
		.amdhsa_exception_fp_ieee_div_zero 0
		.amdhsa_exception_fp_ieee_overflow 0
		.amdhsa_exception_fp_ieee_underflow 0
		.amdhsa_exception_fp_ieee_inexact 0
		.amdhsa_exception_int_div_zero 0
	.end_amdhsa_kernel
	.section	.text._ZL18flash_attn_ext_f16ILi80ELi80ELi8ELi2ELb0ELb0EEvPKcS1_S1_S1_S1_PKiPfP15HIP_vector_typeIfLj2EEffffjfiS5_IjLj3EEiiiiiiiiiiiliiliiiiil,"axG",@progbits,_ZL18flash_attn_ext_f16ILi80ELi80ELi8ELi2ELb0ELb0EEvPKcS1_S1_S1_S1_PKiPfP15HIP_vector_typeIfLj2EEffffjfiS5_IjLj3EEiiiiiiiiiiiliiliiiiil,comdat
.Lfunc_end9:
	.size	_ZL18flash_attn_ext_f16ILi80ELi80ELi8ELi2ELb0ELb0EEvPKcS1_S1_S1_S1_PKiPfP15HIP_vector_typeIfLj2EEffffjfiS5_IjLj3EEiiiiiiiiiiiliiliiiiil, .Lfunc_end9-_ZL18flash_attn_ext_f16ILi80ELi80ELi8ELi2ELb0ELb0EEvPKcS1_S1_S1_S1_PKiPfP15HIP_vector_typeIfLj2EEffffjfiS5_IjLj3EEiiiiiiiiiiiliiliiiiil
                                        ; -- End function
	.set _ZL18flash_attn_ext_f16ILi80ELi80ELi8ELi2ELb0ELb0EEvPKcS1_S1_S1_S1_PKiPfP15HIP_vector_typeIfLj2EEffffjfiS5_IjLj3EEiiiiiiiiiiiliiliiiiil.num_vgpr, 256
	.set _ZL18flash_attn_ext_f16ILi80ELi80ELi8ELi2ELb0ELb0EEvPKcS1_S1_S1_S1_PKiPfP15HIP_vector_typeIfLj2EEffffjfiS5_IjLj3EEiiiiiiiiiiiliiliiiiil.num_agpr, 0
	.set _ZL18flash_attn_ext_f16ILi80ELi80ELi8ELi2ELb0ELb0EEvPKcS1_S1_S1_S1_PKiPfP15HIP_vector_typeIfLj2EEffffjfiS5_IjLj3EEiiiiiiiiiiiliiliiiiil.numbered_sgpr, 105
	.set _ZL18flash_attn_ext_f16ILi80ELi80ELi8ELi2ELb0ELb0EEvPKcS1_S1_S1_S1_PKiPfP15HIP_vector_typeIfLj2EEffffjfiS5_IjLj3EEiiiiiiiiiiiliiliiiiil.num_named_barrier, 0
	.set _ZL18flash_attn_ext_f16ILi80ELi80ELi8ELi2ELb0ELb0EEvPKcS1_S1_S1_S1_PKiPfP15HIP_vector_typeIfLj2EEffffjfiS5_IjLj3EEiiiiiiiiiiiliiliiiiil.private_seg_size, 12
	.set _ZL18flash_attn_ext_f16ILi80ELi80ELi8ELi2ELb0ELb0EEvPKcS1_S1_S1_S1_PKiPfP15HIP_vector_typeIfLj2EEffffjfiS5_IjLj3EEiiiiiiiiiiiliiliiiiil.uses_vcc, 1
	.set _ZL18flash_attn_ext_f16ILi80ELi80ELi8ELi2ELb0ELb0EEvPKcS1_S1_S1_S1_PKiPfP15HIP_vector_typeIfLj2EEffffjfiS5_IjLj3EEiiiiiiiiiiiliiliiiiil.uses_flat_scratch, 0
	.set _ZL18flash_attn_ext_f16ILi80ELi80ELi8ELi2ELb0ELb0EEvPKcS1_S1_S1_S1_PKiPfP15HIP_vector_typeIfLj2EEffffjfiS5_IjLj3EEiiiiiiiiiiiliiliiiiil.has_dyn_sized_stack, 0
	.set _ZL18flash_attn_ext_f16ILi80ELi80ELi8ELi2ELb0ELb0EEvPKcS1_S1_S1_S1_PKiPfP15HIP_vector_typeIfLj2EEffffjfiS5_IjLj3EEiiiiiiiiiiiliiliiiiil.has_recursion, 0
	.set _ZL18flash_attn_ext_f16ILi80ELi80ELi8ELi2ELb0ELb0EEvPKcS1_S1_S1_S1_PKiPfP15HIP_vector_typeIfLj2EEffffjfiS5_IjLj3EEiiiiiiiiiiiliiliiiiil.has_indirect_call, 0
	.section	.AMDGPU.csdata,"",@progbits
; Kernel info:
; codeLenInByte = 52928
; TotalNumSgprs: 107
; NumVgprs: 256
; ScratchSize: 12
; MemoryBound: 0
; FloatMode: 240
; IeeeMode: 1
; LDSByteSize: 0 bytes/workgroup (compile time only)
; SGPRBlocks: 0
; VGPRBlocks: 31
; NumSGPRsForWavesPerEU: 107
; NumVGPRsForWavesPerEU: 256
; Occupancy: 5
; WaveLimiterHint : 1
; COMPUTE_PGM_RSRC2:SCRATCH_EN: 1
; COMPUTE_PGM_RSRC2:USER_SGPR: 2
; COMPUTE_PGM_RSRC2:TRAP_HANDLER: 0
; COMPUTE_PGM_RSRC2:TGID_X_EN: 1
; COMPUTE_PGM_RSRC2:TGID_Y_EN: 0
; COMPUTE_PGM_RSRC2:TGID_Z_EN: 0
; COMPUTE_PGM_RSRC2:TIDIG_COMP_CNT: 1
	.section	.text._ZL18flash_attn_ext_f16ILi80ELi80ELi8ELi2ELb1ELb0EEvPKcS1_S1_S1_S1_PKiPfP15HIP_vector_typeIfLj2EEffffjfiS5_IjLj3EEiiiiiiiiiiiliiliiiiil,"axG",@progbits,_ZL18flash_attn_ext_f16ILi80ELi80ELi8ELi2ELb1ELb0EEvPKcS1_S1_S1_S1_PKiPfP15HIP_vector_typeIfLj2EEffffjfiS5_IjLj3EEiiiiiiiiiiiliiliiiiil,comdat
	.globl	_ZL18flash_attn_ext_f16ILi80ELi80ELi8ELi2ELb1ELb0EEvPKcS1_S1_S1_S1_PKiPfP15HIP_vector_typeIfLj2EEffffjfiS5_IjLj3EEiiiiiiiiiiiliiliiiiil ; -- Begin function _ZL18flash_attn_ext_f16ILi80ELi80ELi8ELi2ELb1ELb0EEvPKcS1_S1_S1_S1_PKiPfP15HIP_vector_typeIfLj2EEffffjfiS5_IjLj3EEiiiiiiiiiiiliiliiiiil
	.p2align	8
	.type	_ZL18flash_attn_ext_f16ILi80ELi80ELi8ELi2ELb1ELb0EEvPKcS1_S1_S1_S1_PKiPfP15HIP_vector_typeIfLj2EEffffjfiS5_IjLj3EEiiiiiiiiiiiliiliiiiil,@function
_ZL18flash_attn_ext_f16ILi80ELi80ELi8ELi2ELb1ELb0EEvPKcS1_S1_S1_S1_PKiPfP15HIP_vector_typeIfLj2EEffffjfiS5_IjLj3EEiiiiiiiiiiiliiliiiiil: ; @_ZL18flash_attn_ext_f16ILi80ELi80ELi8ELi2ELb1ELb0EEvPKcS1_S1_S1_S1_PKiPfP15HIP_vector_typeIfLj2EEffffjfiS5_IjLj3EEiiiiiiiiiiiliiliiiiil
; %bb.0:
	v_mov_b32_e32 v0, 0x6cc
	s_add_nc_u64 s[8:9], s[0:1], 0xd0
	s_getpc_b64 s[0:1]
	s_sext_i32_i16 s1, s1
	s_add_co_u32 s0, s0, _ZL14no_device_codePKciS0_iS0_@rel32@lo+8
	s_add_co_ci_u32 s1, s1, _ZL14no_device_codePKciS0_iS0_@rel32@hi+16
	s_mov_b32 s32, 0
	s_swappc_b64 s[30:31], s[0:1]
	.section	.rodata,"a",@progbits
	.p2align	6, 0x0
	.amdhsa_kernel _ZL18flash_attn_ext_f16ILi80ELi80ELi8ELi2ELb1ELb0EEvPKcS1_S1_S1_S1_PKiPfP15HIP_vector_typeIfLj2EEffffjfiS5_IjLj3EEiiiiiiiiiiiliiliiiiil
		.amdhsa_group_segment_fixed_size 0
		.amdhsa_private_segment_fixed_size 16
		.amdhsa_kernarg_size 464
		.amdhsa_user_sgpr_count 2
		.amdhsa_user_sgpr_dispatch_ptr 0
		.amdhsa_user_sgpr_queue_ptr 0
		.amdhsa_user_sgpr_kernarg_segment_ptr 1
		.amdhsa_user_sgpr_dispatch_id 0
		.amdhsa_user_sgpr_private_segment_size 0
		.amdhsa_wavefront_size32 1
		.amdhsa_uses_dynamic_stack 0
		.amdhsa_enable_private_segment 1
		.amdhsa_system_sgpr_workgroup_id_x 1
		.amdhsa_system_sgpr_workgroup_id_y 0
		.amdhsa_system_sgpr_workgroup_id_z 0
		.amdhsa_system_sgpr_workgroup_info 0
		.amdhsa_system_vgpr_workitem_id 0
		.amdhsa_next_free_vgpr 40
		.amdhsa_next_free_sgpr 34
		.amdhsa_reserve_vcc 1
		.amdhsa_float_round_mode_32 0
		.amdhsa_float_round_mode_16_64 0
		.amdhsa_float_denorm_mode_32 3
		.amdhsa_float_denorm_mode_16_64 3
		.amdhsa_fp16_overflow 0
		.amdhsa_workgroup_processor_mode 1
		.amdhsa_memory_ordered 1
		.amdhsa_forward_progress 1
		.amdhsa_inst_pref_size 1
		.amdhsa_round_robin_scheduling 0
		.amdhsa_exception_fp_ieee_invalid_op 0
		.amdhsa_exception_fp_denorm_src 0
		.amdhsa_exception_fp_ieee_div_zero 0
		.amdhsa_exception_fp_ieee_overflow 0
		.amdhsa_exception_fp_ieee_underflow 0
		.amdhsa_exception_fp_ieee_inexact 0
		.amdhsa_exception_int_div_zero 0
	.end_amdhsa_kernel
	.section	.text._ZL18flash_attn_ext_f16ILi80ELi80ELi8ELi2ELb1ELb0EEvPKcS1_S1_S1_S1_PKiPfP15HIP_vector_typeIfLj2EEffffjfiS5_IjLj3EEiiiiiiiiiiiliiliiiiil,"axG",@progbits,_ZL18flash_attn_ext_f16ILi80ELi80ELi8ELi2ELb1ELb0EEvPKcS1_S1_S1_S1_PKiPfP15HIP_vector_typeIfLj2EEffffjfiS5_IjLj3EEiiiiiiiiiiiliiliiiiil,comdat
.Lfunc_end10:
	.size	_ZL18flash_attn_ext_f16ILi80ELi80ELi8ELi2ELb1ELb0EEvPKcS1_S1_S1_S1_PKiPfP15HIP_vector_typeIfLj2EEffffjfiS5_IjLj3EEiiiiiiiiiiiliiliiiiil, .Lfunc_end10-_ZL18flash_attn_ext_f16ILi80ELi80ELi8ELi2ELb1ELb0EEvPKcS1_S1_S1_S1_PKiPfP15HIP_vector_typeIfLj2EEffffjfiS5_IjLj3EEiiiiiiiiiiiliiliiiiil
                                        ; -- End function
	.set _ZL18flash_attn_ext_f16ILi80ELi80ELi8ELi2ELb1ELb0EEvPKcS1_S1_S1_S1_PKiPfP15HIP_vector_typeIfLj2EEffffjfiS5_IjLj3EEiiiiiiiiiiiliiliiiiil.num_vgpr, max(1, .L_ZL14no_device_codePKciS0_iS0_.num_vgpr)
	.set _ZL18flash_attn_ext_f16ILi80ELi80ELi8ELi2ELb1ELb0EEvPKcS1_S1_S1_S1_PKiPfP15HIP_vector_typeIfLj2EEffffjfiS5_IjLj3EEiiiiiiiiiiiliiliiiiil.num_agpr, max(0, .L_ZL14no_device_codePKciS0_iS0_.num_agpr)
	.set _ZL18flash_attn_ext_f16ILi80ELi80ELi8ELi2ELb1ELb0EEvPKcS1_S1_S1_S1_PKiPfP15HIP_vector_typeIfLj2EEffffjfiS5_IjLj3EEiiiiiiiiiiiliiliiiiil.numbered_sgpr, max(33, .L_ZL14no_device_codePKciS0_iS0_.numbered_sgpr)
	.set _ZL18flash_attn_ext_f16ILi80ELi80ELi8ELi2ELb1ELb0EEvPKcS1_S1_S1_S1_PKiPfP15HIP_vector_typeIfLj2EEffffjfiS5_IjLj3EEiiiiiiiiiiiliiliiiiil.num_named_barrier, max(0, .L_ZL14no_device_codePKciS0_iS0_.num_named_barrier)
	.set _ZL18flash_attn_ext_f16ILi80ELi80ELi8ELi2ELb1ELb0EEvPKcS1_S1_S1_S1_PKiPfP15HIP_vector_typeIfLj2EEffffjfiS5_IjLj3EEiiiiiiiiiiiliiliiiiil.private_seg_size, 0+max(.L_ZL14no_device_codePKciS0_iS0_.private_seg_size)
	.set _ZL18flash_attn_ext_f16ILi80ELi80ELi8ELi2ELb1ELb0EEvPKcS1_S1_S1_S1_PKiPfP15HIP_vector_typeIfLj2EEffffjfiS5_IjLj3EEiiiiiiiiiiiliiliiiiil.uses_vcc, or(1, .L_ZL14no_device_codePKciS0_iS0_.uses_vcc)
	.set _ZL18flash_attn_ext_f16ILi80ELi80ELi8ELi2ELb1ELb0EEvPKcS1_S1_S1_S1_PKiPfP15HIP_vector_typeIfLj2EEffffjfiS5_IjLj3EEiiiiiiiiiiiliiliiiiil.uses_flat_scratch, or(0, .L_ZL14no_device_codePKciS0_iS0_.uses_flat_scratch)
	.set _ZL18flash_attn_ext_f16ILi80ELi80ELi8ELi2ELb1ELb0EEvPKcS1_S1_S1_S1_PKiPfP15HIP_vector_typeIfLj2EEffffjfiS5_IjLj3EEiiiiiiiiiiiliiliiiiil.has_dyn_sized_stack, or(0, .L_ZL14no_device_codePKciS0_iS0_.has_dyn_sized_stack)
	.set _ZL18flash_attn_ext_f16ILi80ELi80ELi8ELi2ELb1ELb0EEvPKcS1_S1_S1_S1_PKiPfP15HIP_vector_typeIfLj2EEffffjfiS5_IjLj3EEiiiiiiiiiiiliiliiiiil.has_recursion, or(0, .L_ZL14no_device_codePKciS0_iS0_.has_recursion)
	.set _ZL18flash_attn_ext_f16ILi80ELi80ELi8ELi2ELb1ELb0EEvPKcS1_S1_S1_S1_PKiPfP15HIP_vector_typeIfLj2EEffffjfiS5_IjLj3EEiiiiiiiiiiiliiliiiiil.has_indirect_call, or(0, .L_ZL14no_device_codePKciS0_iS0_.has_indirect_call)
	.section	.AMDGPU.csdata,"",@progbits
; Kernel info:
; codeLenInByte = 48
; TotalNumSgprs: 36
; NumVgprs: 40
; ScratchSize: 16
; MemoryBound: 0
; FloatMode: 240
; IeeeMode: 1
; LDSByteSize: 0 bytes/workgroup (compile time only)
; SGPRBlocks: 0
; VGPRBlocks: 4
; NumSGPRsForWavesPerEU: 36
; NumVGPRsForWavesPerEU: 40
; Occupancy: 16
; WaveLimiterHint : 1
; COMPUTE_PGM_RSRC2:SCRATCH_EN: 1
; COMPUTE_PGM_RSRC2:USER_SGPR: 2
; COMPUTE_PGM_RSRC2:TRAP_HANDLER: 0
; COMPUTE_PGM_RSRC2:TGID_X_EN: 1
; COMPUTE_PGM_RSRC2:TGID_Y_EN: 0
; COMPUTE_PGM_RSRC2:TGID_Z_EN: 0
; COMPUTE_PGM_RSRC2:TIDIG_COMP_CNT: 0
	.section	.text._ZL33flash_attn_stream_k_fixup_uniformILi80ELi8ELi2EEvPfPK15HIP_vector_typeIfLj2EEiiiiiiS1_IjLj3EES5_S5_,"axG",@progbits,_ZL33flash_attn_stream_k_fixup_uniformILi80ELi8ELi2EEvPfPK15HIP_vector_typeIfLj2EEiiiiiiS1_IjLj3EES5_S5_,comdat
	.globl	_ZL33flash_attn_stream_k_fixup_uniformILi80ELi8ELi2EEvPfPK15HIP_vector_typeIfLj2EEiiiiiiS1_IjLj3EES5_S5_ ; -- Begin function _ZL33flash_attn_stream_k_fixup_uniformILi80ELi8ELi2EEvPfPK15HIP_vector_typeIfLj2EEiiiiiiS1_IjLj3EES5_S5_
	.p2align	8
	.type	_ZL33flash_attn_stream_k_fixup_uniformILi80ELi8ELi2EEvPfPK15HIP_vector_typeIfLj2EEiiiiiiS1_IjLj3EES5_S5_,@function
_ZL33flash_attn_stream_k_fixup_uniformILi80ELi8ELi2EEvPfPK15HIP_vector_typeIfLj2EEiiiiiiS1_IjLj3EES5_S5_: ; @_ZL33flash_attn_stream_k_fixup_uniformILi80ELi8ELi2EEvPfPK15HIP_vector_typeIfLj2EEiiiiiiS1_IjLj3EES5_S5_
; %bb.0:
	s_clause 0x1
	s_load_b256 s[4:11], s[0:1], 0x1c
	s_load_b128 s[12:15], s[0:1], 0x3c
	s_wait_kmcnt 0x0
	s_mul_hi_u32 s2, s7, ttmp9
	s_delay_alu instid0(SALU_CYCLE_1) | instskip(NEXT) | instid1(SALU_CYCLE_1)
	s_add_co_i32 s2, ttmp9, s2
	s_lshr_b32 s2, s2, s8
	s_delay_alu instid0(SALU_CYCLE_1) | instskip(SKIP_2) | instid1(SALU_CYCLE_1)
	s_mul_i32 s3, s2, s9
	s_load_b64 s[8:9], s[0:1], 0x10
	s_sub_co_i32 s3, ttmp9, s3
	s_mul_hi_u32 s7, s3, s10
	s_delay_alu instid0(SALU_CYCLE_1) | instskip(NEXT) | instid1(SALU_CYCLE_1)
	s_add_co_i32 s7, s3, s7
	s_lshr_b32 s7, s7, s11
	s_lshr_b32 s11, ttmp7, 16
	s_mul_i32 s10, s7, s12
	s_delay_alu instid0(SALU_CYCLE_1) | instskip(NEXT) | instid1(SALU_CYCLE_1)
	s_sub_co_i32 s3, s3, s10
	s_mul_hi_u32 s10, s3, s13
	s_delay_alu instid0(SALU_CYCLE_1) | instskip(NEXT) | instid1(SALU_CYCLE_1)
	s_add_co_i32 s10, s3, s10
	s_lshr_b32 s13, s10, s14
	s_delay_alu instid0(SALU_CYCLE_1) | instskip(SKIP_4) | instid1(SALU_CYCLE_1)
	s_mul_i32 s10, s13, s15
	s_lshl_b32 s13, s13, 1
	s_sub_co_i32 s12, s3, s10
	s_and_b32 s10, ttmp7, 0xffff
	s_lshl_b32 s3, s12, 3
	s_add_co_i32 s3, s3, s10
	s_wait_kmcnt 0x0
	s_cmp_lt_i32 s3, s8
	s_cselect_b32 s3, -1, 0
	s_add_co_i32 s13, s13, s11
	s_delay_alu instid0(SALU_CYCLE_1) | instskip(SKIP_1) | instid1(SALU_CYCLE_1)
	s_cmp_lt_i32 s13, s5
	s_cselect_b32 s14, -1, 0
	s_and_b32 s3, s3, s14
	s_delay_alu instid0(SALU_CYCLE_1)
	s_and_not1_b32 vcc_lo, exec_lo, s3
	s_cbranch_vccnz .LBB11_6
; %bb.1:
	s_mul_i32 s8, s2, s8
	s_mul_i32 s7, s7, s5
	s_add_co_i32 s8, s8, s10
	s_add_co_i32 s5, s13, s7
	s_mul_i32 s8, s8, s9
	s_load_b128 s[0:3], s[0:1], 0x0
	s_mul_i32 s7, s9, s12
	s_add_co_i32 s5, s5, s8
	s_mulk_i32 s7, 0x280
	s_mulk_i32 s5, 0x50
	s_mul_i32 s8, s6, ttmp9
	v_add3_u32 v1, s5, s7, v0
	s_lshl_b32 s5, s10, 1
	s_add_co_i32 s9, s8, s6
	s_delay_alu instid0(SALU_CYCLE_1) | instskip(NEXT) | instid1(VALU_DEP_1)
	s_add_co_i32 s7, s9, -2
	v_ashrrev_i32_e32 v2, 31, v1
	s_delay_alu instid0(VALU_DEP_1) | instskip(SKIP_1) | instid1(VALU_DEP_1)
	v_lshlrev_b64_e32 v[1:2], 2, v[1:2]
	s_wait_kmcnt 0x0
	v_add_co_u32 v1, vcc_lo, s0, v1
	s_delay_alu instid0(VALU_DEP_1)
	v_add_co_ci_u32_e64 v2, null, s1, v2, vcc_lo
	s_wait_alu 0xfffe
	s_add_co_i32 s0, s5, s11
	s_lshl_b32 s1, s9, 4
	global_load_b32 v5, v[1:2], off
	s_wait_alu 0xfffe
	s_add_co_i32 s0, s0, s1
	s_wait_alu 0xfffe
	s_add_co_i32 s0, s0, -16
	s_wait_alu 0xfffe
	s_ashr_i32 s1, s0, 31
	s_wait_alu 0xfffe
	s_lshl_b64 s[0:1], s[0:1], 3
	s_cmp_lt_i32 s7, s8
	s_wait_alu 0xfffe
	s_add_nc_u64 s[0:1], s[2:3], s[0:1]
	s_load_b32 s12, s[0:1], 0x4
	s_cbranch_scc1 .LBB11_4
; %bb.2:
	s_load_b32 s0, s[0:1], 0x0
	s_add_co_i32 s1, ttmp9, 1
	s_mulk_i32 s10, 0xa0
	s_wait_alu 0xfffe
	s_mul_i32 s1, s6, s1
	s_lshl_b32 s14, s4, 6
	s_wait_alu 0xfffe
	s_lshl_b32 s13, s1, 4
	s_mulk_i32 s1, 0x500
	s_add_co_i32 s13, s11, s13
	s_mulk_i32 s11, 0x50
	s_lshl_b32 s4, s4, 4
	s_add_co_i32 s10, s11, s10
	s_ashr_i32 s15, s14, 31
	s_wait_alu 0xfffe
	s_add_co_i32 s10, s10, s1
	s_add_co_i32 s1, s13, s4
	v_add3_u32 v3, s10, v0, 0xfffff600
	s_wait_kmcnt 0x0
	v_mov_b32_e32 v6, s12
	s_lshl_b64 s[6:7], s[14:15], 2
	s_wait_alu 0xfffe
	s_add_co_i32 s4, s1, s5
	s_add_nc_u64 s[6:7], s[2:3], s[6:7]
	s_add_co_i32 s1, s9, -1
	s_wait_alu 0xfffe
	s_sub_co_i32 s4, s4, 32
.LBB11_3:                               ; =>This Inner Loop Header: Depth=1
	v_ashrrev_i32_e32 v4, 31, v3
	s_wait_alu 0xfffe
	s_ashr_i32 s5, s4, 31
	v_mov_b32_e32 v10, v6
	s_wait_alu 0xfffe
	s_lshl_b64 s[10:11], s[4:5], 3
	s_wait_loadcnt 0x0
	v_mov_b32_e32 v9, v5
	v_lshlrev_b64_e32 v[7:8], 2, v[3:4]
	s_wait_alu 0xfffe
	s_add_nc_u64 s[10:11], s[2:3], s[10:11]
	v_max_num_f32_e64 v4, s0, s0
	s_load_b64 s[10:11], s[10:11], 0x0
	v_add_nc_u32_e32 v3, 0xfffffb00, v3
	v_add_co_u32 v7, vcc_lo, s6, v7
	s_wait_alu 0xfffd
	v_add_co_ci_u32_e64 v8, null, s7, v8, vcc_lo
	v_readfirstlane_b32 s5, v4
	global_load_b32 v0, v[7:8], off
	s_wait_kmcnt 0x0
	v_max_num_f32_e64 v4, s10, s10
	s_delay_alu instid0(VALU_DEP_1) | instskip(SKIP_2) | instid1(SALU_CYCLE_2)
	v_readfirstlane_b32 s9, v4
	s_max_num_f32 s5, s5, s9
	s_wait_alu 0xfffe
	s_sub_f32 s0, s0, s5
	s_sub_f32 s9, s10, s5
	s_wait_alu 0xfffe
	s_delay_alu instid0(SALU_CYCLE_1) | instskip(NEXT) | instid1(SALU_CYCLE_1)
	s_mul_f32 s10, s0, 0x3fb8aa3b
	s_mul_f32 s12, s9, 0x3fb8aa3b
	s_wait_alu 0xfffe
	s_delay_alu instid0(SALU_CYCLE_1)
	s_xor_b32 s13, s10, 0x80000000
	s_rndne_f32 s14, s10
	s_wait_alu 0xfffe
	s_fmamk_f32 s13, s0, 0x3fb8aa3b, s13
	s_cmp_nlt_f32 s0, 0xc2ce8ed0
	s_rndne_f32 s15, s12
	s_sub_f32 s10, s10, s14
	s_wait_alu 0xfffe
	s_fmamk_f32 s13, s0, 0x32a5705f, s13
	s_cvt_i32_f32 s14, s14
	s_cselect_b32 vcc_lo, -1, 0
	s_cmp_ngt_f32 s0, 0x42b17218
	s_wait_alu 0xfffe
	s_add_f32 s10, s10, s13
	s_sub_f32 s13, s12, s15
	s_wait_alu 0xfffe
	s_delay_alu instid0(SALU_CYCLE_1) | instskip(SKIP_1) | instid1(TRANS32_DEP_1)
	v_s_exp_f32 s10, s10
	s_wait_alu 0xf1ff
	v_ldexp_f32 v4, s10, s14
	s_cvt_i32_f32 s10, s15
	s_delay_alu instid0(VALU_DEP_1) | instskip(SKIP_3) | instid1(VALU_DEP_1)
	v_cndmask_b32_e32 v4, 0, v4, vcc_lo
	s_cselect_b32 vcc_lo, -1, 0
	s_cmp_ge_f32 s0, 0xc1a00000
	s_wait_alu 0xfffe
	v_cndmask_b32_e32 v4, 0x7f800000, v4, vcc_lo
	s_cselect_b32 vcc_lo, -1, 0
	s_xor_b32 s0, s12, 0x80000000
	s_cmp_nlt_f32 s9, 0xc2ce8ed0
	s_wait_alu 0xfffe
	s_fmamk_f32 s0, s9, 0x3fb8aa3b, s0
	s_wait_alu 0xfffe
	s_delay_alu instid0(SALU_CYCLE_2) | instskip(SKIP_1) | instid1(SALU_CYCLE_2)
	s_fmamk_f32 s0, s9, 0x32a5705f, s0
	s_wait_alu 0xfffe
	s_add_f32 s0, s13, s0
	s_wait_alu 0xfffe
	s_delay_alu instid0(SALU_CYCLE_2) | instskip(SKIP_1) | instid1(TRANS32_DEP_1)
	v_s_exp_f32 s0, s0
	s_wait_alu 0xf1ff
	v_ldexp_f32 v7, s0, s10
	s_cselect_b32 s0, -1, 0
	s_cmp_ngt_f32 s9, 0x42b17218
	s_wait_alu 0xfffe
	s_delay_alu instid0(VALU_DEP_1) | instskip(SKIP_3) | instid1(VALU_DEP_1)
	v_cndmask_b32_e64 v7, 0, v7, s0
	s_cselect_b32 s0, -1, 0
	s_cmp_ge_f32 s9, 0xc1a00000
	s_wait_alu 0xfffe
	v_cndmask_b32_e64 v7, 0x7f800000, v7, s0
	s_cselect_b32 s0, -1, 0
	s_add_co_i32 s1, s1, -1
	s_add_co_i32 s4, s4, -16
	s_wait_alu 0xfffe
	s_cmp_le_i32 s1, s8
	v_cndmask_b32_e64 v7, 0, v7, s0
	s_mov_b32 s0, s5
	s_wait_loadcnt 0x0
	s_delay_alu instid0(VALU_DEP_1) | instskip(NEXT) | instid1(VALU_DEP_1)
	v_dual_mul_f32 v5, v0, v7 :: v_dual_cndmask_b32 v4, 0, v4
	v_dual_mul_f32 v8, s11, v7 :: v_dual_fmac_f32 v5, v9, v4
	s_delay_alu instid0(VALU_DEP_1) | instskip(NEXT) | instid1(VALU_DEP_1)
	v_mov_b32_e32 v6, v8
	v_fmac_f32_e32 v6, v10, v4
	s_cbranch_scc0 .LBB11_3
	s_branch .LBB11_5
.LBB11_4:
	s_wait_kmcnt 0x0
	v_mov_b32_e32 v6, s12
.LBB11_5:
	s_wait_loadcnt 0x0
	s_delay_alu instid0(VALU_DEP_1) | instskip(NEXT) | instid1(VALU_DEP_1)
	v_div_scale_f32 v0, null, v6, v6, v5
	v_rcp_f32_e32 v3, v0
	s_delay_alu instid0(TRANS32_DEP_1) | instskip(NEXT) | instid1(VALU_DEP_1)
	v_fma_f32 v4, -v0, v3, 1.0
	v_fmac_f32_e32 v3, v4, v3
	v_div_scale_f32 v4, vcc_lo, v5, v6, v5
	s_delay_alu instid0(VALU_DEP_1) | instskip(NEXT) | instid1(VALU_DEP_1)
	v_mul_f32_e32 v7, v4, v3
	v_fma_f32 v8, -v0, v7, v4
	s_delay_alu instid0(VALU_DEP_1) | instskip(NEXT) | instid1(VALU_DEP_1)
	v_fmac_f32_e32 v7, v8, v3
	v_fma_f32 v0, -v0, v7, v4
	s_wait_alu 0xfffd
	s_delay_alu instid0(VALU_DEP_1) | instskip(NEXT) | instid1(VALU_DEP_1)
	v_div_fmas_f32 v0, v0, v3, v7
	v_div_fixup_f32 v0, v0, v6, v5
	global_store_b32 v[1:2], v0, off
.LBB11_6:
	s_endpgm
	.section	.rodata,"a",@progbits
	.p2align	6, 0x0
	.amdhsa_kernel _ZL33flash_attn_stream_k_fixup_uniformILi80ELi8ELi2EEvPfPK15HIP_vector_typeIfLj2EEiiiiiiS1_IjLj3EES5_S5_
		.amdhsa_group_segment_fixed_size 0
		.amdhsa_private_segment_fixed_size 0
		.amdhsa_kernarg_size 76
		.amdhsa_user_sgpr_count 2
		.amdhsa_user_sgpr_dispatch_ptr 0
		.amdhsa_user_sgpr_queue_ptr 0
		.amdhsa_user_sgpr_kernarg_segment_ptr 1
		.amdhsa_user_sgpr_dispatch_id 0
		.amdhsa_user_sgpr_private_segment_size 0
		.amdhsa_wavefront_size32 1
		.amdhsa_uses_dynamic_stack 0
		.amdhsa_enable_private_segment 0
		.amdhsa_system_sgpr_workgroup_id_x 1
		.amdhsa_system_sgpr_workgroup_id_y 1
		.amdhsa_system_sgpr_workgroup_id_z 1
		.amdhsa_system_sgpr_workgroup_info 0
		.amdhsa_system_vgpr_workitem_id 0
		.amdhsa_next_free_vgpr 11
		.amdhsa_next_free_sgpr 16
		.amdhsa_reserve_vcc 1
		.amdhsa_float_round_mode_32 0
		.amdhsa_float_round_mode_16_64 0
		.amdhsa_float_denorm_mode_32 3
		.amdhsa_float_denorm_mode_16_64 3
		.amdhsa_fp16_overflow 0
		.amdhsa_workgroup_processor_mode 1
		.amdhsa_memory_ordered 1
		.amdhsa_forward_progress 1
		.amdhsa_inst_pref_size 9
		.amdhsa_round_robin_scheduling 0
		.amdhsa_exception_fp_ieee_invalid_op 0
		.amdhsa_exception_fp_denorm_src 0
		.amdhsa_exception_fp_ieee_div_zero 0
		.amdhsa_exception_fp_ieee_overflow 0
		.amdhsa_exception_fp_ieee_underflow 0
		.amdhsa_exception_fp_ieee_inexact 0
		.amdhsa_exception_int_div_zero 0
	.end_amdhsa_kernel
	.section	.text._ZL33flash_attn_stream_k_fixup_uniformILi80ELi8ELi2EEvPfPK15HIP_vector_typeIfLj2EEiiiiiiS1_IjLj3EES5_S5_,"axG",@progbits,_ZL33flash_attn_stream_k_fixup_uniformILi80ELi8ELi2EEvPfPK15HIP_vector_typeIfLj2EEiiiiiiS1_IjLj3EES5_S5_,comdat
.Lfunc_end11:
	.size	_ZL33flash_attn_stream_k_fixup_uniformILi80ELi8ELi2EEvPfPK15HIP_vector_typeIfLj2EEiiiiiiS1_IjLj3EES5_S5_, .Lfunc_end11-_ZL33flash_attn_stream_k_fixup_uniformILi80ELi8ELi2EEvPfPK15HIP_vector_typeIfLj2EEiiiiiiS1_IjLj3EES5_S5_
                                        ; -- End function
	.set _ZL33flash_attn_stream_k_fixup_uniformILi80ELi8ELi2EEvPfPK15HIP_vector_typeIfLj2EEiiiiiiS1_IjLj3EES5_S5_.num_vgpr, 11
	.set _ZL33flash_attn_stream_k_fixup_uniformILi80ELi8ELi2EEvPfPK15HIP_vector_typeIfLj2EEiiiiiiS1_IjLj3EES5_S5_.num_agpr, 0
	.set _ZL33flash_attn_stream_k_fixup_uniformILi80ELi8ELi2EEvPfPK15HIP_vector_typeIfLj2EEiiiiiiS1_IjLj3EES5_S5_.numbered_sgpr, 16
	.set _ZL33flash_attn_stream_k_fixup_uniformILi80ELi8ELi2EEvPfPK15HIP_vector_typeIfLj2EEiiiiiiS1_IjLj3EES5_S5_.num_named_barrier, 0
	.set _ZL33flash_attn_stream_k_fixup_uniformILi80ELi8ELi2EEvPfPK15HIP_vector_typeIfLj2EEiiiiiiS1_IjLj3EES5_S5_.private_seg_size, 0
	.set _ZL33flash_attn_stream_k_fixup_uniformILi80ELi8ELi2EEvPfPK15HIP_vector_typeIfLj2EEiiiiiiS1_IjLj3EES5_S5_.uses_vcc, 1
	.set _ZL33flash_attn_stream_k_fixup_uniformILi80ELi8ELi2EEvPfPK15HIP_vector_typeIfLj2EEiiiiiiS1_IjLj3EES5_S5_.uses_flat_scratch, 0
	.set _ZL33flash_attn_stream_k_fixup_uniformILi80ELi8ELi2EEvPfPK15HIP_vector_typeIfLj2EEiiiiiiS1_IjLj3EES5_S5_.has_dyn_sized_stack, 0
	.set _ZL33flash_attn_stream_k_fixup_uniformILi80ELi8ELi2EEvPfPK15HIP_vector_typeIfLj2EEiiiiiiS1_IjLj3EES5_S5_.has_recursion, 0
	.set _ZL33flash_attn_stream_k_fixup_uniformILi80ELi8ELi2EEvPfPK15HIP_vector_typeIfLj2EEiiiiiiS1_IjLj3EES5_S5_.has_indirect_call, 0
	.section	.AMDGPU.csdata,"",@progbits
; Kernel info:
; codeLenInByte = 1148
; TotalNumSgprs: 18
; NumVgprs: 11
; ScratchSize: 0
; MemoryBound: 0
; FloatMode: 240
; IeeeMode: 1
; LDSByteSize: 0 bytes/workgroup (compile time only)
; SGPRBlocks: 0
; VGPRBlocks: 1
; NumSGPRsForWavesPerEU: 18
; NumVGPRsForWavesPerEU: 11
; Occupancy: 16
; WaveLimiterHint : 0
; COMPUTE_PGM_RSRC2:SCRATCH_EN: 0
; COMPUTE_PGM_RSRC2:USER_SGPR: 2
; COMPUTE_PGM_RSRC2:TRAP_HANDLER: 0
; COMPUTE_PGM_RSRC2:TGID_X_EN: 1
; COMPUTE_PGM_RSRC2:TGID_Y_EN: 1
; COMPUTE_PGM_RSRC2:TGID_Z_EN: 1
; COMPUTE_PGM_RSRC2:TIDIG_COMP_CNT: 0
	.section	.text._ZL33flash_attn_stream_k_fixup_generalILi80ELi8ELi2EEvPfPK15HIP_vector_typeIfLj2EEiiiiS1_IjLj3EES5_S5_S5_,"axG",@progbits,_ZL33flash_attn_stream_k_fixup_generalILi80ELi8ELi2EEvPfPK15HIP_vector_typeIfLj2EEiiiiS1_IjLj3EES5_S5_S5_,comdat
	.globl	_ZL33flash_attn_stream_k_fixup_generalILi80ELi8ELi2EEvPfPK15HIP_vector_typeIfLj2EEiiiiS1_IjLj3EES5_S5_S5_ ; -- Begin function _ZL33flash_attn_stream_k_fixup_generalILi80ELi8ELi2EEvPfPK15HIP_vector_typeIfLj2EEiiiiS1_IjLj3EES5_S5_S5_
	.p2align	8
	.type	_ZL33flash_attn_stream_k_fixup_generalILi80ELi8ELi2EEvPfPK15HIP_vector_typeIfLj2EEiiiiS1_IjLj3EES5_S5_S5_,@function
_ZL33flash_attn_stream_k_fixup_generalILi80ELi8ELi2EEvPfPK15HIP_vector_typeIfLj2EEiiiiS1_IjLj3EES5_S5_S5_: ; @_ZL33flash_attn_stream_k_fixup_generalILi80ELi8ELi2EEvPfPK15HIP_vector_typeIfLj2EEiiiiS1_IjLj3EES5_S5_S5_
; %bb.0:
	s_clause 0x1
	s_load_b128 s[4:7], s[0:1], 0x10
	s_load_b32 s16, s[0:1], 0x50
	s_mov_b32 s2, ttmp9
	s_ashr_i32 s3, ttmp9, 31
	s_mov_b32 s17, 0
	s_delay_alu instid0(SALU_CYCLE_1) | instskip(SKIP_3) | instid1(SALU_CYCLE_1)
	s_mov_b32 s8, s17
	s_wait_kmcnt 0x0
	s_ashr_i32 s19, s7, 31
	s_mov_b32 s18, s7
	s_mul_u64 s[2:3], s[18:19], s[2:3]
	s_delay_alu instid0(SALU_CYCLE_1) | instskip(NEXT) | instid1(SALU_CYCLE_1)
	s_mov_b32 s9, s3
	s_cmp_lg_u64 s[8:9], 0
	s_cbranch_scc0 .LBB12_21
; %bb.1:
	s_add_nc_u64 s[8:9], s[16:17], 0
	s_mov_b32 s15, s17
	s_xor_b64 s[8:9], s[8:9], 0
	s_mov_b32 s23, s17
	s_cvt_f32_u32 s7, s8
	s_cvt_f32_u32 s10, s9
	s_sub_nc_u64 s[12:13], 0, s[8:9]
	s_delay_alu instid0(SALU_CYCLE_2) | instskip(NEXT) | instid1(SALU_CYCLE_3)
	s_fmamk_f32 s7, s10, 0x4f800000, s7
	v_s_rcp_f32 s7, s7
	s_delay_alu instid0(TRANS32_DEP_1) | instskip(SKIP_1) | instid1(SALU_CYCLE_2)
	s_mul_f32 s7, s7, 0x5f7ffffc
	s_wait_alu 0xfffe
	s_mul_f32 s10, s7, 0x2f800000
	s_delay_alu instid0(SALU_CYCLE_3) | instskip(NEXT) | instid1(SALU_CYCLE_3)
	s_trunc_f32 s10, s10
	s_fmamk_f32 s7, s10, 0xcf800000, s7
	s_cvt_u32_f32 s11, s10
	s_wait_alu 0xfffe
	s_delay_alu instid0(SALU_CYCLE_1) | instskip(NEXT) | instid1(SALU_CYCLE_3)
	s_cvt_u32_f32 s10, s7
	s_mul_u64 s[20:21], s[12:13], s[10:11]
	s_delay_alu instid0(SALU_CYCLE_1)
	s_mul_hi_u32 s25, s10, s21
	s_mul_i32 s24, s10, s21
	s_mul_hi_u32 s14, s10, s20
	s_mul_i32 s22, s11, s20
	s_add_nc_u64 s[14:15], s[14:15], s[24:25]
	s_mul_hi_u32 s7, s11, s20
	s_mul_hi_u32 s26, s11, s21
	s_add_co_u32 s14, s14, s22
	s_wait_alu 0xfffe
	s_add_co_ci_u32 s22, s15, s7
	s_mul_i32 s20, s11, s21
	s_add_co_ci_u32 s21, s26, 0
	s_delay_alu instid0(SALU_CYCLE_1)
	s_add_nc_u64 s[14:15], s[22:23], s[20:21]
	s_mov_b32 s21, s17
	s_add_co_u32 s10, s10, s14
	s_cselect_b32 s7, -1, 0
	s_wait_alu 0xfffe
	s_cmp_lg_u32 s7, 0
	s_add_co_ci_u32 s11, s11, s15
	s_mov_b32 s15, s17
	s_mul_u64 s[12:13], s[12:13], s[10:11]
	s_delay_alu instid0(SALU_CYCLE_1)
	s_mul_hi_u32 s23, s10, s13
	s_mul_i32 s22, s10, s13
	s_mul_hi_u32 s14, s10, s12
	s_mul_i32 s20, s11, s12
	s_add_nc_u64 s[14:15], s[14:15], s[22:23]
	s_mul_hi_u32 s7, s11, s12
	s_mul_hi_u32 s24, s11, s13
	s_mul_i32 s12, s11, s13
	s_add_co_u32 s13, s14, s20
	s_wait_alu 0xfffe
	s_add_co_ci_u32 s20, s15, s7
	s_add_co_ci_u32 s13, s24, 0
	s_mov_b32 s15, s17
	s_add_nc_u64 s[12:13], s[20:21], s[12:13]
	s_delay_alu instid0(SALU_CYCLE_1) | instskip(SKIP_1) | instid1(SALU_CYCLE_1)
	s_add_co_u32 s7, s10, s12
	s_cselect_b32 s10, -1, 0
	s_cmp_lg_u32 s10, 0
	s_add_co_ci_u32 s20, s11, s13
	s_ashr_i32 s10, s3, 31
	s_delay_alu instid0(SALU_CYCLE_1) | instskip(NEXT) | instid1(SALU_CYCLE_1)
	s_mov_b32 s11, s10
	s_add_nc_u64 s[12:13], s[2:3], s[10:11]
	s_delay_alu instid0(SALU_CYCLE_1) | instskip(NEXT) | instid1(SALU_CYCLE_1)
	s_xor_b64 s[12:13], s[12:13], s[10:11]
	s_mul_hi_u32 s23, s12, s20
	s_mul_i32 s22, s12, s20
	s_wait_alu 0xfffe
	s_mul_hi_u32 s14, s12, s7
	s_mul_hi_u32 s24, s13, s7
	s_mul_i32 s7, s13, s7
	s_add_nc_u64 s[14:15], s[14:15], s[22:23]
	s_mul_hi_u32 s3, s13, s20
	s_wait_alu 0xfffe
	s_add_co_u32 s7, s14, s7
	s_mul_i32 s22, s13, s20
	s_add_co_ci_u32 s20, s15, s24
	s_add_co_ci_u32 s23, s3, 0
	s_delay_alu instid0(SALU_CYCLE_1) | instskip(NEXT) | instid1(SALU_CYCLE_1)
	s_add_nc_u64 s[14:15], s[20:21], s[22:23]
	s_mul_u64 s[20:21], s[8:9], s[14:15]
	s_delay_alu instid0(SALU_CYCLE_1)
	s_sub_co_u32 s3, s12, s20
	s_cselect_b32 s7, -1, 0
	s_sub_co_i32 s12, s13, s21
	s_wait_alu 0xfffe
	s_cmp_lg_u32 s7, 0
	s_sub_co_ci_u32 s12, s12, s9
	s_sub_co_u32 s20, s3, s8
	s_cselect_b32 s22, -1, 0
	s_delay_alu instid0(SALU_CYCLE_1) | instskip(SKIP_2) | instid1(SALU_CYCLE_1)
	s_cmp_lg_u32 s22, 0
	s_add_nc_u64 s[22:23], s[14:15], 1
	s_sub_co_ci_u32 s12, s12, 0
	s_cmp_ge_u32 s12, s9
	s_cselect_b32 s24, -1, 0
	s_cmp_ge_u32 s20, s8
	s_cselect_b32 s20, -1, 0
	s_cmp_eq_u32 s12, s9
	s_cselect_b32 s12, s20, s24
	s_add_nc_u64 s[24:25], s[14:15], 2
	s_cmp_lg_u32 s12, 0
	s_cselect_b32 s12, s24, s22
	s_cselect_b32 s20, s25, s23
	s_cmp_lg_u32 s7, 0
	s_sub_co_ci_u32 s7, s13, s21
	s_wait_alu 0xfffe
	s_cmp_ge_u32 s7, s9
	s_cselect_b32 s13, -1, 0
	s_cmp_ge_u32 s3, s8
	s_cselect_b32 s3, -1, 0
	s_cmp_eq_u32 s7, s9
	s_cselect_b32 s3, s3, s13
	s_delay_alu instid0(SALU_CYCLE_1) | instskip(SKIP_4) | instid1(SALU_CYCLE_1)
	s_cmp_lg_u32 s3, 0
	s_mov_b32 s3, s17
	s_cselect_b32 s9, s20, s15
	s_cselect_b32 s8, s12, s14
	s_xor_b64 s[10:11], s[10:11], 0
	s_xor_b64 s[8:9], s[8:9], s[10:11]
	s_delay_alu instid0(SALU_CYCLE_1)
	s_sub_nc_u64 s[20:21], s[8:9], s[10:11]
	s_and_not1_b32 vcc_lo, exec_lo, s3
	s_cbranch_vccnz .LBB12_3
.LBB12_2:
	v_cvt_f32_u32_e32 v1, s16
	s_sub_co_i32 s7, 0, s16
	s_delay_alu instid0(VALU_DEP_1) | instskip(NEXT) | instid1(TRANS32_DEP_1)
	v_rcp_iflag_f32_e32 v1, v1
	v_mul_f32_e32 v1, 0x4f7ffffe, v1
	s_delay_alu instid0(VALU_DEP_1) | instskip(NEXT) | instid1(VALU_DEP_1)
	v_cvt_u32_f32_e32 v1, v1
	v_readfirstlane_b32 s3, v1
	s_wait_alu 0xfffe
	s_mul_i32 s7, s7, s3
	s_wait_alu 0xfffe
	s_mul_hi_u32 s7, s3, s7
	s_wait_alu 0xfffe
	s_add_co_i32 s3, s3, s7
	s_delay_alu instid0(SALU_CYCLE_1) | instskip(NEXT) | instid1(SALU_CYCLE_1)
	s_mul_hi_u32 s3, s2, s3
	s_mul_i32 s7, s3, s16
	s_wait_alu 0xfffe
	s_sub_co_i32 s2, s2, s7
	s_add_co_i32 s7, s3, 1
	s_sub_co_i32 s8, s2, s16
	s_cmp_ge_u32 s2, s16
	s_wait_alu 0xfffe
	s_cselect_b32 s3, s7, s3
	s_cselect_b32 s2, s8, s2
	s_add_co_i32 s7, s3, 1
	s_cmp_ge_u32 s2, s16
	s_wait_alu 0xfffe
	s_cselect_b32 s20, s7, s3
.LBB12_3:
	s_add_co_i32 s2, ttmp9, 1
	s_mov_b32 s8, 0
	s_ashr_i32 s3, s2, 31
	s_delay_alu instid0(SALU_CYCLE_1) | instskip(NEXT) | instid1(SALU_CYCLE_1)
	s_mul_u64 s[2:3], s[18:19], s[2:3]
	s_mov_b32 s9, s3
	s_delay_alu instid0(SALU_CYCLE_1)
	s_cmp_lg_u64 s[8:9], 0
	s_cbranch_scc0 .LBB12_22
; %bb.4:
	s_add_nc_u64 s[10:11], s[16:17], 0
	s_mov_b32 s23, s8
	s_xor_b64 s[10:11], s[10:11], 0
	s_mov_b32 s27, s8
	s_cvt_f32_u32 s7, s10
	s_cvt_f32_u32 s9, s11
	s_sub_nc_u64 s[14:15], 0, s[10:11]
	s_wait_alu 0xfffe
	s_delay_alu instid0(SALU_CYCLE_1) | instskip(SKIP_1) | instid1(SALU_CYCLE_2)
	s_fmamk_f32 s7, s9, 0x4f800000, s7
	s_wait_alu 0xfffe
	v_s_rcp_f32 s7, s7
	s_delay_alu instid0(TRANS32_DEP_1) | instskip(SKIP_1) | instid1(SALU_CYCLE_2)
	s_mul_f32 s7, s7, 0x5f7ffffc
	s_wait_alu 0xfffe
	s_mul_f32 s9, s7, 0x2f800000
	s_delay_alu instid0(SALU_CYCLE_3) | instskip(NEXT) | instid1(SALU_CYCLE_3)
	s_trunc_f32 s9, s9
	s_fmamk_f32 s7, s9, 0xcf800000, s7
	s_cvt_u32_f32 s13, s9
	s_wait_alu 0xfffe
	s_delay_alu instid0(SALU_CYCLE_1) | instskip(NEXT) | instid1(SALU_CYCLE_3)
	s_cvt_u32_f32 s12, s7
	s_mul_u64 s[24:25], s[14:15], s[12:13]
	s_delay_alu instid0(SALU_CYCLE_1)
	s_mul_hi_u32 s29, s12, s25
	s_mul_i32 s28, s12, s25
	s_mul_hi_u32 s22, s12, s24
	s_mul_i32 s9, s13, s24
	s_add_nc_u64 s[22:23], s[22:23], s[28:29]
	s_mul_hi_u32 s7, s13, s24
	s_mul_hi_u32 s21, s13, s25
	s_add_co_u32 s9, s22, s9
	s_wait_alu 0xfffe
	s_add_co_ci_u32 s26, s23, s7
	s_mul_i32 s24, s13, s25
	s_add_co_ci_u32 s25, s21, 0
	s_delay_alu instid0(SALU_CYCLE_1)
	s_add_nc_u64 s[22:23], s[26:27], s[24:25]
	s_mov_b32 s25, s8
	s_add_co_u32 s12, s12, s22
	s_cselect_b32 s7, -1, 0
	s_wait_alu 0xfffe
	s_cmp_lg_u32 s7, 0
	s_add_co_ci_u32 s13, s13, s23
	s_mov_b32 s23, s8
	s_mul_u64 s[14:15], s[14:15], s[12:13]
	s_delay_alu instid0(SALU_CYCLE_1)
	s_mul_hi_u32 s27, s12, s15
	s_mul_i32 s26, s12, s15
	s_mul_hi_u32 s22, s12, s14
	s_mul_i32 s9, s13, s14
	s_add_nc_u64 s[22:23], s[22:23], s[26:27]
	s_mul_hi_u32 s7, s13, s14
	s_mul_hi_u32 s21, s13, s15
	s_add_co_u32 s9, s22, s9
	s_wait_alu 0xfffe
	s_add_co_ci_u32 s24, s23, s7
	s_mul_i32 s14, s13, s15
	s_add_co_ci_u32 s15, s21, 0
	s_mov_b32 s23, s8
	s_add_nc_u64 s[14:15], s[24:25], s[14:15]
	s_delay_alu instid0(SALU_CYCLE_1) | instskip(SKIP_1) | instid1(SALU_CYCLE_1)
	s_add_co_u32 s7, s12, s14
	s_cselect_b32 s9, -1, 0
	s_cmp_lg_u32 s9, 0
	s_add_co_ci_u32 s9, s13, s15
	s_ashr_i32 s12, s3, 31
	s_delay_alu instid0(SALU_CYCLE_1) | instskip(NEXT) | instid1(SALU_CYCLE_1)
	s_mov_b32 s13, s12
	s_add_nc_u64 s[14:15], s[2:3], s[12:13]
	s_delay_alu instid0(SALU_CYCLE_1) | instskip(NEXT) | instid1(SALU_CYCLE_1)
	s_xor_b64 s[14:15], s[14:15], s[12:13]
	s_mul_hi_u32 s27, s14, s9
	s_mul_i32 s26, s14, s9
	s_wait_alu 0xfffe
	s_mul_hi_u32 s22, s14, s7
	s_mul_hi_u32 s21, s15, s7
	s_mul_i32 s7, s15, s7
	s_add_nc_u64 s[22:23], s[22:23], s[26:27]
	s_mul_hi_u32 s3, s15, s9
	s_wait_alu 0xfffe
	s_add_co_u32 s7, s22, s7
	s_add_co_ci_u32 s24, s23, s21
	s_mul_i32 s26, s15, s9
	s_add_co_ci_u32 s27, s3, 0
	s_delay_alu instid0(SALU_CYCLE_1) | instskip(NEXT) | instid1(SALU_CYCLE_1)
	s_add_nc_u64 s[22:23], s[24:25], s[26:27]
	s_mul_u64 s[24:25], s[10:11], s[22:23]
	s_add_nc_u64 s[26:27], s[22:23], 1
	s_sub_co_u32 s3, s14, s24
	s_cselect_b32 s7, -1, 0
	s_sub_co_i32 s9, s15, s25
	s_wait_alu 0xfffe
	s_cmp_lg_u32 s7, 0
	s_add_nc_u64 s[28:29], s[22:23], 2
	s_sub_co_ci_u32 s9, s9, s11
	s_sub_co_u32 s14, s3, s10
	s_cselect_b32 s21, -1, 0
	s_delay_alu instid0(SALU_CYCLE_1) | instskip(SKIP_1) | instid1(SALU_CYCLE_1)
	s_cmp_lg_u32 s21, 0
	s_sub_co_ci_u32 s9, s9, 0
	s_cmp_ge_u32 s9, s11
	s_cselect_b32 s21, -1, 0
	s_cmp_ge_u32 s14, s10
	s_cselect_b32 s14, -1, 0
	s_cmp_eq_u32 s9, s11
	s_cselect_b32 s9, s14, s21
	s_delay_alu instid0(SALU_CYCLE_1)
	s_cmp_lg_u32 s9, 0
	s_cselect_b32 s9, s28, s26
	s_cselect_b32 s14, s29, s27
	s_cmp_lg_u32 s7, 0
	s_sub_co_ci_u32 s7, s15, s25
	s_wait_alu 0xfffe
	s_cmp_ge_u32 s7, s11
	s_cselect_b32 s15, -1, 0
	s_cmp_ge_u32 s3, s10
	s_cselect_b32 s3, -1, 0
	s_cmp_eq_u32 s7, s11
	s_cselect_b32 s3, s3, s15
	s_delay_alu instid0(SALU_CYCLE_1) | instskip(SKIP_3) | instid1(SALU_CYCLE_1)
	s_cmp_lg_u32 s3, 0
	s_cselect_b32 s11, s14, s23
	s_cselect_b32 s10, s9, s22
	s_xor_b64 s[12:13], s[12:13], 0
	s_xor_b64 s[10:11], s[10:11], s[12:13]
	s_delay_alu instid0(SALU_CYCLE_1)
	s_sub_nc_u64 s[10:11], s[10:11], s[12:13]
	s_load_b96 s[12:14], s[0:1], 0x44
	s_and_not1_b32 vcc_lo, exec_lo, s8
	s_cbranch_vccnz .LBB12_6
.LBB12_5:
	v_cvt_f32_u32_e32 v1, s16
	s_sub_co_i32 s7, 0, s16
	s_delay_alu instid0(VALU_DEP_1) | instskip(NEXT) | instid1(TRANS32_DEP_1)
	v_rcp_iflag_f32_e32 v1, v1
	v_mul_f32_e32 v1, 0x4f7ffffe, v1
	s_delay_alu instid0(VALU_DEP_1) | instskip(NEXT) | instid1(VALU_DEP_1)
	v_cvt_u32_f32_e32 v1, v1
	v_readfirstlane_b32 s3, v1
	s_wait_alu 0xfffe
	s_mul_i32 s7, s7, s3
	s_wait_alu 0xfffe
	s_mul_hi_u32 s7, s3, s7
	s_wait_alu 0xfffe
	s_add_co_i32 s3, s3, s7
	s_delay_alu instid0(SALU_CYCLE_1) | instskip(NEXT) | instid1(SALU_CYCLE_1)
	s_mul_hi_u32 s3, s2, s3
	s_mul_i32 s7, s3, s16
	s_wait_alu 0xfffe
	s_sub_co_i32 s2, s2, s7
	s_add_co_i32 s7, s3, 1
	s_sub_co_i32 s8, s2, s16
	s_cmp_ge_u32 s2, s16
	s_wait_alu 0xfffe
	s_cselect_b32 s3, s7, s3
	s_cselect_b32 s2, s8, s2
	s_add_co_i32 s7, s3, 1
	s_cmp_ge_u32 s2, s16
	s_wait_alu 0xfffe
	s_cselect_b32 s10, s7, s3
.LBB12_6:
	s_mov_b32 s21, 0
	s_wait_kmcnt 0x0
	s_mov_b32 s22, s12
	s_mov_b32 s23, s21
	s_cmp_eq_u32 s20, s10
	s_mul_u64 s[2:3], s[20:21], s[22:23]
	s_cselect_b32 s7, -1, 0
	s_add_co_i32 s2, s3, s20
	s_mov_b32 s11, s21
	s_lshr_b32 s12, s2, s13
	s_mul_u64 s[2:3], s[10:11], s[22:23]
	s_mul_i32 s2, s12, s14
	s_delay_alu instid0(SALU_CYCLE_1) | instskip(SKIP_2) | instid1(SALU_CYCLE_1)
	s_cmp_eq_u32 s2, s20
	s_cselect_b32 s2, -1, 0
	s_add_co_i32 s3, s3, s10
	s_lshr_b32 s3, s3, s13
	s_delay_alu instid0(SALU_CYCLE_1)
	s_cmp_eq_u32 s12, s3
	s_mul_i32 s3, s3, s14
	s_cselect_b32 s8, -1, 0
	s_cmp_lg_u32 s3, s10
	s_cselect_b32 s3, -1, 0
	s_wait_alu 0xfffe
	s_or_b32 s2, s7, s2
	s_and_b32 s3, s8, s3
	s_delay_alu instid0(SALU_CYCLE_1) | instskip(NEXT) | instid1(SALU_CYCLE_1)
	s_or_b32 s2, s2, s3
	s_and_b32 vcc_lo, exec_lo, s2
	s_cbranch_vccnz .LBB12_24
; %bb.7:
	s_load_b256 s[24:31], s[0:1], 0x20
	s_mov_b32 s3, s21
	s_wait_kmcnt 0x0
	s_mov_b32 s2, s24
	s_delay_alu instid0(SALU_CYCLE_1) | instskip(NEXT) | instid1(SALU_CYCLE_1)
	s_mul_u64 s[2:3], s[20:21], s[2:3]
	s_add_co_i32 s2, s3, s20
	s_delay_alu instid0(SALU_CYCLE_1) | instskip(SKIP_2) | instid1(SALU_CYCLE_1)
	s_lshr_b32 s7, s2, s25
	s_load_b32 s2, s[0:1], 0x40
	s_mul_i32 s3, s7, s26
	s_sub_co_i32 s3, s20, s3
	s_delay_alu instid0(SALU_CYCLE_1) | instskip(NEXT) | instid1(SALU_CYCLE_1)
	s_mul_hi_u32 s8, s3, s27
	s_add_co_i32 s8, s3, s8
	s_delay_alu instid0(SALU_CYCLE_1) | instskip(NEXT) | instid1(SALU_CYCLE_1)
	s_lshr_b32 s15, s8, s28
	s_mul_i32 s8, s15, s29
	s_delay_alu instid0(SALU_CYCLE_1) | instskip(NEXT) | instid1(SALU_CYCLE_1)
	s_sub_co_i32 s8, s3, s8
	s_mul_hi_u32 s3, s8, s30
	s_delay_alu instid0(SALU_CYCLE_1) | instskip(NEXT) | instid1(SALU_CYCLE_1)
	s_add_co_i32 s3, s8, s3
	s_lshr_b32 s10, s3, s31
	s_mov_b32 s3, s21
	s_wait_kmcnt 0x0
	s_mul_i32 s2, s10, s2
	s_lshl_b32 s24, s10, 1
	s_sub_co_i32 s2, s8, s2
	s_delay_alu instid0(SALU_CYCLE_1) | instskip(SKIP_2) | instid1(SALU_CYCLE_1)
	s_mul_u64 s[8:9], s[2:3], s[22:23]
	s_lshr_b32 s3, ttmp7, 16
	s_add_co_i32 s2, s2, s9
	s_lshr_b32 s21, s2, s13
	s_and_b32 s2, ttmp7, 0xffff
	s_lshl_b32 s8, s21, 3
	s_delay_alu instid0(SALU_CYCLE_1) | instskip(NEXT) | instid1(SALU_CYCLE_1)
	s_add_co_i32 s8, s8, s2
	s_cmp_lt_i32 s8, s4
	s_cselect_b32 s8, -1, 0
	s_add_co_i32 s24, s24, s3
	s_delay_alu instid0(SALU_CYCLE_1) | instskip(SKIP_1) | instid1(SALU_CYCLE_1)
	s_cmp_lt_i32 s24, s6
	s_cselect_b32 s9, -1, 0
	s_and_b32 s8, s8, s9
	s_delay_alu instid0(SALU_CYCLE_1)
	s_and_not1_b32 vcc_lo, exec_lo, s8
	s_cbranch_vccnz .LBB12_24
; %bb.8:
	s_mul_i32 s4, s7, s4
	s_load_b128 s[8:11], s[0:1], 0x0
	s_add_co_i32 s0, s4, s2
	s_mul_i32 s15, s15, s6
	s_mul_i32 s0, s0, s5
	s_add_co_i32 s1, s24, s15
	s_mul_i32 s4, s5, s21
	s_add_co_i32 s0, s1, s0
	s_mulk_i32 s4, 0x280
	s_mulk_i32 s0, 0x50
	s_lshl_b32 s15, s2, 1
	v_add3_u32 v1, s4, s0, v0
	s_add_nc_u64 s[0:1], s[16:17], 0
	s_add_co_i32 s15, s15, s3
	s_wait_alu 0xfffe
	s_xor_b64 s[6:7], s[0:1], 0
	s_lshl_b32 s0, ttmp9, 4
	v_ashrrev_i32_e32 v2, 31, v1
	s_wait_alu 0xfffe
	s_cvt_f32_u32 s1, s6
	s_cvt_f32_u32 s2, s7
	s_add_co_i32 s0, s15, s0
	v_cvt_f32_u32_e32 v3, s16
	v_lshlrev_b64_e32 v[1:2], 2, v[1:2]
	s_wait_alu 0xfffe
	s_fmamk_f32 s2, s2, 0x4f800000, s1
	s_ashr_i32 s1, s0, 31
	s_add_co_i32 s34, ttmp9, -1
	s_wait_alu 0xfffe
	s_lshl_b64 s[0:1], s[0:1], 3
	v_s_rcp_f32 s2, s2
	s_wait_kmcnt 0x0
	v_add_co_u32 v1, vcc_lo, s8, v1
	s_delay_alu instid0(VALU_DEP_1)
	v_add_co_ci_u32_e64 v2, null, s9, v2, vcc_lo
	s_wait_alu 0xfffe
	s_add_nc_u64 s[0:1], s[10:11], s[0:1]
	v_rcp_iflag_f32_e32 v3, v3
	s_load_b64 s[26:27], s[0:1], 0x0
	global_load_b32 v5, v[1:2], off
	s_mul_f32 s2, s2, 0x5f7ffffc
	s_mov_b32 s8, 0
	s_lshl_b32 s0, s16, 6
	s_wait_alu 0xfffe
	s_mov_b32 s1, s8
	s_mul_f32 s3, s2, 0x2f800000
	s_wait_alu 0xfffe
	s_lshl_b64 s[0:1], s[0:1], 2
	s_sub_nc_u64 s[30:31], 0, s[6:7]
	v_mul_f32_e32 v6, 0x4f7ffffe, v3
	s_trunc_f32 s3, s3
	s_wait_alu 0xfffe
	s_add_nc_u64 s[24:25], s[10:11], s[0:1]
	v_mad_co_u64_u32 v[3:4], null, 0x50, s15, v[0:1]
	s_fmamk_f32 s0, s3, 0xcf800000, s2
	v_cvt_u32_f32_e32 v0, v6
	s_cvt_u32_f32 s29, s3
	s_wait_alu 0xfffe
	s_cvt_u32_f32 s28, s0
	s_wait_kmcnt 0x0
	v_mov_b32_e32 v4, s27
.LBB12_9:                               ; =>This Inner Loop Header: Depth=1
	s_wait_alu 0xfffe
	s_ashr_i32 s35, s34, 31
	s_mov_b32 s2, -1
	s_wait_alu 0xfffe
	s_mul_u64 s[0:1], s[34:35], s[18:19]
                                        ; implicit-def: $sgpr38_sgpr39
	s_wait_alu 0xfffe
	s_mov_b32 s9, s1
	s_wait_alu 0xfffe
	s_cmp_lg_u64 s[8:9], 0
	s_cbranch_scc0 .LBB12_11
; %bb.10:                               ;   in Loop: Header=BB12_9 Depth=1
	s_mul_u64 s[2:3], s[30:31], s[28:29]
	s_mov_b32 s37, s8
	s_wait_alu 0xfffe
	s_mul_hi_u32 s5, s28, s3
	s_mul_i32 s4, s28, s3
	s_mul_hi_u32 s36, s28, s2
	s_mul_hi_u32 s9, s29, s2
	s_wait_alu 0xfffe
	s_add_nc_u64 s[4:5], s[36:37], s[4:5]
	s_mul_i32 s2, s29, s2
	s_mul_hi_u32 s17, s29, s3
	s_wait_alu 0xfffe
	s_add_co_u32 s2, s4, s2
	s_add_co_ci_u32 s2, s5, s9
	s_add_co_ci_u32 s5, s17, 0
	s_mul_i32 s4, s29, s3
	s_mov_b32 s3, s8
	s_mov_b32 s39, s8
	s_wait_alu 0xfffe
	s_add_nc_u64 s[2:3], s[2:3], s[4:5]
	s_wait_alu 0xfffe
	s_add_co_u32 s2, s28, s2
	s_cselect_b32 s4, -1, 0
	s_wait_alu 0xfffe
	s_cmp_lg_u32 s4, 0
	s_add_co_ci_u32 s3, s29, s3
	s_wait_alu 0xfffe
	s_mul_u64 s[4:5], s[30:31], s[2:3]
	s_wait_alu 0xfffe
	s_mul_hi_u32 s37, s2, s5
	s_mul_i32 s36, s2, s5
	s_mul_hi_u32 s38, s2, s4
	s_mul_hi_u32 s9, s3, s4
	s_mul_i32 s4, s3, s4
	s_wait_alu 0xfffe
	s_add_nc_u64 s[36:37], s[38:39], s[36:37]
	s_mul_hi_u32 s17, s3, s5
	s_wait_alu 0xfffe
	s_add_co_u32 s4, s36, s4
	s_add_co_ci_u32 s4, s37, s9
	s_add_co_ci_u32 s37, s17, 0
	s_mul_i32 s36, s3, s5
	s_mov_b32 s5, s8
	s_wait_alu 0xfffe
	s_add_nc_u64 s[4:5], s[4:5], s[36:37]
	s_mov_b32 s37, s8
	s_wait_alu 0xfffe
	s_add_co_u32 s9, s2, s4
	s_cselect_b32 s2, -1, 0
	s_wait_alu 0xfffe
	s_cmp_lg_u32 s2, 0
	s_add_co_ci_u32 s17, s3, s5
	s_ashr_i32 s2, s1, 31
	s_wait_alu 0xfffe
	s_mov_b32 s3, s2
	s_wait_alu 0xfffe
	s_add_nc_u64 s[4:5], s[0:1], s[2:3]
	s_wait_alu 0xfffe
	s_xor_b64 s[4:5], s[4:5], s[2:3]
	s_wait_alu 0xfffe
	s_mul_hi_u32 s39, s4, s17
	s_mul_i32 s38, s4, s17
	s_mul_hi_u32 s36, s4, s9
	s_mul_i32 s21, s5, s9
	s_wait_alu 0xfffe
	s_add_nc_u64 s[36:37], s[36:37], s[38:39]
	s_mul_hi_u32 s9, s5, s9
	s_mul_hi_u32 s1, s5, s17
	s_wait_alu 0xfffe
	s_add_co_u32 s21, s36, s21
	s_add_co_ci_u32 s36, s37, s9
	s_add_co_ci_u32 s39, s1, 0
	s_mul_i32 s38, s5, s17
	s_mov_b32 s37, s8
	s_wait_alu 0xfffe
	s_add_nc_u64 s[36:37], s[36:37], s[38:39]
	s_wait_alu 0xfffe
	s_mul_u64 s[38:39], s[6:7], s[36:37]
	s_add_nc_u64 s[40:41], s[36:37], 1
	s_sub_co_u32 s1, s4, s38
	s_cselect_b32 s4, -1, 0
	s_sub_co_i32 s9, s5, s39
	s_wait_alu 0xfffe
	s_cmp_lg_u32 s4, 0
	s_add_nc_u64 s[42:43], s[36:37], 2
	s_sub_co_ci_u32 s9, s9, s7
	s_sub_co_u32 s17, s1, s6
	s_cselect_b32 s21, -1, 0
	s_delay_alu instid0(SALU_CYCLE_1)
	s_cmp_lg_u32 s21, 0
	s_wait_alu 0xfffe
	s_sub_co_ci_u32 s9, s9, 0
	s_wait_alu 0xfffe
	s_cmp_ge_u32 s9, s7
	s_cselect_b32 s21, -1, 0
	s_cmp_ge_u32 s17, s6
	s_cselect_b32 s17, -1, 0
	s_cmp_eq_u32 s9, s7
	s_wait_alu 0xfffe
	s_cselect_b32 s9, s17, s21
	s_wait_alu 0xfffe
	s_cmp_lg_u32 s9, 0
	s_cselect_b32 s9, s42, s40
	s_cselect_b32 s17, s43, s41
	s_cmp_lg_u32 s4, 0
	s_sub_co_ci_u32 s4, s5, s39
	s_wait_alu 0xfffe
	s_cmp_ge_u32 s4, s7
	s_cselect_b32 s5, -1, 0
	s_cmp_ge_u32 s1, s6
	s_cselect_b32 s1, -1, 0
	s_cmp_eq_u32 s4, s7
	s_wait_alu 0xfffe
	s_cselect_b32 s1, s1, s5
	s_wait_alu 0xfffe
	s_cmp_lg_u32 s1, 0
	s_cselect_b32 s5, s17, s37
	s_cselect_b32 s4, s9, s36
	s_xor_b64 s[2:3], s[2:3], 0
	s_wait_alu 0xfffe
	s_xor_b64 s[4:5], s[4:5], s[2:3]
	s_wait_alu 0xfffe
	s_sub_nc_u64 s[38:39], s[4:5], s[2:3]
	s_mov_b32 s2, 0
.LBB12_11:                              ;   in Loop: Header=BB12_9 Depth=1
	s_wait_alu 0xfffe
	s_and_not1_b32 vcc_lo, exec_lo, s2
	s_wait_alu 0xfffe
	s_cbranch_vccnz .LBB12_13
; %bb.12:                               ;   in Loop: Header=BB12_9 Depth=1
	v_readfirstlane_b32 s1, v0
	s_sub_co_i32 s2, 0, s16
	s_wait_alu 0xfffe
	s_mul_i32 s2, s2, s1
	s_wait_alu 0xfffe
	s_mul_hi_u32 s2, s1, s2
	s_wait_alu 0xfffe
	s_add_co_i32 s1, s1, s2
	s_wait_alu 0xfffe
	s_mul_hi_u32 s1, s0, s1
	s_wait_alu 0xfffe
	s_mul_i32 s2, s1, s16
	s_wait_alu 0xfffe
	s_sub_co_i32 s0, s0, s2
	s_add_co_i32 s2, s1, 1
	s_wait_alu 0xfffe
	s_sub_co_i32 s3, s0, s16
	s_cmp_ge_u32 s0, s16
	s_cselect_b32 s1, s2, s1
	s_wait_alu 0xfffe
	s_cselect_b32 s0, s3, s0
	s_add_co_i32 s2, s1, 1
	s_wait_alu 0xfffe
	s_cmp_ge_u32 s0, s16
	s_cselect_b32 s38, s2, s1
.LBB12_13:                              ;   in Loop: Header=BB12_9 Depth=1
	v_readfirstlane_b32 s9, v0
	s_cmp_lg_u32 s20, s38
	s_mov_b32 s0, -1
                                        ; implicit-def: $sgpr21
                                        ; implicit-def: $vgpr6
                                        ; implicit-def: $vgpr7
                                        ; implicit-def: $sgpr17
                                        ; implicit-def: $sgpr27
	s_cbranch_scc1 .LBB12_16
; %bb.14:                               ;   in Loop: Header=BB12_9 Depth=1
	s_wait_alu 0xfffe
	s_and_not1_b32 vcc_lo, exec_lo, s0
	s_wait_alu 0xfffe
	s_cbranch_vccz .LBB12_19
.LBB12_15:                              ;   in Loop: Header=BB12_9 Depth=1
	s_and_not1_b32 vcc_lo, exec_lo, s21
	s_wait_alu 0xfffe
	s_cbranch_vccnz .LBB12_20
	s_branch .LBB12_23
.LBB12_16:                              ;   in Loop: Header=BB12_9 Depth=1
	s_add_co_i32 s0, s34, s16
	s_mov_b32 s1, s8
	s_wait_alu 0xfffe
	s_lshl_b32 s0, s0, 4
	v_max_num_f32_e64 v6, s26, s26
	s_wait_alu 0xfffe
	s_add_co_i32 s0, s0, s15
	s_mov_b32 s39, s8
	s_wait_alu 0xfffe
	s_lshl_b64 s[0:1], s[0:1], 3
	s_mul_u64 s[40:41], s[38:39], s[22:23]
	s_wait_alu 0xfffe
	s_add_nc_u64 s[0:1], s[10:11], s[0:1]
	s_mov_b32 s27, s20
	s_load_b64 s[36:37], s[0:1], 0x0
	v_readfirstlane_b32 s0, v6
	s_wait_kmcnt 0x0
	v_max_num_f32_e64 v7, s36, s36
	s_delay_alu instid0(VALU_DEP_1) | instskip(SKIP_2) | instid1(SALU_CYCLE_2)
	v_readfirstlane_b32 s1, v7
	s_max_num_f32 s9, s0, s1
	s_wait_alu 0xfffe
	s_sub_f32 s33, s26, s9
	s_sub_f32 s35, s36, s9
	s_wait_alu 0xfffe
	s_delay_alu instid0(SALU_CYCLE_1)
	s_cmp_nlt_f32 s33, 0xc2ce8ed0
	s_cselect_b32 s0, -1, 0
	s_cmp_ngt_f32 s33, 0x42b17218
	s_cselect_b32 s1, -1, 0
	s_cmp_ge_f32 s33, 0xc1a00000
	s_cselect_b32 s2, -1, 0
	s_cmp_nlt_f32 s35, 0xc2ce8ed0
	s_cselect_b32 s3, -1, 0
	s_cmp_ngt_f32 s35, 0x42b17218
	s_cselect_b32 s4, -1, 0
	s_cmp_ge_f32 s35, 0xc1a00000
	s_cselect_b32 s5, -1, 0
	s_add_co_i32 s17, s41, s38
	s_wait_alu 0xfffe
	s_lshr_b32 s17, s17, s13
	s_wait_alu 0xfffe
	s_mul_i32 s21, s17, s14
	s_delay_alu instid0(SALU_CYCLE_1)
	s_cmp_eq_u32 s21, s38
	s_cselect_b32 s21, -1, 0
	s_cmp_lt_u32 s17, s12
	s_cselect_b32 s17, -1, 0
	s_wait_alu 0xfffe
	s_or_b32 s17, s17, s21
	s_mov_b32 s21, -1
	s_wait_alu 0xfffe
	s_and_b32 vcc_lo, exec_lo, s17
	s_mov_b32 s17, s34
	s_wait_alu 0xfffe
	s_cbranch_vccnz .LBB12_18
; %bb.17:                               ;   in Loop: Header=BB12_9 Depth=1
	s_add_co_i32 s17, s34, -1
	s_mov_b32 s21, 0
	s_mov_b32 s27, s38
.LBB12_18:                              ;   in Loop: Header=BB12_9 Depth=1
	v_mad_co_u64_u32 v[6:7], null, 0x500, s34, v[3:4]
	s_mul_f32 s36, s35, 0x3fb8aa3b
	s_mul_f32 s38, s33, 0x3fb8aa3b
	s_wait_alu 0xfffe
	s_delay_alu instid0(SALU_CYCLE_1)
	s_xor_b32 s39, s36, 0x80000000
	s_rndne_f32 s40, s36
	v_ashrrev_i32_e32 v7, 31, v6
	s_fmamk_f32 s39, s35, 0x3fb8aa3b, s39
	s_xor_b32 s41, s38, 0x80000000
	s_sub_f32 s36, s36, s40
	s_rndne_f32 s42, s38
	v_lshlrev_b64_e32 v[6:7], 2, v[6:7]
	s_fmamk_f32 s35, s35, 0x32a5705f, s39
	s_fmamk_f32 s39, s33, 0x3fb8aa3b, s41
	s_sub_f32 s38, s38, s42
	s_wait_alu 0xfffe
	s_add_f32 s35, s36, s35
	v_add_co_u32 v6, vcc_lo, s24, v6
	s_wait_alu 0xfffd
	v_add_co_ci_u32_e64 v7, null, s25, v7, vcc_lo
	s_fmamk_f32 s33, s33, 0x32a5705f, s39
	s_wait_alu 0xfffe
	v_s_exp_f32 s35, s35
	s_cvt_i32_f32 s36, s40
	global_load_b32 v6, v[6:7], off
	s_add_f32 s33, s38, s33
	s_wait_alu 0xfffe
	s_delay_alu instid0(SALU_CYCLE_2) | instskip(SKIP_2) | instid1(VALU_DEP_1)
	v_s_exp_f32 s33, s33
	v_ldexp_f32 v7, s35, s36
	s_cvt_i32_f32 s35, s42
	v_cndmask_b32_e64 v7, 0, v7, s3
	s_wait_alu 0xf1fe
	s_delay_alu instid0(TRANS32_DEP_1) | instid1(SALU_CYCLE_1)
	v_ldexp_f32 v8, s33, s35
	s_delay_alu instid0(VALU_DEP_2) | instskip(NEXT) | instid1(VALU_DEP_2)
	v_cndmask_b32_e64 v7, 0x7f800000, v7, s4
	v_cndmask_b32_e64 v8, 0, v8, s0
	s_delay_alu instid0(VALU_DEP_2) | instskip(NEXT) | instid1(VALU_DEP_2)
	v_cndmask_b32_e64 v7, 0, v7, s5
	v_cndmask_b32_e64 v8, 0x7f800000, v8, s1
	s_delay_alu instid0(VALU_DEP_1) | instskip(SKIP_1) | instid1(VALU_DEP_3)
	v_cndmask_b32_e64 v8, 0, v8, s2
	s_wait_loadcnt 0x0
	v_mul_f32_e32 v6, v6, v7
	v_mul_f32_e32 v7, s37, v7
	s_delay_alu instid0(VALU_DEP_1) | instskip(NEXT) | instid1(VALU_DEP_3)
	v_fmac_f32_e32 v7, v4, v8
	v_fmac_f32_e32 v6, v5, v8
	s_cbranch_execnz .LBB12_15
.LBB12_19:                              ;   in Loop: Header=BB12_9 Depth=1
	s_wait_loadcnt 0x0
	v_dual_mov_b32 v7, v4 :: v_dual_mov_b32 v6, v5
	s_add_co_i32 s17, s34, -1
	s_mov_b32 s27, s20
	s_mov_b32 s9, s26
	s_cbranch_execz .LBB12_23
.LBB12_20:                              ;   in Loop: Header=BB12_9 Depth=1
	s_wait_loadcnt 0x0
	v_dual_mov_b32 v4, v7 :: v_dual_mov_b32 v5, v6
	s_wait_alu 0xfffe
	s_mov_b32 s20, s27
	s_mov_b32 s34, s17
	;; [unrolled: 1-line block ×3, first 2 shown]
	s_branch .LBB12_9
.LBB12_21:
                                        ; implicit-def: $sgpr20_sgpr21
	s_branch .LBB12_2
.LBB12_22:
                                        ; implicit-def: $sgpr10_sgpr11
	s_load_b96 s[12:14], s[0:1], 0x44
	s_branch .LBB12_5
.LBB12_23:
	v_div_scale_f32 v0, null, v7, v7, v6
	s_delay_alu instid0(VALU_DEP_1) | instskip(NEXT) | instid1(TRANS32_DEP_1)
	v_rcp_f32_e32 v3, v0
	v_fma_f32 v4, -v0, v3, 1.0
	s_delay_alu instid0(VALU_DEP_1) | instskip(SKIP_2) | instid1(VALU_DEP_1)
	v_fmac_f32_e32 v3, v4, v3
	v_div_scale_f32 v4, vcc_lo, v6, v7, v6
	s_wait_loadcnt 0x0
	v_mul_f32_e32 v5, v4, v3
	s_delay_alu instid0(VALU_DEP_1) | instskip(NEXT) | instid1(VALU_DEP_1)
	v_fma_f32 v8, -v0, v5, v4
	v_fmac_f32_e32 v5, v8, v3
	s_delay_alu instid0(VALU_DEP_1) | instskip(SKIP_1) | instid1(VALU_DEP_1)
	v_fma_f32 v0, -v0, v5, v4
	s_wait_alu 0xfffd
	v_div_fmas_f32 v0, v0, v3, v5
	s_delay_alu instid0(VALU_DEP_1)
	v_div_fixup_f32 v0, v0, v7, v6
	global_store_b32 v[1:2], v0, off
.LBB12_24:
	s_endpgm
	.section	.rodata,"a",@progbits
	.p2align	6, 0x0
	.amdhsa_kernel _ZL33flash_attn_stream_k_fixup_generalILi80ELi8ELi2EEvPfPK15HIP_vector_typeIfLj2EEiiiiS1_IjLj3EES5_S5_S5_
		.amdhsa_group_segment_fixed_size 0
		.amdhsa_private_segment_fixed_size 0
		.amdhsa_kernarg_size 336
		.amdhsa_user_sgpr_count 2
		.amdhsa_user_sgpr_dispatch_ptr 0
		.amdhsa_user_sgpr_queue_ptr 0
		.amdhsa_user_sgpr_kernarg_segment_ptr 1
		.amdhsa_user_sgpr_dispatch_id 0
		.amdhsa_user_sgpr_private_segment_size 0
		.amdhsa_wavefront_size32 1
		.amdhsa_uses_dynamic_stack 0
		.amdhsa_enable_private_segment 0
		.amdhsa_system_sgpr_workgroup_id_x 1
		.amdhsa_system_sgpr_workgroup_id_y 1
		.amdhsa_system_sgpr_workgroup_id_z 1
		.amdhsa_system_sgpr_workgroup_info 0
		.amdhsa_system_vgpr_workitem_id 0
		.amdhsa_next_free_vgpr 9
		.amdhsa_next_free_sgpr 44
		.amdhsa_reserve_vcc 1
		.amdhsa_float_round_mode_32 0
		.amdhsa_float_round_mode_16_64 0
		.amdhsa_float_denorm_mode_32 3
		.amdhsa_float_denorm_mode_16_64 3
		.amdhsa_fp16_overflow 0
		.amdhsa_workgroup_processor_mode 1
		.amdhsa_memory_ordered 1
		.amdhsa_forward_progress 1
		.amdhsa_inst_pref_size 28
		.amdhsa_round_robin_scheduling 0
		.amdhsa_exception_fp_ieee_invalid_op 0
		.amdhsa_exception_fp_denorm_src 0
		.amdhsa_exception_fp_ieee_div_zero 0
		.amdhsa_exception_fp_ieee_overflow 0
		.amdhsa_exception_fp_ieee_underflow 0
		.amdhsa_exception_fp_ieee_inexact 0
		.amdhsa_exception_int_div_zero 0
	.end_amdhsa_kernel
	.section	.text._ZL33flash_attn_stream_k_fixup_generalILi80ELi8ELi2EEvPfPK15HIP_vector_typeIfLj2EEiiiiS1_IjLj3EES5_S5_S5_,"axG",@progbits,_ZL33flash_attn_stream_k_fixup_generalILi80ELi8ELi2EEvPfPK15HIP_vector_typeIfLj2EEiiiiS1_IjLj3EES5_S5_S5_,comdat
.Lfunc_end12:
	.size	_ZL33flash_attn_stream_k_fixup_generalILi80ELi8ELi2EEvPfPK15HIP_vector_typeIfLj2EEiiiiS1_IjLj3EES5_S5_S5_, .Lfunc_end12-_ZL33flash_attn_stream_k_fixup_generalILi80ELi8ELi2EEvPfPK15HIP_vector_typeIfLj2EEiiiiS1_IjLj3EES5_S5_S5_
                                        ; -- End function
	.set _ZL33flash_attn_stream_k_fixup_generalILi80ELi8ELi2EEvPfPK15HIP_vector_typeIfLj2EEiiiiS1_IjLj3EES5_S5_S5_.num_vgpr, 9
	.set _ZL33flash_attn_stream_k_fixup_generalILi80ELi8ELi2EEvPfPK15HIP_vector_typeIfLj2EEiiiiS1_IjLj3EES5_S5_S5_.num_agpr, 0
	.set _ZL33flash_attn_stream_k_fixup_generalILi80ELi8ELi2EEvPfPK15HIP_vector_typeIfLj2EEiiiiS1_IjLj3EES5_S5_S5_.numbered_sgpr, 44
	.set _ZL33flash_attn_stream_k_fixup_generalILi80ELi8ELi2EEvPfPK15HIP_vector_typeIfLj2EEiiiiS1_IjLj3EES5_S5_S5_.num_named_barrier, 0
	.set _ZL33flash_attn_stream_k_fixup_generalILi80ELi8ELi2EEvPfPK15HIP_vector_typeIfLj2EEiiiiS1_IjLj3EES5_S5_S5_.private_seg_size, 0
	.set _ZL33flash_attn_stream_k_fixup_generalILi80ELi8ELi2EEvPfPK15HIP_vector_typeIfLj2EEiiiiS1_IjLj3EES5_S5_S5_.uses_vcc, 1
	.set _ZL33flash_attn_stream_k_fixup_generalILi80ELi8ELi2EEvPfPK15HIP_vector_typeIfLj2EEiiiiS1_IjLj3EES5_S5_S5_.uses_flat_scratch, 0
	.set _ZL33flash_attn_stream_k_fixup_generalILi80ELi8ELi2EEvPfPK15HIP_vector_typeIfLj2EEiiiiS1_IjLj3EES5_S5_S5_.has_dyn_sized_stack, 0
	.set _ZL33flash_attn_stream_k_fixup_generalILi80ELi8ELi2EEvPfPK15HIP_vector_typeIfLj2EEiiiiS1_IjLj3EES5_S5_S5_.has_recursion, 0
	.set _ZL33flash_attn_stream_k_fixup_generalILi80ELi8ELi2EEvPfPK15HIP_vector_typeIfLj2EEiiiiS1_IjLj3EES5_S5_S5_.has_indirect_call, 0
	.section	.AMDGPU.csdata,"",@progbits
; Kernel info:
; codeLenInByte = 3540
; TotalNumSgprs: 46
; NumVgprs: 9
; ScratchSize: 0
; MemoryBound: 0
; FloatMode: 240
; IeeeMode: 1
; LDSByteSize: 0 bytes/workgroup (compile time only)
; SGPRBlocks: 0
; VGPRBlocks: 1
; NumSGPRsForWavesPerEU: 46
; NumVGPRsForWavesPerEU: 9
; Occupancy: 16
; WaveLimiterHint : 0
; COMPUTE_PGM_RSRC2:SCRATCH_EN: 0
; COMPUTE_PGM_RSRC2:USER_SGPR: 2
; COMPUTE_PGM_RSRC2:TRAP_HANDLER: 0
; COMPUTE_PGM_RSRC2:TGID_X_EN: 1
; COMPUTE_PGM_RSRC2:TGID_Y_EN: 1
; COMPUTE_PGM_RSRC2:TGID_Z_EN: 1
; COMPUTE_PGM_RSRC2:TIDIG_COMP_CNT: 0
	.section	.text._ZL26flash_attn_combine_resultsILi80EEvPKfPK15HIP_vector_typeIfLj2EEPfi,"axG",@progbits,_ZL26flash_attn_combine_resultsILi80EEvPKfPK15HIP_vector_typeIfLj2EEPfi,comdat
	.globl	_ZL26flash_attn_combine_resultsILi80EEvPKfPK15HIP_vector_typeIfLj2EEPfi ; -- Begin function _ZL26flash_attn_combine_resultsILi80EEvPKfPK15HIP_vector_typeIfLj2EEPfi
	.p2align	8
	.type	_ZL26flash_attn_combine_resultsILi80EEvPKfPK15HIP_vector_typeIfLj2EEPfi,@function
_ZL26flash_attn_combine_resultsILi80EEvPKfPK15HIP_vector_typeIfLj2EEPfi: ; @_ZL26flash_attn_combine_resultsILi80EEvPKfPK15HIP_vector_typeIfLj2EEPfi
; %bb.0:
	s_clause 0x2
	s_load_b64 s[2:3], s[0:1], 0x20
	s_load_b96 s[12:14], s[0:1], 0x10
	s_load_b128 s[8:11], s[0:1], 0x0
	s_lshr_b32 s0, ttmp7, 16
	v_lshlrev_b32_e32 v5, 2, v0
	s_mov_b32 s4, exec_lo
	s_wait_kmcnt 0x0
	s_mul_i32 s0, s2, s0
	s_and_b32 s2, ttmp7, 0xffff
	s_add_co_i32 s0, s0, ttmp9
	s_lshl_b32 s1, s14, 1
	s_mul_i32 s15, s0, s3
	s_delay_alu instid0(SALU_CYCLE_1) | instskip(NEXT) | instid1(SALU_CYCLE_1)
	s_add_co_i32 s15, s15, s2
	s_mul_i32 s2, s15, s14
	v_cmpx_gt_i32_e64 s1, v0
	s_cbranch_execz .LBB13_3
; %bb.1:
	s_ashr_i32 s3, s2, 31
	v_dual_mov_b32 v4, v0 :: v_dual_add_nc_u32 v3, 0, v5
	s_lshl_b64 s[6:7], s[2:3], 3
	s_mov_b32 s3, 0
	s_add_nc_u64 s[6:7], s[10:11], s[6:7]
	s_delay_alu instid0(SALU_CYCLE_1)
	v_add_co_u32 v1, s0, s6, v5
	s_wait_alu 0xf1ff
	v_add_co_ci_u32_e64 v2, null, s7, 0, s0
.LBB13_2:                               ; =>This Inner Loop Header: Depth=1
	global_load_b32 v6, v[1:2], off
	v_add_nc_u32_e32 v4, 0x50, v4
	v_add_co_u32 v1, vcc_lo, 0x140, v1
	s_wait_alu 0xfffd
	v_add_co_ci_u32_e64 v2, null, 0, v2, vcc_lo
	s_delay_alu instid0(VALU_DEP_3)
	v_cmp_le_i32_e64 s0, s1, v4
	s_or_b32 s3, s0, s3
	s_wait_loadcnt 0x0
	ds_store_b32 v3, v6
	v_add_nc_u32_e32 v3, 0x140, v3
	s_and_not1_b32 exec_lo, exec_lo, s3
	s_cbranch_execnz .LBB13_2
.LBB13_3:
	s_or_b32 exec_lo, exec_lo, s4
	v_mov_b32_e32 v1, 0
	s_wait_dscnt 0x0
	s_barrier_signal -1
	s_barrier_wait -1
	global_inv scope:SCOPE_SE
	ds_load_b32 v6, v1
	s_cmp_lt_i32 s14, 2
	s_cbranch_scc1 .LBB13_11
; %bb.4:
	s_add_co_i32 s1, s14, -2
	s_add_co_i32 s0, s14, -1
	s_wait_alu 0xfffe
	s_cmp_lt_u32 s1, 7
	s_cbranch_scc1 .LBB13_8
; %bb.5:
	s_mov_b32 s3, 0
	s_add_co_i32 s1, 0, 8
	s_and_b32 s4, s0, -8
.LBB13_6:                               ; =>This Inner Loop Header: Depth=1
	s_wait_alu 0xfffe
	v_mov_b32_e32 v9, s1
	s_mov_b32 s5, s3
	s_add_co_i32 s3, s3, 8
	s_add_co_i32 s1, s1, 64
	s_cmp_eq_u32 s4, s3
	ds_load_2addr_b32 v[1:2], v9 offset1:2
	ds_load_2addr_b32 v[3:4], v9 offset0:4 offset1:6
	ds_load_2addr_b32 v[7:8], v9 offset0:8 offset1:10
	;; [unrolled: 1-line block ×3, first 2 shown]
	s_wait_dscnt 0x3
	v_max3_num_f32 v1, v6, v1, v2
	s_wait_dscnt 0x2
	s_delay_alu instid0(VALU_DEP_1) | instskip(SKIP_1) | instid1(VALU_DEP_1)
	v_max3_num_f32 v1, v1, v3, v4
	s_wait_dscnt 0x1
	v_max3_num_f32 v1, v1, v7, v8
	s_wait_dscnt 0x0
	s_delay_alu instid0(VALU_DEP_1)
	v_max3_num_f32 v6, v1, v9, v10
	s_cbranch_scc0 .LBB13_6
; %bb.7:
	s_add_co_i32 s1, s5, 9
	s_and_b32 s0, s0, 7
	s_wait_alu 0xfffe
	s_cmp_eq_u32 s0, 0
	s_cbranch_scc0 .LBB13_9
	s_branch .LBB13_11
.LBB13_8:
	s_mov_b32 s1, 1
	s_and_b32 s0, s0, 7
	s_wait_alu 0xfffe
	s_cmp_eq_u32 s0, 0
	s_cbranch_scc1 .LBB13_11
.LBB13_9:
	s_lshl_b32 s1, s1, 3
	s_wait_alu 0xfffe
	s_add_co_i32 s1, s1, 0
.LBB13_10:                              ; =>This Inner Loop Header: Depth=1
	s_wait_dscnt 0x0
	s_wait_alu 0xfffe
	s_delay_alu instid0(VALU_DEP_1)
	v_dual_mov_b32 v1, s1 :: v_dual_max_num_f32 v2, v6, v6
	s_add_co_i32 s0, s0, -1
	s_add_co_i32 s1, s1, 8
	s_wait_alu 0xfffe
	s_cmp_lg_u32 s0, 0
	ds_load_b32 v1, v1
	s_wait_dscnt 0x0
	v_max_num_f32_e32 v1, v1, v1
	s_delay_alu instid0(VALU_DEP_1)
	v_max_num_f32_e32 v6, v2, v1
	s_cbranch_scc1 .LBB13_10
.LBB13_11:
	s_cmp_lt_i32 s14, 1
	s_cbranch_scc1 .LBB13_16
; %bb.12:
	s_mul_i32 s6, s2, 0x50
	s_wait_alu 0xfffe
	s_ashr_i32 s7, s6, 31
	s_cmp_lt_u32 s14, 8
	s_cbranch_scc1 .LBB13_17
; %bb.13:
	v_dual_mov_b32 v4, 0 :: v_dual_add_nc_u32 v1, 0x140, v0
	v_dual_mov_b32 v7, 0 :: v_dual_mov_b32 v8, 0
	s_wait_alu 0xfffe
	s_lshl_b64 s[0:1], s[6:7], 2
	s_and_b32 s16, s14, 0x7ffffff8
	s_wait_alu 0xfffe
	s_add_nc_u64 s[10:11], s[8:9], s[0:1]
	s_mov_b32 s17, 0
	s_mov_b32 s18, 0
.LBB13_14:                              ; =>This Inner Loop Header: Depth=1
	v_dual_mov_b32 v2, v4 :: v_dual_add_nc_u32 v3, 0xfffffec0, v1
	s_add_co_i32 s17, s17, 8
	s_delay_alu instid0(VALU_DEP_1) | instskip(SKIP_1) | instid1(VALU_DEP_3)
	v_lshlrev_b64_e32 v[9:10], 2, v[3:4]
	v_add_nc_u32_e32 v3, 0xffffff10, v1
	v_lshlrev_b64_e32 v[11:12], 2, v[1:2]
	s_delay_alu instid0(VALU_DEP_2) | instskip(NEXT) | instid1(VALU_DEP_4)
	v_lshlrev_b64_e32 v[13:14], 2, v[3:4]
	v_add_co_u32 v9, vcc_lo, s10, v9
	s_wait_alu 0xfffd
	v_add_co_ci_u32_e64 v10, null, s11, v10, vcc_lo
	v_add_nc_u32_e32 v3, 0xffffff60, v1
	v_add_co_u32 v11, vcc_lo, s10, v11
	global_load_b32 v25, v[9:10], off
	s_wait_alu 0xfffd
	v_add_co_ci_u32_e64 v12, null, s11, v12, vcc_lo
	v_add_co_u32 v13, vcc_lo, s10, v13
	v_lshlrev_b64_e32 v[15:16], 2, v[3:4]
	s_wait_alu 0xfffd
	v_add_co_ci_u32_e64 v14, null, s11, v14, vcc_lo
	global_load_b32 v29, v[11:12], off
	v_add_nc_u32_e32 v3, 0xffffffb0, v1
	global_load_b32 v26, v[13:14], off
	v_add_co_u32 v13, vcc_lo, s10, v15
	s_wait_alu 0xfffd
	v_add_co_ci_u32_e64 v14, null, s11, v16, vcc_lo
	v_lshlrev_b64_e32 v[9:10], 2, v[3:4]
	v_add_nc_u32_e32 v3, 0x50, v1
	global_load_b32 v27, v[13:14], off
	v_add_co_u32 v9, vcc_lo, s10, v9
	v_lshlrev_b64_e32 v[15:16], 2, v[3:4]
	v_add_nc_u32_e32 v3, 0xa0, v1
	s_wait_alu 0xfffd
	v_add_co_ci_u32_e64 v10, null, s11, v10, vcc_lo
	global_load_b32 v28, v[9:10], off
	v_lshlrev_b64_e32 v[13:14], 2, v[3:4]
	v_add_nc_u32_e32 v3, 0xf0, v1
	v_add_co_u32 v9, vcc_lo, s10, v15
	s_wait_alu 0xfffd
	v_add_co_ci_u32_e64 v10, null, s11, v16, vcc_lo
	s_delay_alu instid0(VALU_DEP_3)
	v_lshlrev_b64_e32 v[2:3], 2, v[3:4]
	v_add_nc_u32_e32 v1, 0x280, v1
	global_load_b32 v30, v[9:10], off
	v_add_co_u32 v9, vcc_lo, s10, v13
	s_wait_alu 0xfffd
	v_add_co_ci_u32_e64 v10, null, s11, v14, vcc_lo
	v_add_co_u32 v2, vcc_lo, s10, v2
	s_wait_alu 0xfffd
	v_add_co_ci_u32_e64 v3, null, s11, v3, vcc_lo
	s_clause 0x1
	global_load_b32 v31, v[9:10], off
	global_load_b32 v2, v[2:3], off
	s_wait_alu 0xfffe
	v_mov_b32_e32 v3, s18
	ds_load_2addr_b64 v[9:12], v3 offset1:1
	ds_load_2addr_b64 v[13:16], v3 offset0:2 offset1:3
	ds_load_2addr_b64 v[17:20], v3 offset0:4 offset1:5
	;; [unrolled: 1-line block ×3, first 2 shown]
	s_add_co_i32 s18, s18, 64
	s_cmp_eq_u32 s16, s17
	s_wait_dscnt 0x3
	v_sub_f32_e32 v3, v9, v6
	v_sub_f32_e32 v9, v11, v6
	s_wait_dscnt 0x2
	v_sub_f32_e32 v11, v13, v6
	v_sub_f32_e32 v13, v15, v6
	;; [unrolled: 3-line block ×3, first 2 shown]
	s_wait_dscnt 0x0
	v_sub_f32_e32 v19, v21, v6
	s_delay_alu instid0(VALU_DEP_2) | instskip(SKIP_1) | instid1(VALU_DEP_2)
	v_dual_sub_f32 v21, v23, v6 :: v_dual_mul_f32 v36, 0x3fb8aa3b, v17
	v_mul_f32_e32 v32, 0x3fb8aa3b, v9
	v_dual_mul_f32 v38, 0x3fb8aa3b, v21 :: v_dual_mul_f32 v33, 0x3fb8aa3b, v11
	v_cmp_ngt_f32_e32 vcc_lo, 0xc2ce8ed0, v11
	s_delay_alu instid0(VALU_DEP_4) | instskip(NEXT) | instid1(VALU_DEP_4)
	v_xor_b32_e32 v49, 0x80000000, v36
	v_xor_b32_e32 v41, 0x80000000, v32
	v_rndne_f32_e32 v42, v32
	v_xor_b32_e32 v43, 0x80000000, v33
	v_rndne_f32_e32 v44, v33
	v_rndne_f32_e32 v50, v36
	s_delay_alu instid0(VALU_DEP_4) | instskip(NEXT) | instid1(VALU_DEP_4)
	v_dual_fmac_f32 v41, 0x3fb8aa3b, v9 :: v_dual_sub_f32 v32, v32, v42
	v_fmac_f32_e32 v43, 0x3fb8aa3b, v11
	s_delay_alu instid0(VALU_DEP_4) | instskip(SKIP_1) | instid1(VALU_DEP_4)
	v_sub_f32_e32 v33, v33, v44
	v_cvt_i32_f32_e32 v42, v42
	v_fmac_f32_e32 v41, 0x32a5705f, v9
	v_cvt_i32_f32_e32 v44, v44
	v_fmac_f32_e32 v43, 0x32a5705f, v11
	v_dual_fmac_f32 v49, 0x3fb8aa3b, v17 :: v_dual_sub_f32 v36, v36, v50
	s_delay_alu instid0(VALU_DEP_4) | instskip(SKIP_1) | instid1(VALU_DEP_4)
	v_add_f32_e32 v32, v32, v41
	v_dual_mul_f32 v34, 0x3fb8aa3b, v13 :: v_dual_mul_f32 v23, 0x3fb8aa3b, v3
	v_add_f32_e32 v33, v33, v43
	v_cmp_ngt_f32_e64 s5, 0xc2ce8ed0, v3
	s_delay_alu instid0(VALU_DEP_4) | instskip(NEXT) | instid1(VALU_DEP_3)
	v_exp_f32_e32 v32, v32
	v_xor_b32_e32 v45, 0x80000000, v34
	v_xor_b32_e32 v39, 0x80000000, v23
	v_rndne_f32_e32 v40, v23
	v_rndne_f32_e32 v46, v34
	v_exp_f32_e32 v33, v33
	v_fmac_f32_e32 v45, 0x3fb8aa3b, v13
	v_fmac_f32_e32 v39, 0x3fb8aa3b, v3
	v_sub_f32_e32 v23, v23, v40
	v_cvt_i32_f32_e32 v40, v40
	s_delay_alu instid0(VALU_DEP_4) | instskip(NEXT) | instid1(VALU_DEP_4)
	v_dual_sub_f32 v34, v34, v46 :: v_dual_fmac_f32 v45, 0x32a5705f, v13
	v_fmac_f32_e32 v39, 0x32a5705f, v3
	v_ldexp_f32 v32, v32, v42
	v_cvt_i32_f32_e32 v46, v46
	s_delay_alu instid0(TRANS32_DEP_1) | instskip(NEXT) | instid1(VALU_DEP_4)
	v_ldexp_f32 v33, v33, v44
	v_dual_add_f32 v34, v34, v45 :: v_dual_add_f32 v23, v23, v39
	v_cmp_ngt_f32_e64 s0, 0xc2ce8ed0, v13
	v_fmac_f32_e32 v49, 0x32a5705f, v17
	v_xor_b32_e32 v53, 0x80000000, v38
	s_delay_alu instid0(VALU_DEP_4)
	v_exp_f32_e32 v34, v34
	v_exp_f32_e32 v23, v23
	v_cvt_i32_f32_e32 v50, v50
	v_add_f32_e32 v36, v36, v49
	v_cmp_ngt_f32_e64 s1, 0xc2ce8ed0, v15
	v_rndne_f32_e32 v54, v38
	v_cmp_ngt_f32_e64 s2, 0xc2ce8ed0, v17
	s_delay_alu instid0(VALU_DEP_4) | instskip(NEXT) | instid1(TRANS32_DEP_3)
	v_exp_f32_e32 v36, v36
	v_ldexp_f32 v34, v34, v46
	s_delay_alu instid0(TRANS32_DEP_2) | instskip(SKIP_3) | instid1(VALU_DEP_3)
	v_ldexp_f32 v23, v23, v40
	v_sub_f32_e32 v38, v38, v54
	v_cvt_i32_f32_e32 v54, v54
	s_wait_alu 0xf1ff
	v_cndmask_b32_e64 v23, 0, v23, s5
	v_cmp_ngt_f32_e64 s5, 0xc2ce8ed0, v9
	s_delay_alu instid0(TRANS32_DEP_1) | instskip(SKIP_1) | instid1(VALU_DEP_2)
	v_ldexp_f32 v36, v36, v50
	s_wait_alu 0xf1ff
	v_cndmask_b32_e64 v32, 0, v32, s5
	v_cmp_nlt_f32_e64 s5, 0x42b17218, v3
	s_wait_alu 0xf1ff
	s_delay_alu instid0(VALU_DEP_1)
	v_cndmask_b32_e64 v3, 0x7f800000, v23, s5
	s_wait_alu 0xfffd
	v_cndmask_b32_e32 v23, 0, v33, vcc_lo
	v_cmp_nlt_f32_e32 vcc_lo, 0x42b17218, v9
	s_wait_alu 0xfffd
	v_dual_fmac_f32 v8, v3, v10 :: v_dual_cndmask_b32 v9, 0x7f800000, v32
	v_cmp_nlt_f32_e32 vcc_lo, 0x42b17218, v11
	s_delay_alu instid0(VALU_DEP_2)
	v_fmac_f32_e32 v8, v9, v12
	s_wait_alu 0xfffd
	v_cndmask_b32_e32 v10, 0x7f800000, v23, vcc_lo
	v_cmp_nlt_f32_e32 vcc_lo, 0x42b17218, v13
	v_fmac_f32_e32 v53, 0x3fb8aa3b, v21
	v_cmp_ngt_f32_e64 s4, 0xc2ce8ed0, v21
	s_delay_alu instid0(VALU_DEP_2) | instskip(NEXT) | instid1(VALU_DEP_1)
	v_dual_fmac_f32 v8, v10, v14 :: v_dual_fmac_f32 v53, 0x32a5705f, v21
	v_add_f32_e32 v38, v38, v53
	v_cmp_ngt_f32_e64 s3, 0xc2ce8ed0, v19
	s_delay_alu instid0(VALU_DEP_2) | instskip(NEXT) | instid1(TRANS32_DEP_1)
	v_exp_f32_e32 v38, v38
	v_ldexp_f32 v38, v38, v54
	s_wait_loadcnt 0x7
	v_fmac_f32_e32 v7, v25, v3
	v_cndmask_b32_e64 v3, 0, v34, s0
	s_wait_alu 0xfffd
	s_delay_alu instid0(VALU_DEP_1) | instskip(SKIP_2) | instid1(VALU_DEP_2)
	v_cndmask_b32_e32 v3, 0x7f800000, v3, vcc_lo
	v_cmp_nlt_f32_e32 vcc_lo, 0x42b17218, v15
	s_wait_loadcnt 0x5
	v_dual_fmac_f32 v7, v26, v9 :: v_dual_fmac_f32 v8, v3, v16
	v_mul_f32_e32 v35, 0x3fb8aa3b, v15
	s_delay_alu instid0(VALU_DEP_1)
	v_xor_b32_e32 v47, 0x80000000, v35
	v_rndne_f32_e32 v48, v35
	s_wait_loadcnt 0x4
	v_fmac_f32_e32 v7, v27, v10
	v_cndmask_b32_e64 v10, 0, v36, s2
	v_fmac_f32_e32 v47, 0x3fb8aa3b, v15
	v_sub_f32_e32 v35, v35, v48
	v_cvt_i32_f32_e32 v48, v48
	s_delay_alu instid0(VALU_DEP_3) | instskip(SKIP_2) | instid1(VALU_DEP_2)
	v_fmac_f32_e32 v47, 0x32a5705f, v15
	s_wait_loadcnt 0x3
	v_fmac_f32_e32 v7, v28, v3
	v_add_f32_e32 v35, v35, v47
	s_delay_alu instid0(VALU_DEP_1) | instskip(NEXT) | instid1(TRANS32_DEP_1)
	v_exp_f32_e32 v35, v35
	v_ldexp_f32 v35, v35, v48
	s_delay_alu instid0(VALU_DEP_1) | instskip(SKIP_1) | instid1(VALU_DEP_1)
	v_cndmask_b32_e64 v9, 0, v35, s1
	s_wait_alu 0xfffd
	v_cndmask_b32_e32 v9, 0x7f800000, v9, vcc_lo
	v_cmp_nlt_f32_e32 vcc_lo, 0x42b17218, v17
	s_delay_alu instid0(VALU_DEP_2)
	v_fmac_f32_e32 v8, v9, v18
	s_wait_alu 0xfffd
	v_cndmask_b32_e32 v10, 0x7f800000, v10, vcc_lo
	v_mul_f32_e32 v37, 0x3fb8aa3b, v19
	v_fmac_f32_e32 v7, v29, v9
	v_cmp_nlt_f32_e32 vcc_lo, 0x42b17218, v19
	s_wait_alu 0xf1ff
	v_cndmask_b32_e64 v9, 0, v38, s4
	v_fmac_f32_e32 v8, v10, v20
	v_xor_b32_e32 v51, 0x80000000, v37
	v_rndne_f32_e32 v52, v37
	s_wait_loadcnt 0x2
	v_fmac_f32_e32 v7, v30, v10
	s_delay_alu instid0(VALU_DEP_3) | instskip(NEXT) | instid1(VALU_DEP_3)
	v_fmac_f32_e32 v51, 0x3fb8aa3b, v19
	v_sub_f32_e32 v37, v37, v52
	v_cvt_i32_f32_e32 v52, v52
	s_delay_alu instid0(VALU_DEP_3) | instskip(NEXT) | instid1(VALU_DEP_1)
	v_fmac_f32_e32 v51, 0x32a5705f, v19
	v_add_f32_e32 v37, v37, v51
	s_delay_alu instid0(VALU_DEP_1) | instskip(NEXT) | instid1(TRANS32_DEP_1)
	v_exp_f32_e32 v37, v37
	v_ldexp_f32 v37, v37, v52
	s_delay_alu instid0(VALU_DEP_1) | instskip(SKIP_1) | instid1(VALU_DEP_1)
	v_cndmask_b32_e64 v3, 0, v37, s3
	s_wait_alu 0xfffd
	v_cndmask_b32_e32 v3, 0x7f800000, v3, vcc_lo
	v_cmp_nlt_f32_e32 vcc_lo, 0x42b17218, v21
	s_wait_alu 0xfffd
	s_delay_alu instid0(VALU_DEP_2) | instskip(SKIP_1) | instid1(VALU_DEP_1)
	v_dual_fmac_f32 v8, v3, v22 :: v_dual_cndmask_b32 v9, 0x7f800000, v9
	s_wait_loadcnt 0x1
	v_dual_fmac_f32 v7, v31, v3 :: v_dual_fmac_f32 v8, v9, v24
	s_wait_loadcnt 0x0
	s_delay_alu instid0(VALU_DEP_1)
	v_fmac_f32_e32 v7, v2, v9
	s_cbranch_scc0 .LBB13_14
; %bb.15:
	s_and_b32 s1, s14, 7
	s_wait_alu 0xfffe
	s_cmp_eq_u32 s1, 0
	s_cbranch_scc0 .LBB13_18
	s_branch .LBB13_20
.LBB13_16:
	v_mov_b32_e32 v0, 0x7fc00000
	s_branch .LBB13_21
.LBB13_17:
	v_dual_mov_b32 v7, 0 :: v_dual_mov_b32 v8, 0
	s_mov_b32 s16, 0
	s_and_b32 s1, s14, 7
	s_wait_alu 0xfffe
	s_cmp_eq_u32 s1, 0
	s_cbranch_scc1 .LBB13_20
.LBB13_18:
	v_mad_co_u64_u32 v[0:1], null, 0x50, s16, v[0:1]
	v_mov_b32_e32 v1, 0
	s_lshl_b64 s[2:3], s[6:7], 2
	s_lshl_b32 s0, s16, 3
	s_wait_alu 0xfffe
	s_add_nc_u64 s[2:3], s[8:9], s[2:3]
	s_delay_alu instid0(VALU_DEP_2) | instskip(SKIP_1) | instid1(VALU_DEP_1)
	v_lshlrev_b64_e32 v[0:1], 2, v[0:1]
	s_wait_alu 0xfffe
	v_add_co_u32 v0, vcc_lo, s2, v0
	s_wait_alu 0xfffd
	s_delay_alu instid0(VALU_DEP_2)
	v_add_co_ci_u32_e64 v1, null, s3, v1, vcc_lo
	s_add_co_i32 s2, s0, 0
.LBB13_19:                              ; =>This Inner Loop Header: Depth=1
	global_load_b32 v4, v[0:1], off
	s_wait_alu 0xfffe
	v_mov_b32_e32 v2, s2
	s_add_co_i32 s1, s1, -1
	s_add_co_i32 s2, s2, 8
	s_wait_alu 0xfffe
	s_cmp_lg_u32 s1, 0
	ds_load_b64 v[2:3], v2
	s_wait_dscnt 0x0
	v_sub_f32_e32 v2, v2, v6
	s_delay_alu instid0(VALU_DEP_1) | instskip(SKIP_1) | instid1(VALU_DEP_2)
	v_mul_f32_e32 v9, 0x3fb8aa3b, v2
	v_cmp_ngt_f32_e32 vcc_lo, 0xc2ce8ed0, v2
	v_xor_b32_e32 v10, 0x80000000, v9
	v_rndne_f32_e32 v11, v9
	s_delay_alu instid0(VALU_DEP_1) | instskip(NEXT) | instid1(VALU_DEP_1)
	v_dual_fmac_f32 v10, 0x3fb8aa3b, v2 :: v_dual_sub_f32 v9, v9, v11
	v_fmac_f32_e32 v10, 0x32a5705f, v2
	s_delay_alu instid0(VALU_DEP_1) | instskip(SKIP_1) | instid1(VALU_DEP_2)
	v_add_f32_e32 v9, v9, v10
	v_cvt_i32_f32_e32 v10, v11
	v_exp_f32_e32 v9, v9
	s_delay_alu instid0(TRANS32_DEP_1) | instskip(SKIP_1) | instid1(VALU_DEP_1)
	v_ldexp_f32 v9, v9, v10
	s_wait_alu 0xfffd
	v_cndmask_b32_e32 v9, 0, v9, vcc_lo
	v_cmp_nlt_f32_e64 s0, 0x42b17218, v2
	v_add_co_u32 v0, vcc_lo, 0x140, v0
	s_wait_alu 0xfffd
	v_add_co_ci_u32_e64 v1, null, 0, v1, vcc_lo
	s_wait_alu 0xf1ff
	v_cndmask_b32_e64 v2, 0x7f800000, v9, s0
	s_wait_loadcnt 0x0
	s_delay_alu instid0(VALU_DEP_1)
	v_dual_fmac_f32 v8, v2, v3 :: v_dual_fmac_f32 v7, v4, v2
	s_cbranch_scc1 .LBB13_19
.LBB13_20:
	s_delay_alu instid0(VALU_DEP_1) | instskip(NEXT) | instid1(VALU_DEP_1)
	v_div_scale_f32 v0, null, v8, v8, v7
	v_rcp_f32_e32 v1, v0
	s_delay_alu instid0(TRANS32_DEP_1) | instskip(NEXT) | instid1(VALU_DEP_1)
	v_fma_f32 v2, -v0, v1, 1.0
	v_fmac_f32_e32 v1, v2, v1
	v_div_scale_f32 v2, vcc_lo, v7, v8, v7
	s_delay_alu instid0(VALU_DEP_1) | instskip(NEXT) | instid1(VALU_DEP_1)
	v_mul_f32_e32 v3, v2, v1
	v_fma_f32 v4, -v0, v3, v2
	s_delay_alu instid0(VALU_DEP_1) | instskip(NEXT) | instid1(VALU_DEP_1)
	v_fmac_f32_e32 v3, v4, v1
	v_fma_f32 v0, -v0, v3, v2
	s_wait_alu 0xfffd
	s_delay_alu instid0(VALU_DEP_1) | instskip(NEXT) | instid1(VALU_DEP_1)
	v_div_fmas_f32 v0, v0, v1, v3
	v_div_fixup_f32 v0, v0, v8, v7
.LBB13_21:
	s_mul_i32 s0, s15, 0x50
	s_wait_alu 0xfffe
	s_ashr_i32 s1, s0, 31
	s_wait_alu 0xfffe
	s_lshl_b64 s[0:1], s[0:1], 2
	s_wait_alu 0xfffe
	s_add_nc_u64 s[0:1], s[12:13], s[0:1]
	global_store_b32 v5, v0, s[0:1]
	s_endpgm
	.section	.rodata,"a",@progbits
	.p2align	6, 0x0
	.amdhsa_kernel _ZL26flash_attn_combine_resultsILi80EEvPKfPK15HIP_vector_typeIfLj2EEPfi
		.amdhsa_group_segment_fixed_size 0
		.amdhsa_private_segment_fixed_size 0
		.amdhsa_kernarg_size 288
		.amdhsa_user_sgpr_count 2
		.amdhsa_user_sgpr_dispatch_ptr 0
		.amdhsa_user_sgpr_queue_ptr 0
		.amdhsa_user_sgpr_kernarg_segment_ptr 1
		.amdhsa_user_sgpr_dispatch_id 0
		.amdhsa_user_sgpr_private_segment_size 0
		.amdhsa_wavefront_size32 1
		.amdhsa_uses_dynamic_stack 0
		.amdhsa_enable_private_segment 0
		.amdhsa_system_sgpr_workgroup_id_x 1
		.amdhsa_system_sgpr_workgroup_id_y 1
		.amdhsa_system_sgpr_workgroup_id_z 1
		.amdhsa_system_sgpr_workgroup_info 0
		.amdhsa_system_vgpr_workitem_id 0
		.amdhsa_next_free_vgpr 55
		.amdhsa_next_free_sgpr 19
		.amdhsa_reserve_vcc 1
		.amdhsa_float_round_mode_32 0
		.amdhsa_float_round_mode_16_64 0
		.amdhsa_float_denorm_mode_32 3
		.amdhsa_float_denorm_mode_16_64 3
		.amdhsa_fp16_overflow 0
		.amdhsa_workgroup_processor_mode 1
		.amdhsa_memory_ordered 1
		.amdhsa_forward_progress 1
		.amdhsa_inst_pref_size 21
		.amdhsa_round_robin_scheduling 0
		.amdhsa_exception_fp_ieee_invalid_op 0
		.amdhsa_exception_fp_denorm_src 0
		.amdhsa_exception_fp_ieee_div_zero 0
		.amdhsa_exception_fp_ieee_overflow 0
		.amdhsa_exception_fp_ieee_underflow 0
		.amdhsa_exception_fp_ieee_inexact 0
		.amdhsa_exception_int_div_zero 0
	.end_amdhsa_kernel
	.section	.text._ZL26flash_attn_combine_resultsILi80EEvPKfPK15HIP_vector_typeIfLj2EEPfi,"axG",@progbits,_ZL26flash_attn_combine_resultsILi80EEvPKfPK15HIP_vector_typeIfLj2EEPfi,comdat
.Lfunc_end13:
	.size	_ZL26flash_attn_combine_resultsILi80EEvPKfPK15HIP_vector_typeIfLj2EEPfi, .Lfunc_end13-_ZL26flash_attn_combine_resultsILi80EEvPKfPK15HIP_vector_typeIfLj2EEPfi
                                        ; -- End function
	.set _ZL26flash_attn_combine_resultsILi80EEvPKfPK15HIP_vector_typeIfLj2EEPfi.num_vgpr, 55
	.set _ZL26flash_attn_combine_resultsILi80EEvPKfPK15HIP_vector_typeIfLj2EEPfi.num_agpr, 0
	.set _ZL26flash_attn_combine_resultsILi80EEvPKfPK15HIP_vector_typeIfLj2EEPfi.numbered_sgpr, 19
	.set _ZL26flash_attn_combine_resultsILi80EEvPKfPK15HIP_vector_typeIfLj2EEPfi.num_named_barrier, 0
	.set _ZL26flash_attn_combine_resultsILi80EEvPKfPK15HIP_vector_typeIfLj2EEPfi.private_seg_size, 0
	.set _ZL26flash_attn_combine_resultsILi80EEvPKfPK15HIP_vector_typeIfLj2EEPfi.uses_vcc, 1
	.set _ZL26flash_attn_combine_resultsILi80EEvPKfPK15HIP_vector_typeIfLj2EEPfi.uses_flat_scratch, 0
	.set _ZL26flash_attn_combine_resultsILi80EEvPKfPK15HIP_vector_typeIfLj2EEPfi.has_dyn_sized_stack, 0
	.set _ZL26flash_attn_combine_resultsILi80EEvPKfPK15HIP_vector_typeIfLj2EEPfi.has_recursion, 0
	.set _ZL26flash_attn_combine_resultsILi80EEvPKfPK15HIP_vector_typeIfLj2EEPfi.has_indirect_call, 0
	.section	.AMDGPU.csdata,"",@progbits
; Kernel info:
; codeLenInByte = 2608
; TotalNumSgprs: 21
; NumVgprs: 55
; ScratchSize: 0
; MemoryBound: 0
; FloatMode: 240
; IeeeMode: 1
; LDSByteSize: 0 bytes/workgroup (compile time only)
; SGPRBlocks: 0
; VGPRBlocks: 6
; NumSGPRsForWavesPerEU: 21
; NumVGPRsForWavesPerEU: 55
; Occupancy: 16
; WaveLimiterHint : 0
; COMPUTE_PGM_RSRC2:SCRATCH_EN: 0
; COMPUTE_PGM_RSRC2:USER_SGPR: 2
; COMPUTE_PGM_RSRC2:TRAP_HANDLER: 0
; COMPUTE_PGM_RSRC2:TGID_X_EN: 1
; COMPUTE_PGM_RSRC2:TGID_Y_EN: 1
; COMPUTE_PGM_RSRC2:TGID_Z_EN: 1
; COMPUTE_PGM_RSRC2:TIDIG_COMP_CNT: 0
	.section	.text._ZL18flash_attn_ext_f16ILi96ELi96ELi8ELi2ELb0ELb0EEvPKcS1_S1_S1_S1_PKiPfP15HIP_vector_typeIfLj2EEffffjfiS5_IjLj3EEiiiiiiiiiiiliiliiiiil,"axG",@progbits,_ZL18flash_attn_ext_f16ILi96ELi96ELi8ELi2ELb0ELb0EEvPKcS1_S1_S1_S1_PKiPfP15HIP_vector_typeIfLj2EEffffjfiS5_IjLj3EEiiiiiiiiiiiliiliiiiil,comdat
	.globl	_ZL18flash_attn_ext_f16ILi96ELi96ELi8ELi2ELb0ELb0EEvPKcS1_S1_S1_S1_PKiPfP15HIP_vector_typeIfLj2EEffffjfiS5_IjLj3EEiiiiiiiiiiiliiliiiiil ; -- Begin function _ZL18flash_attn_ext_f16ILi96ELi96ELi8ELi2ELb0ELb0EEvPKcS1_S1_S1_S1_PKiPfP15HIP_vector_typeIfLj2EEffffjfiS5_IjLj3EEiiiiiiiiiiiliiliiiiil
	.p2align	8
	.type	_ZL18flash_attn_ext_f16ILi96ELi96ELi8ELi2ELb0ELb0EEvPKcS1_S1_S1_S1_PKiPfP15HIP_vector_typeIfLj2EEffffjfiS5_IjLj3EEiiiiiiiiiiiliiliiiiil,@function
_ZL18flash_attn_ext_f16ILi96ELi96ELi8ELi2ELb0ELb0EEvPKcS1_S1_S1_S1_PKiPfP15HIP_vector_typeIfLj2EEffffjfiS5_IjLj3EEiiiiiiiiiiiliiliiiiil: ; @_ZL18flash_attn_ext_f16ILi96ELi96ELi8ELi2ELb0ELb0EEvPKcS1_S1_S1_S1_PKiPfP15HIP_vector_typeIfLj2EEffffjfiS5_IjLj3EEiiiiiiiiiiiliiliiiiil
; %bb.0:
	s_clause 0x1
	s_load_b64 s[2:3], s[0:1], 0x80
	s_load_b128 s[24:27], s[0:1], 0x64
	s_mov_b32 s34, ttmp9
	s_mov_b32 s35, 0
                                        ; implicit-def: $vgpr255 : SGPR spill to VGPR lane
	s_wait_kmcnt 0x0
	s_abs_i32 s4, s3
	s_abs_i32 s7, s25
	s_cvt_f32_u32 s5, s4
	s_sub_co_i32 s6, 0, s4
	s_delay_alu instid0(SALU_CYCLE_2) | instskip(NEXT) | instid1(TRANS32_DEP_1)
	v_rcp_iflag_f32_e32 v1, s5
	v_readfirstlane_b32 s5, v1
	s_mul_f32 s5, s5, 0x4f7ffffe
	s_wait_alu 0xfffe
	s_delay_alu instid0(SALU_CYCLE_2) | instskip(SKIP_1) | instid1(SALU_CYCLE_2)
	s_cvt_u32_f32 s5, s5
	s_wait_alu 0xfffe
	s_mul_i32 s6, s6, s5
	s_delay_alu instid0(SALU_CYCLE_1) | instskip(NEXT) | instid1(SALU_CYCLE_1)
	s_mul_hi_u32 s6, s5, s6
	s_add_co_i32 s5, s5, s6
	s_xor_b32 s6, s25, s3
	s_wait_alu 0xfffe
	s_mul_hi_u32 s5, s7, s5
	s_ashr_i32 s6, s6, 31
	s_wait_alu 0xfffe
	s_mul_i32 s8, s5, s4
	s_delay_alu instid0(SALU_CYCLE_1)
	s_sub_co_i32 s7, s7, s8
	s_add_co_i32 s8, s5, 1
	s_sub_co_i32 s9, s7, s4
	s_cmp_ge_u32 s7, s4
	s_cselect_b32 s5, s8, s5
	s_cselect_b32 s7, s9, s7
	s_wait_alu 0xfffe
	s_add_co_i32 s8, s5, 1
	s_cmp_ge_u32 s7, s4
	s_cselect_b32 s4, s8, s5
	s_add_co_i32 s2, s2, 31
	s_wait_alu 0xfffe
	s_xor_b32 s4, s4, s6
	s_add_co_i32 s5, s24, 7
	s_ashr_i32 s7, s2, 31
	s_wait_alu 0xfffe
	s_sub_co_i32 s33, s4, s6
	s_lshr_b32 s8, s5, 3
	s_lshr_b32 s4, s7, 27
	s_add_co_i32 s5, s33, 1
	s_wait_alu 0xfffe
	s_add_co_i32 s2, s2, s4
	s_lshr_b32 s4, s5, 31
	s_ashr_i32 s100, s2, 5
	s_wait_alu 0xfffe
	s_add_co_i32 s5, s5, s4
	s_mul_i32 s97, s8, s100
	s_wait_alu 0xfffe
	s_ashr_i32 s2, s5, 1
	v_writelane_b32 v255, s8, 0
	s_mul_i32 s98, s97, s2
	s_mov_b32 s4, s35
	s_mul_i32 s99, s98, s3
	s_delay_alu instid0(SALU_CYCLE_1) | instskip(NEXT) | instid1(SALU_CYCLE_1)
	s_mul_i32 s2, s99, s26
	s_ashr_i32 s3, s2, 31
	s_delay_alu instid0(SALU_CYCLE_1)
	s_mul_u64 s[6:7], s[2:3], s[34:35]
	s_load_b32 s34, s[0:1], 0xd0
	s_mov_b32 s5, s7
	s_wait_alu 0xfffe
	s_cmp_lg_u64 s[4:5], 0
	s_wait_kmcnt 0x0
	s_add_nc_u64 s[4:5], s[34:35], 0
	s_cbranch_scc0 .LBB14_427
; %bb.1:
	s_wait_alu 0xfffe
	s_xor_b64 s[8:9], s[4:5], 0
	s_mov_b32 s15, s35
	s_wait_alu 0xfffe
	s_cvt_f32_u32 s10, s8
	s_cvt_f32_u32 s11, s9
	s_sub_nc_u64 s[12:13], 0, s[8:9]
	s_mov_b32 s19, s35
	s_delay_alu instid0(SALU_CYCLE_1) | instskip(NEXT) | instid1(SALU_CYCLE_3)
	s_fmamk_f32 s10, s11, 0x4f800000, s10
	v_s_rcp_f32 s10, s10
	s_delay_alu instid0(TRANS32_DEP_1) | instskip(SKIP_1) | instid1(SALU_CYCLE_2)
	s_mul_f32 s10, s10, 0x5f7ffffc
	s_wait_alu 0xfffe
	s_mul_f32 s11, s10, 0x2f800000
	s_wait_alu 0xfffe
	s_delay_alu instid0(SALU_CYCLE_2) | instskip(SKIP_1) | instid1(SALU_CYCLE_2)
	s_trunc_f32 s11, s11
	s_wait_alu 0xfffe
	s_fmamk_f32 s10, s11, 0xcf800000, s10
	s_cvt_u32_f32 s11, s11
	s_wait_alu 0xfffe
	s_delay_alu instid0(SALU_CYCLE_1) | instskip(SKIP_1) | instid1(SALU_CYCLE_2)
	s_cvt_u32_f32 s10, s10
	s_wait_alu 0xfffe
	s_mul_u64 s[16:17], s[12:13], s[10:11]
	s_delay_alu instid0(SALU_CYCLE_1)
	s_mul_hi_u32 s21, s10, s17
	s_mul_i32 s20, s10, s17
	s_mul_hi_u32 s14, s10, s16
	s_mul_i32 s22, s11, s16
	s_add_nc_u64 s[14:15], s[14:15], s[20:21]
	s_mul_hi_u32 s18, s11, s16
	s_mul_hi_u32 s23, s11, s17
	s_add_co_u32 s14, s14, s22
	s_add_co_ci_u32 s18, s15, s18
	s_mul_i32 s16, s11, s17
	s_add_co_ci_u32 s17, s23, 0
	s_delay_alu instid0(SALU_CYCLE_1) | instskip(SKIP_3) | instid1(SALU_CYCLE_1)
	s_add_nc_u64 s[14:15], s[18:19], s[16:17]
	s_mov_b32 s17, s35
	s_add_co_u32 s10, s10, s14
	s_cselect_b32 s14, -1, 0
	s_cmp_lg_u32 s14, 0
	s_add_co_ci_u32 s11, s11, s15
	s_mov_b32 s15, s35
	s_wait_alu 0xfffe
	s_mul_u64 s[12:13], s[12:13], s[10:11]
	s_delay_alu instid0(SALU_CYCLE_1)
	s_mul_hi_u32 s19, s10, s13
	s_mul_i32 s18, s10, s13
	s_mul_hi_u32 s14, s10, s12
	s_mul_i32 s20, s11, s12
	s_add_nc_u64 s[14:15], s[14:15], s[18:19]
	s_mul_hi_u32 s16, s11, s12
	s_mul_hi_u32 s21, s11, s13
	s_mul_i32 s12, s11, s13
	s_add_co_u32 s13, s14, s20
	s_add_co_ci_u32 s16, s15, s16
	s_add_co_ci_u32 s13, s21, 0
	s_mov_b32 s15, s35
	s_add_nc_u64 s[12:13], s[16:17], s[12:13]
	s_delay_alu instid0(SALU_CYCLE_1)
	s_add_co_u32 s16, s10, s12
	s_cselect_b32 s10, -1, 0
	s_wait_alu 0xfffe
	s_cmp_lg_u32 s10, 0
	s_add_co_ci_u32 s20, s11, s13
	s_ashr_i32 s10, s7, 31
	s_wait_alu 0xfffe
	s_mov_b32 s11, s10
	s_wait_alu 0xfffe
	s_add_nc_u64 s[12:13], s[6:7], s[10:11]
	s_delay_alu instid0(SALU_CYCLE_1) | instskip(NEXT) | instid1(SALU_CYCLE_1)
	s_xor_b64 s[12:13], s[12:13], s[10:11]
	s_mul_hi_u32 s19, s12, s20
	s_mul_i32 s18, s12, s20
	s_mul_hi_u32 s14, s12, s16
	s_mul_hi_u32 s21, s13, s16
	s_mul_i32 s16, s13, s16
	s_add_nc_u64 s[14:15], s[14:15], s[18:19]
	s_mul_hi_u32 s7, s13, s20
	s_add_co_u32 s14, s14, s16
	s_add_co_ci_u32 s16, s15, s21
	s_mul_i32 s18, s13, s20
	s_add_co_ci_u32 s19, s7, 0
	s_delay_alu instid0(SALU_CYCLE_1) | instskip(NEXT) | instid1(SALU_CYCLE_1)
	s_add_nc_u64 s[14:15], s[16:17], s[18:19]
	s_mul_u64 s[16:17], s[8:9], s[14:15]
	s_delay_alu instid0(SALU_CYCLE_1)
	s_sub_co_u32 s7, s12, s16
	s_cselect_b32 s12, -1, 0
	s_sub_co_i32 s16, s13, s17
	s_cmp_lg_u32 s12, 0
	s_sub_co_ci_u32 s16, s16, s9
	s_sub_co_u32 s18, s7, s8
	s_cselect_b32 s19, -1, 0
	s_delay_alu instid0(SALU_CYCLE_1) | instskip(SKIP_1) | instid1(SALU_CYCLE_1)
	s_cmp_lg_u32 s19, 0
	s_sub_co_ci_u32 s16, s16, 0
	s_cmp_ge_u32 s16, s9
	s_cselect_b32 s20, -1, 0
	s_cmp_ge_u32 s18, s8
	s_add_nc_u64 s[18:19], s[14:15], 1
	s_cselect_b32 s21, -1, 0
	s_cmp_eq_u32 s16, s9
	s_cselect_b32 s16, s21, s20
	s_add_nc_u64 s[20:21], s[14:15], 2
	s_cmp_lg_u32 s16, 0
	s_cselect_b32 s16, s20, s18
	s_cselect_b32 s18, s21, s19
	s_cmp_lg_u32 s12, 0
	s_sub_co_ci_u32 s12, s13, s17
	s_delay_alu instid0(SALU_CYCLE_1)
	s_cmp_ge_u32 s12, s9
	s_cselect_b32 s13, -1, 0
	s_cmp_ge_u32 s7, s8
	s_cselect_b32 s7, -1, 0
	s_cmp_eq_u32 s12, s9
	s_cselect_b32 s7, s7, s13
	s_delay_alu instid0(SALU_CYCLE_1)
	s_cmp_lg_u32 s7, 0
	s_cselect_b32 s9, s18, s15
	s_cselect_b32 s8, s16, s14
	s_xor_b64 s[10:11], s[10:11], 0
	s_wait_alu 0xfffe
	s_xor_b64 s[8:9], s[8:9], s[10:11]
	s_wait_alu 0xfffe
	s_sub_nc_u64 s[48:49], s[8:9], s[10:11]
	s_load_b64 s[46:47], s[0:1], 0x74
	v_cvt_f32_u32_e32 v1, s34
	s_and_not1_b32 vcc_lo, exec_lo, s35
	s_cbranch_vccnz .LBB14_3
.LBB14_2:
	s_delay_alu instid0(VALU_DEP_1) | instskip(SKIP_1) | instid1(TRANS32_DEP_1)
	v_rcp_iflag_f32_e32 v2, v1
	s_sub_co_i32 s8, 0, s34
	v_mul_f32_e32 v2, 0x4f7ffffe, v2
	s_delay_alu instid0(VALU_DEP_1) | instskip(NEXT) | instid1(VALU_DEP_1)
	v_cvt_u32_f32_e32 v2, v2
	v_readfirstlane_b32 s7, v2
	s_wait_alu 0xfffe
	s_mul_i32 s8, s8, s7
	s_wait_alu 0xfffe
	s_mul_hi_u32 s8, s7, s8
	s_wait_alu 0xfffe
	s_add_co_i32 s7, s7, s8
	s_delay_alu instid0(SALU_CYCLE_1) | instskip(NEXT) | instid1(SALU_CYCLE_1)
	s_mul_hi_u32 s7, s6, s7
	s_mul_i32 s8, s7, s34
	s_wait_alu 0xfffe
	s_sub_co_i32 s6, s6, s8
	s_add_co_i32 s8, s7, 1
	s_sub_co_i32 s9, s6, s34
	s_cmp_ge_u32 s6, s34
	s_wait_alu 0xfffe
	s_cselect_b32 s7, s8, s7
	s_cselect_b32 s6, s9, s6
	s_add_co_i32 s8, s7, 1
	s_cmp_ge_u32 s6, s34
	s_wait_alu 0xfffe
	s_cselect_b32 s48, s8, s7
.LBB14_3:
	s_add_co_i32 s8, ttmp9, 1
	s_mov_b32 s9, 0
	s_wait_alu 0xfffe
	s_mul_u64 s[2:3], s[2:3], s[8:9]
	s_mov_b32 s6, s9
	s_mov_b32 s7, s3
	s_delay_alu instid0(SALU_CYCLE_1)
	s_cmp_lg_u64 s[6:7], 0
	s_cbranch_scc0 .LBB14_428
; %bb.4:
	s_xor_b64 s[4:5], s[4:5], 0
	s_wait_alu 0xfffe
	s_cvt_f32_u32 s6, s4
	s_cvt_f32_u32 s7, s5
	s_sub_nc_u64 s[10:11], 0, s[4:5]
	s_delay_alu instid0(SALU_CYCLE_2) | instskip(NEXT) | instid1(SALU_CYCLE_3)
	s_fmamk_f32 s6, s7, 0x4f800000, s6
	v_s_rcp_f32 s6, s6
	s_delay_alu instid0(TRANS32_DEP_1) | instskip(SKIP_1) | instid1(SALU_CYCLE_2)
	s_mul_f32 s6, s6, 0x5f7ffffc
	s_wait_alu 0xfffe
	s_mul_f32 s7, s6, 0x2f800000
	s_wait_alu 0xfffe
	s_delay_alu instid0(SALU_CYCLE_2) | instskip(SKIP_1) | instid1(SALU_CYCLE_2)
	s_trunc_f32 s7, s7
	s_wait_alu 0xfffe
	s_fmamk_f32 s6, s7, 0xcf800000, s6
	s_cvt_u32_f32 s7, s7
	s_wait_alu 0xfffe
	s_delay_alu instid0(SALU_CYCLE_1) | instskip(SKIP_1) | instid1(SALU_CYCLE_2)
	s_cvt_u32_f32 s6, s6
	s_wait_alu 0xfffe
	s_mul_u64 s[12:13], s[10:11], s[6:7]
	s_delay_alu instid0(SALU_CYCLE_1)
	s_mul_hi_u32 s15, s6, s13
	s_mul_i32 s14, s6, s13
	s_mul_hi_u32 s8, s6, s12
	s_mul_i32 s17, s7, s12
	s_wait_alu 0xfffe
	s_add_nc_u64 s[14:15], s[8:9], s[14:15]
	s_mul_hi_u32 s16, s7, s12
	s_mul_hi_u32 s18, s7, s13
	s_add_co_u32 s8, s14, s17
	s_add_co_ci_u32 s8, s15, s16
	s_mul_i32 s12, s7, s13
	s_add_co_ci_u32 s13, s18, 0
	s_wait_alu 0xfffe
	s_add_nc_u64 s[12:13], s[8:9], s[12:13]
	s_delay_alu instid0(SALU_CYCLE_1)
	s_add_co_u32 s6, s6, s12
	s_cselect_b32 s8, -1, 0
	s_wait_alu 0xfffe
	s_cmp_lg_u32 s8, 0
	s_add_co_ci_u32 s7, s7, s13
	s_wait_alu 0xfffe
	s_mul_u64 s[10:11], s[10:11], s[6:7]
	s_wait_alu 0xfffe
	s_mul_hi_u32 s13, s6, s11
	s_mul_i32 s12, s6, s11
	s_mul_hi_u32 s8, s6, s10
	s_mul_i32 s15, s7, s10
	s_wait_alu 0xfffe
	s_add_nc_u64 s[12:13], s[8:9], s[12:13]
	s_mul_hi_u32 s14, s7, s10
	s_mul_hi_u32 s16, s7, s11
	s_add_co_u32 s8, s12, s15
	s_add_co_ci_u32 s8, s13, s14
	s_mul_i32 s10, s7, s11
	s_add_co_ci_u32 s11, s16, 0
	s_wait_alu 0xfffe
	s_add_nc_u64 s[10:11], s[8:9], s[10:11]
	s_wait_alu 0xfffe
	s_add_co_u32 s14, s6, s10
	s_cselect_b32 s6, -1, 0
	s_wait_alu 0xfffe
	s_cmp_lg_u32 s6, 0
	s_add_co_ci_u32 s15, s7, s11
	s_ashr_i32 s6, s3, 31
	s_wait_alu 0xfffe
	s_mov_b32 s7, s6
	s_wait_alu 0xfffe
	s_add_nc_u64 s[10:11], s[2:3], s[6:7]
	s_wait_alu 0xfffe
	s_xor_b64 s[10:11], s[10:11], s[6:7]
	s_wait_alu 0xfffe
	s_mul_hi_u32 s13, s10, s15
	s_mul_i32 s12, s10, s15
	s_mul_hi_u32 s8, s10, s14
	s_mul_i32 s17, s11, s14
	s_wait_alu 0xfffe
	s_add_nc_u64 s[12:13], s[8:9], s[12:13]
	s_mul_hi_u32 s16, s11, s14
	s_mul_hi_u32 s3, s11, s15
	s_add_co_u32 s8, s12, s17
	s_add_co_ci_u32 s8, s13, s16
	s_mul_i32 s14, s11, s15
	s_add_co_ci_u32 s15, s3, 0
	s_wait_alu 0xfffe
	s_add_nc_u64 s[12:13], s[8:9], s[14:15]
	s_delay_alu instid0(SALU_CYCLE_1) | instskip(NEXT) | instid1(SALU_CYCLE_1)
	s_mul_u64 s[14:15], s[4:5], s[12:13]
	s_sub_co_u32 s3, s10, s14
	s_cselect_b32 s8, -1, 0
	s_sub_co_i32 s10, s11, s15
	s_wait_alu 0xfffe
	s_cmp_lg_u32 s8, 0
	s_sub_co_ci_u32 s10, s10, s5
	s_sub_co_u32 s14, s3, s4
	s_cselect_b32 s16, -1, 0
	s_delay_alu instid0(SALU_CYCLE_1)
	s_cmp_lg_u32 s16, 0
	s_add_nc_u64 s[16:17], s[12:13], 1
	s_wait_alu 0xfffe
	s_sub_co_ci_u32 s10, s10, 0
	s_wait_alu 0xfffe
	s_cmp_ge_u32 s10, s5
	s_cselect_b32 s18, -1, 0
	s_cmp_ge_u32 s14, s4
	s_cselect_b32 s14, -1, 0
	s_cmp_eq_u32 s10, s5
	s_cselect_b32 s10, s14, s18
	s_add_nc_u64 s[18:19], s[12:13], 2
	s_wait_alu 0xfffe
	s_cmp_lg_u32 s10, 0
	s_cselect_b32 s10, s18, s16
	s_cselect_b32 s14, s19, s17
	s_cmp_lg_u32 s8, 0
	s_sub_co_ci_u32 s8, s11, s15
	s_wait_alu 0xfffe
	s_cmp_ge_u32 s8, s5
	s_cselect_b32 s11, -1, 0
	s_cmp_ge_u32 s3, s4
	s_cselect_b32 s3, -1, 0
	s_cmp_eq_u32 s8, s5
	s_wait_alu 0xfffe
	s_cselect_b32 s3, s3, s11
	s_delay_alu instid0(SALU_CYCLE_1)
	s_cmp_lg_u32 s3, 0
	s_cselect_b32 s5, s14, s13
	s_cselect_b32 s4, s10, s12
	s_xor_b64 s[6:7], s[6:7], 0
	s_wait_alu 0xfffe
	s_xor_b64 s[4:5], s[4:5], s[6:7]
	s_wait_alu 0xfffe
	s_sub_nc_u64 s[54:55], s[4:5], s[6:7]
	s_load_b64 s[6:7], s[0:1], 0x5c
	s_and_not1_b32 vcc_lo, exec_lo, s9
	s_cbranch_vccnz .LBB14_6
.LBB14_5:
	v_rcp_iflag_f32_e32 v1, v1
	s_sub_co_i32 s4, 0, s34
	s_delay_alu instid0(TRANS32_DEP_1) | instskip(NEXT) | instid1(VALU_DEP_1)
	v_mul_f32_e32 v1, 0x4f7ffffe, v1
	v_cvt_u32_f32_e32 v1, v1
	s_delay_alu instid0(VALU_DEP_1)
	v_readfirstlane_b32 s3, v1
	s_wait_alu 0xfffe
	s_mul_i32 s4, s4, s3
	s_wait_alu 0xfffe
	s_mul_hi_u32 s4, s3, s4
	s_wait_alu 0xfffe
	s_add_co_i32 s3, s3, s4
	s_delay_alu instid0(SALU_CYCLE_1) | instskip(NEXT) | instid1(SALU_CYCLE_1)
	s_mul_hi_u32 s3, s2, s3
	s_mul_i32 s4, s3, s34
	s_wait_alu 0xfffe
	s_sub_co_i32 s2, s2, s4
	s_add_co_i32 s4, s3, 1
	s_sub_co_i32 s5, s2, s34
	s_cmp_ge_u32 s2, s34
	s_wait_alu 0xfffe
	s_cselect_b32 s3, s4, s3
	s_cselect_b32 s2, s5, s2
	s_add_co_i32 s4, s3, 1
	s_cmp_ge_u32 s2, s34
	s_wait_alu 0xfffe
	s_cselect_b32 s54, s4, s3
.LBB14_6:
	s_abs_i32 s55, s100
	s_load_b64 s[42:43], s[0:1], 0xc8
	s_cvt_f32_u32 s2, s55
	s_ashr_i32 s35, s27, 3
	s_wait_kmcnt 0x0
	s_ashr_i32 s67, s46, 3
	s_ashr_i32 s101, s100, 31
	v_rcp_iflag_f32_e32 v1, s2
	s_clause 0x5
	s_load_b512 s[8:23], s[0:1], 0x0
	s_load_b32 s2, s[0:1], 0x40
	s_load_b64 s[44:45], s[0:1], 0x8c
	s_load_b64 s[50:51], s[0:1], 0xb8
	s_load_b128 s[28:31], s[0:1], 0x98
	s_load_b64 s[4:5], s[0:1], 0xa8
	s_ashr_i32 s1, s48, 31
	v_bfe_u32 v91, v0, 10, 10
	v_bfe_u32 v93, v0, 10, 1
	v_and_b32_e32 v52, 0x3ff, v0
	v_lshrrev_b32_e32 v101, 10, v0
	s_mov_b32 s57, 0
	v_lshlrev_b32_e32 v92, 3, v91
	v_readfirstlane_b32 s3, v1
	v_add_nc_u32_e32 v100, 2, v91
	v_add_nc_u32_e32 v99, 4, v91
	;; [unrolled: 1-line block ×4, first 2 shown]
	s_mul_f32 s0, s3, 0x4f7ffffe
	s_sub_co_i32 s3, 0, s55
	v_add_nc_u32_e32 v96, 10, v91
	v_add_nc_u32_e32 v95, 12, v91
	s_cvt_u32_f32 s0, s0
	s_wait_kmcnt 0x0
	s_ashr_i32 s38, s51, 1
	s_ashr_i32 s26, s44, 2
	v_writelane_b32 v255, s4, 1
	s_wait_alu 0xfffe
	s_mul_i32 s3, s3, s0
	s_ashr_i32 s36, s30, 2
	s_wait_alu 0xfffe
	s_mul_hi_u32 s3, s0, s3
	v_add_nc_u32_e32 v94, 14, v91
	v_writelane_b32 v255, s5, 2
	s_abs_i32 s4, s48
	s_wait_alu 0xfffe
	s_add_co_i32 s52, s0, s3
	s_cvt_f16_f32 s27, s2
	s_mul_hi_u32 s0, s4, s52
	s_mov_b32 s53, s57
	s_mul_i32 s0, s0, s55
	s_delay_alu instid0(SALU_CYCLE_1) | instskip(NEXT) | instid1(SALU_CYCLE_1)
	s_sub_co_i32 s0, s4, s0
	s_sub_co_i32 s3, s0, s55
	s_cmp_ge_u32 s0, s55
	s_wait_alu 0xfffe
	s_cselect_b32 s0, s3, s0
	s_delay_alu instid0(SALU_CYCLE_1)
	s_sub_co_i32 s3, s0, s55
	s_cmp_ge_u32 s0, s55
	s_wait_alu 0xfffe
	s_cselect_b32 s0, s3, s0
	s_sub_co_i32 s3, s54, s48
	s_xor_b32 s0, s0, s1
	s_delay_alu instid0(SALU_CYCLE_1) | instskip(SKIP_3) | instid1(SALU_CYCLE_1)
	s_sub_co_i32 s96, s0, s1
	v_cmp_eq_u32_e64 s0, 0, v93
	s_wait_alu 0xfffe
	s_add_co_i32 s1, s3, s96
	s_min_i32 s40, s100, s1
	s_cmp_gt_i32 s54, s48
	s_cselect_b32 s3, -1, 0
	s_cmp_le_i32 s54, s48
	s_cselect_b32 s4, -1, 0
	s_cmp_gt_i32 s100, s1
	s_cselect_b32 s1, -1, 0
	s_wait_alu 0xfffe
	s_or_b32 s1, s1, s4
	s_delay_alu instid0(SALU_CYCLE_1)
	s_and_b32 vcc_lo, exec_lo, s1
	s_cbranch_vccz .LBB14_9
; %bb.7:
	s_and_not1_b32 vcc_lo, exec_lo, s3
	s_cbranch_vccz .LBB14_375
.LBB14_8:
	s_endpgm
.LBB14_9:
	v_lshlrev_b32_e32 v30, 4, v91
	v_lshrrev_b32_e32 v8, 1, v0
	v_dual_mov_b32 v175, 0 :: v_dual_lshlrev_b32 v2, 2, v52
	v_and_b32_e32 v4, 0x1f0, v92
	v_and_b32_e32 v102, 15, v0
	v_bfe_u32 v5, v0, 2, 8
	v_and_b32_e32 v15, 16, v30
	v_and_b32_e32 v16, 24, v8
	v_mad_u32_u24 v1, 0xd0, v4, 0
	v_mul_u32_u24_e32 v6, 0xd0, v102
	v_and_b32_e32 v11, 48, v0
	v_add_nc_u32_e32 v13, v5, v92
	v_and_b32_e32 v8, 12, v2
	v_add_nc_u16 v18, v15, v16
	v_mad_u32_u24 v15, 0xd0, v15, 0
	v_bfe_u32 v109, v101, 1, 9
	v_and_or_b32 v4, v0, 14, v4
	v_add3_u32 v104, v1, v6, v11
	v_mul_u32_u24_e32 v12, 0xd0, v13
	v_lshlrev_b32_e32 v21, 2, v8
	v_add3_u32 v107, v15, v6, v11
	v_add_nc_u32_e32 v11, 1, v109
	v_add_nc_u32_e32 v103, 0, v2
	v_and_b32_e32 v9, 28, v2
	v_lshrrev_b32_e32 v2, 1, v4
	v_lshrrev_b16 v4, 1, v18
	v_add3_u32 v31, 0, v12, v21
	v_lshlrev_b32_e32 v6, 1, v11
	v_and_b32_e32 v12, 15, v11
	v_add_nc_u32_e32 v34, 3, v109
	v_lshlrev_b32_e32 v19, 1, v5
	v_and_b32_e32 v4, 0xffff, v4
	v_add_nc_u32_e32 v40, 6, v109
	v_and_or_b32 v35, 0x60, v6, v12
	v_lshlrev_b32_e32 v6, 1, v34
	v_and_b32_e32 v12, 15, v34
	v_and_b32_e32 v18, 24, v19
	v_or_b32_e32 v20, 6, v19
	v_mul_u32_u24_e32 v2, 0x50, v2
	v_or_b32_e32 v19, 7, v19
	v_lshlrev_b32_e32 v4, 2, v4
	v_and_or_b32 v39, 0x60, v6, v12
	v_lshlrev_b32_e32 v6, 1, v40
	v_and_b32_e32 v12, 15, v40
	v_add_nc_u32_e32 v46, 9, v109
	v_lshlrev_b32_e32 v7, 2, v102
	v_mul_u32_u24_e32 v18, 0xd0, v18
	v_mul_u32_u24_e32 v20, 0xd0, v20
	;; [unrolled: 1-line block ×3, first 2 shown]
	v_add3_u32 v108, 0, v2, v4
	v_and_b32_e32 v2, 0x400, v0
	v_or_b32_e32 v4, v30, v102
	v_add_nc_u32_e32 v36, 4, v109
	v_bfe_u32 v10, v0, 4, 6
	v_and_or_b32 v45, 0x60, v6, v12
	v_lshlrev_b32_e32 v6, 1, v46
	v_and_b32_e32 v12, 15, v46
	v_add_nc_u32_e32 v54, 12, v109
	v_add3_u32 v110, v15, v18, v7
	v_add3_u32 v111, v15, v20, v7
	;; [unrolled: 1-line block ×3, first 2 shown]
	v_cmp_ne_u32_e64 s1, 0, v2
	v_mul_u32_u24_e32 v2, 0xd0, v4
	v_lshlrev_b32_e32 v4, 2, v16
	v_lshlrev_b32_e32 v15, 1, v36
	v_and_b32_e32 v16, 15, v36
	v_add_nc_u32_e32 v42, 7, v109
	v_add_nc_u32_e32 v32, v10, v91
	v_and_or_b32 v53, 0x60, v6, v12
	v_lshlrev_b32_e32 v6, 1, v54
	v_and_b32_e32 v12, 15, v54
	v_add_nc_u32_e32 v83, 15, v109
	v_lshlrev_b32_e32 v48, 1, v91
	v_and_or_b32 v41, 0x60, v15, v16
	v_lshlrev_b32_e32 v15, 1, v42
	v_and_b32_e32 v16, 15, v42
	v_add_nc_u32_e32 v50, 10, v109
	v_add_nc_u32_e32 v33, 2, v109
	v_and_or_b32 v58, 0x60, v6, v12
	v_lshlrev_b32_e32 v6, 1, v83
	v_and_b32_e32 v12, 15, v83
	v_add_nc_u32_e32 v66, 6, v32
	v_add_nc_u32_e32 v114, 0x80, v31
	v_add_nc_u32_e32 v115, 0xd80, v31
	v_add_nc_u16 v31, v48, v10
	v_add_nc_u32_e32 v116, v48, v10
	v_or_b32_e32 v79, v30, v52
	v_add_nc_u32_e32 v30, v30, v52
	v_add_nc_u16 v10, v10, v91
	v_and_or_b32 v47, 0x60, v15, v16
	v_lshlrev_b32_e32 v15, 1, v50
	v_and_b32_e32 v16, 15, v50
	v_add_nc_u32_e32 v82, 13, v109
	v_add3_u32 v113, 0, v2, v4
	v_lshlrev_b32_e32 v2, 1, v33
	v_and_b32_e32 v4, 15, v33
	v_add_nc_u32_e32 v38, 5, v109
	v_and_or_b32 v63, 0x60, v6, v12
	v_lshlrev_b32_e32 v6, 1, v66
	v_and_b32_e32 v12, 15, v66
	v_mul_u32_u24_e32 v121, 0xd0, v30
	v_mul_u32_u24_e32 v30, 0xd0, v39
	v_lshrrev_b16 v10, 1, v10
	v_bfe_u32 v1, v0, 3, 7
	v_and_or_b32 v55, 0x60, v15, v16
	v_lshlrev_b32_e32 v15, 1, v82
	v_and_b32_e32 v16, 15, v82
	v_and_or_b32 v37, 0x60, v2, v4
	v_lshlrev_b32_e32 v2, 1, v38
	v_and_b32_e32 v4, 15, v38
	v_and_or_b32 v71, 0x1e0, v6, v12
	v_and_b32_e32 v145, 0xffff, v10
	v_lshrrev_b32_e32 v10, 1, v66
	scratch_store_b32 off, v30, off offset:4 ; 4-byte Folded Spill
	v_lshrrev_b32_e32 v30, 1, v36
	v_lshl_add_u32 v14, v91, 2, v1
	v_add_nc_u32_e32 v44, 8, v109
	v_and_or_b32 v59, 0x60, v15, v16
	v_lshlrev_b32_e32 v15, 1, v32
	v_and_b32_e32 v16, 15, v32
	v_add_nc_u32_e32 v67, 8, v32
	v_and_or_b32 v43, 0x60, v2, v4
	scratch_store_b32 off, v10, off         ; 4-byte Folded Spill
	v_mul_u32_u24_e32 v10, 0xd0, v71
	scratch_store_b32 off, v30, off offset:8 ; 4-byte Folded Spill
	v_mul_u32_u24_e32 v30, 0xd0, v41
	v_writelane_b32 v255, s34, 3
	s_cmp_eq_u64 s[16:17], 0
	v_mul_u32_u24_e32 v17, 0xd0, v14
	v_lshlrev_b32_e32 v22, 2, v9
	v_lshlrev_b32_e32 v2, 1, v44
	v_and_b32_e32 v4, 15, v44
	v_add_nc_u32_e32 v81, 11, v109
	v_add_nc_u32_e32 v60, 2, v32
	v_and_or_b32 v64, 0xe0, v15, v16
	v_lshlrev_b32_e32 v15, 1, v67
	v_and_b32_e32 v16, 15, v67
	s_clause 0x1
	scratch_store_b32 off, v30, off offset:28
	scratch_store_b32 off, v10, off offset:12
	v_mul_u32_u24_e32 v30, 0xd0, v43
	v_writelane_b32 v255, s35, 4
	s_cselect_b32 s44, -1, 0
	s_cmp_lg_u64 s[18:19], 0
	v_add3_u32 v106, 0, v17, v22
	s_cselect_b32 s51, -1, 0
	s_abs_i32 s104, s98
	v_and_or_b32 v51, 0x60, v2, v4
	v_lshlrev_b32_e32 v2, 1, v81
	v_and_b32_e32 v4, 15, v81
	v_add_nc_u32_e32 v56, 14, v109
	v_lshlrev_b32_e32 v17, 1, v60
	v_and_b32_e32 v18, 15, v60
	v_add_nc_u32_e32 v68, 10, v32
	v_and_or_b32 v72, 0x1e0, v15, v16
	v_lshrrev_b32_e32 v10, 1, v67
	s_cvt_f32_u32 s4, s104
	scratch_store_b32 off, v30, off offset:44 ; 4-byte Folded Spill
	v_lshrrev_b32_e32 v30, 1, v40
	v_writelane_b32 v255, s27, 5
	v_and_or_b32 v57, 0x60, v2, v4
	v_lshlrev_b32_e32 v2, 1, v56
	v_and_b32_e32 v4, 15, v56
	v_add_nc_u32_e32 v62, 4, v32
	v_and_or_b32 v65, 0x1e0, v17, v18
	v_lshlrev_b32_e32 v17, 1, v68
	v_and_b32_e32 v18, 15, v68
	s_wait_alu 0xfffe
	v_rcp_iflag_f32_e32 v15, s4
	s_mov_b32 s4, s50
	scratch_store_b32 off, v10, off offset:16 ; 4-byte Folded Spill
	v_mul_u32_u24_e32 v10, 0xd0, v72
	scratch_store_b32 off, v30, off offset:48 ; 4-byte Folded Spill
	v_mul_u32_u24_e32 v30, 0xd0, v45
	s_wait_alu 0xfffe
	v_writelane_b32 v255, s4, 6
	v_and_or_b32 v61, 0x60, v2, v4
	v_lshlrev_b32_e32 v2, 1, v62
	v_and_b32_e32 v4, 15, v62
	v_add_nc_u32_e32 v69, 12, v32
	v_and_or_b32 v73, 0x1e0, v17, v18
	s_abs_i32 s30, s50
	scratch_store_b32 off, v10, off offset:32 ; 4-byte Folded Spill
	v_lshrrev_b32_e32 v10, 1, v68
	scratch_store_b32 off, v30, off offset:68 ; 4-byte Folded Spill
	v_mul_u32_u24_e32 v30, 0xd0, v47
	v_writelane_b32 v255, s5, 7
	s_cvt_f32_u32 s4, s30
	v_and_or_b32 v70, 0x1e0, v2, v4
	v_lshlrev_b32_e32 v2, 1, v69
	v_and_b32_e32 v4, 15, v69
	scratch_store_b32 off, v10, off offset:36 ; 4-byte Folded Spill
	v_mul_u32_u24_e32 v10, 0xd0, v73
	s_wait_alu 0xfffe
	v_rcp_iflag_f32_e32 v18, s4
	scratch_store_b32 off, v30, off offset:84 ; 4-byte Folded Spill
	v_lshrrev_b32_e32 v30, 1, v44
	v_add_nc_u32_e32 v74, 14, v32
	v_and_or_b32 v75, 0x1e0, v2, v4
	scratch_store_b32 off, v10, off offset:52 ; 4-byte Folded Spill
	v_lshrrev_b32_e32 v10, 1, v69
	scratch_store_b32 off, v30, off offset:88 ; 4-byte Folded Spill
	v_mul_u32_u24_e32 v30, 0xd0, v51
	v_lshlrev_b32_e32 v12, 1, v74
	v_and_b32_e32 v16, 15, v74
	scratch_store_b32 off, v10, off offset:56 ; 4-byte Folded Spill
	v_mul_u32_u24_e32 v10, 0xd0, v75
	v_readfirstlane_b32 s62, v18
	v_mul_lo_u32 v18, s36, v13
	scratch_store_b32 off, v30, off offset:104 ; 4-byte Folded Spill
	v_mul_u32_u24_e32 v30, 0xd0, v53
	v_and_or_b32 v76, 0x1e0, v12, v16
	scratch_store_b32 off, v10, off offset:72 ; 4-byte Folded Spill
	v_lshrrev_b32_e32 v10, 1, v74
	s_abs_i32 s103, s99
	scratch_store_b32 off, v30, off offset:112 ; 4-byte Folded Spill
	v_lshrrev_b32_e32 v30, 1, v50
	v_lshlrev_b32_e32 v3, 1, v52
	s_cvt_f32_u32 s3, s103
	v_ashrrev_i32_e32 v19, 31, v18
	s_abs_i32 vcc_hi, s97
	scratch_store_b32 off, v10, off offset:76 ; 4-byte Folded Spill
	v_mul_u32_u24_e32 v10, 0xd0, v76
	v_lshl_add_u32 v26, s36, 4, v18
	scratch_store_b32 off, v30, off offset:116 ; 4-byte Folded Spill
	v_mul_u32_u24_e32 v30, 0xd0, v55
	s_wait_alu 0xfffe
	v_rcp_iflag_f32_e32 v6, s3
	s_cvt_f32_u32 s3, vcc_hi
	v_and_b32_e32 v105, 30, v3
	v_mul_lo_u32 v3, s26, v13
	v_lshlrev_b64_e32 v[50:51], 2, v[18:19]
	scratch_store_b32 off, v10, off offset:92 ; 4-byte Folded Spill
	v_and_b32_e32 v10, 3, v0
	s_wait_alu 0xfffe
	v_rcp_iflag_f32_e32 v17, s3
	v_ashrrev_i32_e32 v27, 31, v26
	scratch_store_b32 off, v30, off offset:128 ; 4-byte Folded Spill
	v_mul_u32_u24_e32 v30, 0xd0, v57
	v_lshlrev_b32_e32 v162, 4, v10
	v_add_co_u32 v10, vcc_lo, s12, v50
	v_lshl_add_u32 v16, s26, 4, v3
	scratch_store_b32 off, v30, off offset:136 ; 4-byte Folded Spill
	v_lshrrev_b32_e32 v30, 1, v54
	v_lshlrev_b64_e32 v[53:54], 2, v[26:27]
	v_add_co_ci_u32_e64 v18, null, s13, v51, vcc_lo
	v_ashrrev_i32_e32 v4, 31, v3
	v_add_co_u32 v163, vcc_lo, 0x80, v10
	v_readfirstlane_b32 s41, v17
	v_ashrrev_i32_e32 v17, 31, v16
	s_wait_alu 0xfffd
	v_add_co_ci_u32_e64 v164, null, 0, v18, vcc_lo
	v_add_co_u32 v10, vcc_lo, s12, v53
	scratch_store_b32 off, v30, off offset:140 ; 4-byte Folded Spill
	v_mul_u32_u24_e32 v30, 0xd0, v58
	v_lshlrev_b64_e32 v[57:58], 2, v[3:4]
	v_and_b32_e32 v165, 1, v0
	s_wait_alu 0xfffd
	v_add_co_ci_u32_e64 v18, null, s13, v54, vcc_lo
	v_and_b32_e32 v0, 7, v0
	v_mul_u32_u24_e32 v148, 0xd0, v65
	v_lshlrev_b64_e32 v[65:66], 2, v[16:17]
	v_add_co_u32 v166, vcc_lo, 0x80, v10
	s_wait_alu 0xfffd
	v_add_co_ci_u32_e64 v167, null, 0, v18, vcc_lo
	v_lshlrev_b32_e32 v168, 4, v0
	v_add_co_u32 v0, vcc_lo, s10, v57
	v_bfe_u32 v182, v52, 4, 1
	s_wait_alu 0xfffd
	v_add_co_ci_u32_e64 v3, null, s11, v58, vcc_lo
	v_add_co_u32 v4, vcc_lo, s10, v65
	s_wait_alu 0xfffd
	v_add_co_ci_u32_e64 v10, null, s11, v66, vcc_lo
	v_add_co_u32 v169, vcc_lo, 0x80, v0
	v_mul_lo_u32 v0, v182, s67
	v_mul_lo_u32 v1, s26, v14
	;; [unrolled: 1-line block ×3, first 2 shown]
	s_lshl_b32 s4, s36, 3
	v_or_b32_e32 v49, v92, v52
	v_readfirstlane_b32 s3, v6
	s_lshl_b32 s56, ttmp9, 4
	v_readfirstlane_b32 s34, v15
	v_add3_u32 v76, v0, v102, 32
	v_lshrrev_b32_e32 v0, 1, v38
	s_wait_alu 0xfffe
	v_add_nc_u32_e32 v22, s4, v14
	v_lshlrev_b32_e32 v48, 3, v49
	s_mul_f32 s3, s3, 0x4f7ffffe
	s_lshl_b32 s2, s26, 3
	scratch_store_b32 off, v0, off offset:40 ; 4-byte Folded Spill
	v_and_b32_e32 v0, 1, v38
	scratch_store_b32 off, v30, off offset:152 ; 4-byte Folded Spill
	v_add_nc_u32_e32 v24, s4, v22
	v_mul_u32_u24_e32 v30, 0xd0, v59
	s_wait_alu 0xfffe
	s_cvt_u32_f32 s3, s3
	scratch_store_b64 off, v[0:1], off offset:20 ; 8-byte Folded Spill
	v_lshrrev_b32_e32 v0, 1, v42
	v_add_nc_u32_e32 v28, s4, v24
	s_lshl_b64 s[4:5], s[56:57], 3
	v_add_nc_u32_e32 v5, s2, v1
	s_wait_alu 0xfffe
	s_add_nc_u64 s[4:5], s[22:23], s[4:5]
	scratch_store_b32 off, v0, off offset:80 ; 4-byte Folded Spill
	v_and_b32_e32 v0, 1, v42
	scratch_store_b32 off, v30, off offset:160 ; 4-byte Folded Spill
	s_wait_alu 0xfffe
	v_add_co_u32 v48, s4, s4, v48
	s_wait_alu 0xf1ff
	v_add_co_ci_u32_e64 v49, null, s5, 0, s4
	scratch_store_b64 off, v[0:1], off offset:60 ; 8-byte Folded Spill
	v_lshrrev_b32_e32 v0, 1, v46
	s_sub_co_i32 s4, 0, s103
	s_mul_f32 s5, s34, 0x4f7ffffe
	v_lshrrev_b32_e32 v30, 1, v56
	s_wait_alu 0xfffe
	s_mul_i32 s4, s4, s3
	scratch_store_b32 off, v0, off offset:108 ; 4-byte Folded Spill
	v_and_b32_e32 v0, 1, v46
	v_ashrrev_i32_e32 v15, 31, v14
	s_wait_alu 0xfffe
	s_mul_hi_u32 s4, s3, s4
	s_cvt_u32_f32 s5, s5
	v_ashrrev_i32_e32 v23, 31, v22
	s_clause 0x1
	scratch_store_b32 off, v30, off offset:164
	scratch_store_b64 off, v[0:1], off offset:96
	s_wait_alu 0xfffe
	s_add_co_i32 s58, s3, s4
	s_sub_co_i32 s3, 0, s104
	v_lshrrev_b32_e32 v0, 1, v81
	v_add_nc_u32_e32 v12, s2, v5
	v_ashrrev_i32_e32 v25, 31, v24
	s_wait_alu 0xfffe
	s_mul_i32 s3, s3, s5
	v_lshlrev_b64_e32 v[55:56], 2, v[14:15]
	v_ashrrev_i32_e32 v29, 31, v28
	v_mul_u32_u24_e32 v30, 0xd0, v61
	s_wait_alu 0xfffe
	s_mul_hi_u32 s3, s5, s3
	s_mul_f32 s4, s41, 0x4f7ffffe
	v_lshrrev_b32_e32 v147, 1, v60
	v_lshlrev_b64_e32 v[59:60], 2, v[22:23]
	scratch_store_b32 off, v0, off offset:132 ; 4-byte Folded Spill
	v_and_b32_e32 v0, 1, v81
	v_ashrrev_i32_e32 v2, 31, v1
	s_wait_alu 0xfffe
	s_add_co_i32 s60, s5, s3
	s_mul_f32 s3, s62, 0x4f7ffffe
	v_add_nc_u32_e32 v20, s2, v12
	v_lshrrev_b32_e32 v149, 1, v62
	v_lshlrev_b64_e32 v[61:62], 2, v[24:25]
	s_wait_alu 0xfffd
	v_add_co_ci_u32_e64 v170, null, 0, v3, vcc_lo
	v_add_co_u32 v171, vcc_lo, 0x80, v4
	v_ashrrev_i32_e32 v6, 31, v5
	s_cvt_u32_f32 s4, s4
	s_clause 0x1
	scratch_store_b32 off, v30, off offset:176
	scratch_store_b64 off, v[0:1], off offset:120
	v_mul_u32_u24_e32 v30, 0xd0, v63
	v_mul_u32_u24_e32 v146, 0xd0, v64
	v_lshlrev_b64_e32 v[63:64], 2, v[28:29]
	s_wait_alu 0xfffd
	v_add_co_ci_u32_e64 v172, null, 0, v10, vcc_lo
	v_add_co_u32 v208, vcc_lo, s12, v55
	v_ashrrev_i32_e32 v13, 31, v12
	v_lshrrev_b16 v31, 1, v31
	s_sub_co_i32 s5, 0, vcc_hi
	s_wait_alu 0xfffe
	s_cvt_u32_f32 s3, s3
	v_lshrrev_b32_e32 v0, 1, v82
	v_lshlrev_b64_e32 v[67:68], 2, v[1:2]
	v_add_co_ci_u32_e64 v209, null, s13, v56, vcc_lo
	v_add_co_u32 v210, vcc_lo, s12, v59
	v_ashrrev_i32_e32 v21, 31, v20
	s_mul_i32 s5, s5, s4
	s_sub_co_i32 s34, 0, s30
	v_mul_u32_u24_e32 v150, 0xd0, v70
	v_lshlrev_b64_e32 v[69:70], 2, v[5:6]
	s_wait_alu 0xfffd
	v_add_co_ci_u32_e64 v211, null, s13, v60, vcc_lo
	v_add_co_u32 v212, vcc_lo, s12, v61
	s_wait_alu 0xfffe
	s_mul_hi_u32 s5, s4, s5
	s_mul_i32 s34, s34, s3
	v_and_b32_e32 v117, 0xffff, v31
	v_bfe_u32 v31, v91, 1, 4
	v_add_nc_u32_e32 v161, 0, v7
	v_lshlrev_b64_e32 v[71:72], 2, v[12:13]
	scratch_store_b32 off, v0, off offset:156 ; 4-byte Folded Spill
	v_and_b32_e32 v0, 1, v82
	s_wait_alu 0xfffd
	v_add_co_ci_u32_e64 v213, null, s13, v62, vcc_lo
	v_add_co_u32 v214, vcc_lo, s12, v63
	v_writelane_b32 v255, s67, 8
	s_ashr_i32 s39, s38, 31
	s_wait_alu 0xfffe
	s_add_co_i32 s62, s4, s5
	s_mul_hi_u32 s4, s3, s34
	v_lshlrev_b64_e32 v[73:74], 2, v[20:21]
	s_wait_alu 0xfffd
	v_add_co_ci_u32_e64 v215, null, s13, v64, vcc_lo
	v_add_co_u32 v216, vcc_lo, s10, v67
	s_wait_alu 0xfffe
	s_add_co_i32 s64, s3, s4
	s_lshl_b64 s[4:5], s[38:39], 1
	s_wait_alu 0xfffd
	v_add_co_ci_u32_e64 v217, null, s11, v68, vcc_lo
	v_add_co_u32 v218, vcc_lo, s10, v69
	v_add_nc_u32_e32 v77, 8, v116
	v_add_nc_u32_e32 v78, 12, v116
	v_and_or_b32 v31, v101, 32, v31
	s_clause 0x1
	scratch_store_b32 off, v30, off offset:184
	scratch_store_b64 off, v[0:1], off offset:144
	v_add_nc_u32_e32 v177, 4, v116
	v_mad_u32_u24 v190, 0xd0, v116, v161
	v_lshrrev_b32_e32 v0, 1, v83
	s_wait_alu 0xfffe
	v_writelane_b32 v255, s4, 9
	s_wait_alu 0xfffd
	v_add_co_ci_u32_e64 v219, null, s11, v70, vcc_lo
	v_add_co_u32 v220, vcc_lo, s10, v71
	v_mad_co_u64_u32 v[85:86], null, v93, s67, v[52:53]
	v_add_co_u32 v206, s3, s14, v7
	s_wait_alu 0xfffd
	v_add_co_ci_u32_e64 v221, null, s11, v72, vcc_lo
	v_add_co_u32 v222, vcc_lo, s10, v73
	v_cmp_gt_u32_e64 s2, 16, v52
	v_lshrrev_b32_e32 v118, 1, v77
	v_lshrrev_b32_e32 v119, 1, v78
	v_mul_u32_u24_e32 v120, 0xd0, v79
	v_mul_u32_u24_e32 v122, 0xd0, v31
	;; [unrolled: 1-line block ×3, first 2 shown]
	v_lshrrev_b32_e32 v124, 1, v33
	v_mul_u32_u24_e32 v125, 0xd0, v37
	v_lshlrev_b32_e32 v173, 2, v8
	v_lshlrev_b32_e32 v174, 2, v9
	v_mul_u32_u24_e32 v176, 0x50, v116
	v_lshl_add_u32 v178, v105, 1, 0
	v_add_nc_u32_e32 v179, 0x680, v106
	v_add_nc_u32_e32 v180, 0xd00, v106
	;; [unrolled: 1-line block ×3, first 2 shown]
	v_and_b32_e32 v75, 1, v32
	v_mul_u32_u24_e32 v183, 0xd0, v91
	v_lshrrev_b32_e32 v184, 1, v100
	v_lshrrev_b32_e32 v185, 1, v99
	;; [unrolled: 1-line block ×7, first 2 shown]
	v_mul_u32_u24_e32 v192, 0xd0, v116
	v_lshrrev_b32_e32 v193, 1, v177
	v_add_nc_u32_e32 v194, 0x340, v190
	v_add_nc_u32_e32 v195, 0x680, v190
	;; [unrolled: 1-line block ×3, first 2 shown]
	v_bfe_u32 v197, v101, 2, 8
	v_lshrrev_b32_e32 v198, 1, v11
	v_and_b32_e32 v77, 1, v11
	v_lshrrev_b32_e32 v199, 1, v34
	v_and_b32_e32 v78, 1, v34
	scratch_store_b32 off, v0, off offset:180 ; 4-byte Folded Spill
	v_and_b32_e32 v0, 1, v83
	s_wait_alu 0xf1ff
	v_add_co_ci_u32_e64 v207, null, s15, 0, s3
	s_wait_alu 0xfffd
	v_add_co_ci_u32_e64 v223, null, s11, v74, vcc_lo
	v_mbcnt_lo_u32_b32 v224, -1, 0
	v_bfe_u32 v86, v91, 1, 1
	v_writelane_b32 v255, s5, 10
	s_and_b32 s102, 0xffff, s27
	s_ashr_i32 s27, s26, 31
	s_ashr_i32 s37, s36, 31
	s_mul_i32 s102, s102, 0x10001
	s_ashr_i32 s50, s99, 31
	s_mov_b32 s59, s57
	s_ashr_i32 s49, s98, 31
	s_mov_b32 s61, s57
	;; [unrolled: 2-line block ×3, first 2 shown]
	s_mov_b32 s65, s57
	s_wait_alu 0xfffe
	s_lshl_b64 s[68:69], s[36:37], 7
	s_lshl_b64 s[70:71], s[26:27], 7
	scratch_store_b64 off, v[0:1], off offset:168 ; 8-byte Folded Spill
	s_branch .LBB14_12
.LBB14_10:                              ;   in Loop: Header=BB14_12 Depth=1
	s_wait_alu 0xfffe
	s_or_b32 exec_lo, exec_lo, s5
	s_wait_loadcnt 0x0
	s_wait_storecnt 0x0
	s_barrier_signal -1
	s_barrier_wait -1
.LBB14_11:                              ;   in Loop: Header=BB14_12 Depth=1
	s_add_co_i32 s3, s48, s100
	s_mov_b32 s96, 0
	s_wait_alu 0xfffe
	s_abs_i32 s56, s3
	s_wait_storecnt 0x0
	global_inv scope:SCOPE_SE
	s_wait_alu 0xfffe
	s_mul_u64 s[4:5], s[56:57], s[52:53]
	s_wait_alu 0xfffe
	s_mul_i32 s4, s5, s55
	s_ashr_i32 s5, s3, 31
	s_wait_alu 0xfffe
	s_sub_co_i32 s4, s56, s4
	s_wait_alu 0xfffe
	s_sub_co_i32 s34, s4, s55
	s_cmp_ge_u32 s4, s55
	s_wait_alu 0xfffe
	s_cselect_b32 s4, s34, s4
	s_wait_alu 0xfffe
	s_sub_co_i32 s34, s4, s55
	s_cmp_ge_u32 s4, s55
	s_wait_alu 0xfffe
	s_cselect_b32 s4, s34, s4
	s_wait_alu 0xfffe
	s_xor_b32 s4, s4, s5
	s_wait_alu 0xfffe
	s_sub_co_i32 s4, s5, s4
	s_wait_alu 0xfffe
	s_add_co_i32 s48, s3, s4
	s_delay_alu instid0(SALU_CYCLE_1)
	s_sub_co_i32 s4, s54, s48
	s_wait_alu 0xfffe
	s_min_i32 s40, s100, s4
	s_cmp_gt_i32 s54, s48
	s_cselect_b32 s3, -1, 0
	s_cmp_le_i32 s100, s4
	s_cselect_b32 s4, -1, 0
	s_wait_alu 0xfffe
	s_and_b32 s4, s4, s3
	s_wait_alu 0xfffe
	s_and_b32 vcc_lo, exec_lo, s4
	s_wait_alu 0xfffe
	s_cbranch_vccz .LBB14_374
.LBB14_12:                              ; =>This Loop Header: Depth=1
                                        ;     Child Loop BB14_248 Depth 2
                                        ;     Child Loop BB14_67 Depth 2
	s_abs_i32 s56, s48
	s_ashr_i32 s3, s48, 31
	s_wait_alu 0xfffe
	s_mul_u64 s[4:5], s[56:57], s[58:59]
	s_xor_b32 s3, s3, s50
	s_wait_alu 0xfffe
	s_mul_i32 s4, s5, s103
	s_add_co_i32 s34, s5, 1
	s_wait_alu 0xfffe
	s_sub_co_i32 s4, s56, s4
	s_wait_alu 0xfffe
	s_sub_co_i32 s39, s4, s103
	s_cmp_ge_u32 s4, s103
	s_cselect_b32 s5, s34, s5
	s_wait_alu 0xfffe
	s_cselect_b32 s4, s39, s4
	s_add_co_i32 s34, s5, 1
	s_wait_alu 0xfffe
	s_cmp_ge_u32 s4, s103
	s_cselect_b32 s4, s34, s5
	s_wait_alu 0xfffe
	s_xor_b32 s4, s4, s3
	s_wait_alu 0xfffe
	s_sub_co_i32 s4, s4, s3
	s_wait_alu 0xfffe
	s_mul_i32 s3, s4, s99
	s_wait_alu 0xfffe
	s_sub_co_i32 s5, s48, s3
	s_wait_alu 0xfffe
	s_abs_i32 s56, s5
	s_ashr_i32 s3, s5, 31
	s_wait_alu 0xfffe
	s_mul_u64 s[72:73], s[56:57], s[60:61]
	s_xor_b32 s3, s3, s49
	s_wait_alu 0xfffe
	s_mul_i32 s34, s73, s104
	s_add_co_i32 s39, s73, 1
	s_wait_alu 0xfffe
	s_sub_co_i32 s34, s56, s34
	s_wait_alu 0xfffe
	s_sub_co_i32 s41, s34, s104
	s_cmp_ge_u32 s34, s104
	s_cselect_b32 s39, s39, s73
	s_wait_alu 0xfffe
	s_cselect_b32 s34, s41, s34
	s_add_co_i32 s41, s39, 1
	s_wait_alu 0xfffe
	s_cmp_ge_u32 s34, s104
	s_cselect_b32 s34, s41, s39
	s_wait_alu 0xfffe
	s_xor_b32 s34, s34, s3
	s_wait_alu 0xfffe
	s_sub_co_i32 s3, s34, s3
	s_wait_alu 0xfffe
	s_mul_i32 s34, s3, s98
	s_wait_alu 0xfffe
	s_sub_co_i32 s34, s5, s34
	s_wait_alu 0xfffe
	s_abs_i32 s56, s34
	s_ashr_i32 s5, s34, 31
	s_wait_alu 0xfffe
	s_mul_u64 s[72:73], s[56:57], s[62:63]
	s_xor_b32 s5, s5, s66
	s_wait_alu 0xfffe
	s_mul_i32 s39, s73, vcc_hi
	s_add_co_i32 s41, s73, 1
	s_wait_alu 0xfffe
	s_sub_co_i32 s39, s56, s39
	s_wait_alu 0xfffe
	s_sub_co_i32 s56, s39, vcc_hi
	s_cmp_ge_u32 s39, vcc_hi
	s_cselect_b32 s41, s41, s73
	s_wait_alu 0xfffe
	s_cselect_b32 s39, s56, s39
	s_add_co_i32 s56, s41, 1
	s_wait_alu 0xfffe
	s_cmp_ge_u32 s39, vcc_hi
	s_cselect_b32 s39, s56, s41
	s_wait_alu 0xfffe
	s_xor_b32 s39, s39, s5
	s_wait_alu 0xfffe
	s_sub_co_i32 s5, s39, s5
	s_wait_alu 0xfffe
	s_mul_i32 s39, s5, s97
	s_wait_alu 0xfffe
	s_sub_co_i32 s34, s34, s39
	s_wait_alu 0xfffe
	s_abs_i32 s56, s34
	s_ashr_i32 s34, s34, 31
	s_wait_alu 0xfffe
	s_mul_u64 s[72:73], s[56:57], s[52:53]
	s_xor_b32 s34, s34, s101
	s_wait_alu 0xfffe
	s_mul_i32 s39, s73, s55
	s_add_co_i32 s41, s73, 1
	s_wait_alu 0xfffe
	s_sub_co_i32 s39, s56, s39
	s_wait_alu 0xfffe
	s_sub_co_i32 s56, s39, s55
	s_cmp_ge_u32 s39, s55
	s_cselect_b32 s41, s41, s73
	s_wait_alu 0xfffe
	s_cselect_b32 s39, s56, s39
	s_add_co_i32 s56, s41, 1
	s_wait_alu 0xfffe
	s_cmp_ge_u32 s39, s55
	s_cselect_b32 s39, s56, s41
	s_and_not1_b32 vcc_lo, exec_lo, s51
	s_wait_alu 0xfffe
	s_xor_b32 s39, s39, s34
	s_wait_alu 0xfffe
	s_sub_co_i32 s34, s39, s34
	s_cbranch_vccnz .LBB14_14
; %bb.13:                               ;   in Loop: Header=BB14_12 Depth=1
	v_readlane_b32 s39, v255, 0
	s_mul_i32 s39, s4, s39
	s_wait_alu 0xfffe
	s_add_co_i32 s72, s34, s39
	s_wait_alu 0xfffe
	s_ashr_i32 s73, s72, 31
	s_wait_alu 0xfffe
	s_lshl_b64 s[72:73], s[72:73], 2
	s_wait_alu 0xfffe
	s_add_nc_u64 s[72:73], s[18:19], s[72:73]
	global_load_b32 v0, v175, s[72:73]
	s_wait_loadcnt 0x0
	v_readfirstlane_b32 s39, v0
	s_ashr_i32 s41, s39, 31
	s_wait_alu 0xfffe
	s_lshr_b32 s41, s41, 27
	s_wait_alu 0xfffe
	s_add_co_i32 s39, s39, s41
	s_wait_alu 0xfffe
	s_ashr_i32 s39, s39, 5
	s_wait_alu 0xfffe
	s_min_i32 s40, s40, s39
.LBB14_14:                              ;   in Loop: Header=BB14_12 Depth=1
	s_abs_i32 s56, s4
	s_mul_i32 s41, s3, s33
	s_lshl_b32 s39, s5, 1
	s_wait_alu 0xfffe
	s_mul_u64 s[76:77], s[56:57], s[64:65]
	s_add_co_i32 s74, s39, s41
	s_mul_i32 s41, s77, s30
	s_mul_i32 s72, s4, s47
	;; [unrolled: 1-line block ×4, first 2 shown]
	s_wait_alu 0xfffe
	s_sub_co_i32 s41, s56, s41
	s_ashr_i32 s73, s72, 31
	s_ashr_i32 s79, s78, 31
	;; [unrolled: 1-line block ×4, first 2 shown]
	s_wait_alu 0xfffe
	s_sub_co_i32 s56, s41, s30
	s_cmp_ge_u32 s41, s30
	s_add_nc_u64 s[72:73], s[8:9], s[72:73]
	s_wait_alu 0xfffe
	s_cselect_b32 s41, s56, s41
	s_mul_u64 s[84:85], s[28:29], s[4:5]
	s_wait_alu 0xfffe
	s_sub_co_i32 s56, s41, s30
	s_cmp_ge_u32 s41, s30
	v_readlane_b32 s76, v255, 1
	s_wait_alu 0xfffe
	s_cselect_b32 s41, s56, s41
	s_mul_i32 s56, s24, s25
	v_readlane_b32 s77, v255, 2
	s_add_nc_u64 s[92:93], s[72:73], s[78:79]
	s_add_nc_u64 s[72:73], s[10:11], s[84:85]
	s_wait_alu 0xfffe
	s_xor_b32 s41, s41, s5
	s_mul_i32 s56, s56, s4
	s_add_nc_u64 s[78:79], s[72:73], s[82:83]
	s_wait_alu 0xfffe
	s_sub_co_i32 s72, s41, s5
	s_add_co_i32 s41, s74, s56
	s_ashr_i32 s75, s74, 31
	s_wait_alu 0xfffe
	s_ashr_i32 s73, s72, 31
	s_mul_i32 s56, s41, 48
	s_mul_u64 s[88:89], s[76:77], s[4:5]
	s_mul_i32 s90, s3, s31
	s_lshl_b64 s[74:75], s[74:75], 2
	v_or_b32_e32 v225, s39, v93
	s_wait_alu 0xfffe
	s_mul_u64 s[86:87], s[42:43], s[72:73]
	s_lshl_b64 s[72:73], s[56:57], 3
	s_add_nc_u64 s[4:5], s[12:13], s[88:89]
	s_ashr_i32 s91, s90, 31
	s_add_nc_u64 s[74:75], s[16:17], s[74:75]
	s_and_b32 s3, s44, exec_lo
	s_wait_alu 0xfffe
	s_add_nc_u64 s[80:81], s[14:15], s[86:87]
	s_add_nc_u64 s[72:73], s[20:21], s[72:73]
	s_cselect_b32 s75, 0, s75
	s_cselect_b32 s74, 0, s74
	s_cmp_lg_u32 s96, 0
	s_add_nc_u64 s[76:77], s[4:5], s[90:91]
	s_cbranch_scc0 .LBB14_68
; %bb.15:                               ;   in Loop: Header=BB14_12 Depth=1
	s_lshl_b32 s56, s34, 3
	v_cmp_le_i32_e64 s4, s33, v225
	s_wait_alu 0xfffe
	v_add_nc_u32_e32 v0, s56, v109
	v_cmp_gt_i32_e32 vcc_lo, s33, v225
	s_delay_alu instid0(VALU_DEP_2)
	v_cmp_le_i32_e64 s3, s24, v0
	s_or_b32 s3, s3, s4
	s_wait_alu 0xfffe
	s_and_saveexec_b32 s4, s3
	s_wait_alu 0xfffe
	s_xor_b32 s3, exec_lo, s4
; %bb.16:                               ;   in Loop: Header=BB14_12 Depth=1
	v_add_nc_u32_e32 v0, v103, v183
	ds_store_b32 v0, v175
                                        ; implicit-def: $vgpr0
; %bb.17:                               ;   in Loop: Header=BB14_12 Depth=1
	s_wait_alu 0xfffe
	s_and_not1_saveexec_b32 s4, s3
	s_cbranch_execz .LBB14_19
; %bb.18:                               ;   in Loop: Header=BB14_12 Depth=1
	v_mad_co_u64_u32 v[0:1], null, v0, s35, v[85:86]
	s_delay_alu instid0(VALU_DEP_1) | instskip(NEXT) | instid1(VALU_DEP_1)
	v_ashrrev_i32_e32 v1, 31, v0
	v_lshlrev_b64_e32 v[0:1], 3, v[0:1]
	s_delay_alu instid0(VALU_DEP_1) | instskip(SKIP_1) | instid1(VALU_DEP_2)
	v_add_co_u32 v0, s3, s92, v0
	s_wait_alu 0xf1ff
	v_add_co_ci_u32_e64 v1, null, s93, v1, s3
	global_load_b64 v[0:1], v[0:1], off
	s_wait_loadcnt 0x0
	v_cvt_f16_f32_e32 v0, v0
	v_cvt_f16_f32_e32 v1, v1
	s_delay_alu instid0(VALU_DEP_1) | instskip(SKIP_1) | instid1(VALU_DEP_2)
	v_pack_b32_f16 v0, v0, v1
	v_add_nc_u32_e32 v1, v103, v183
	v_pk_mul_f16 v0, v0, s102
	ds_store_b32 v1, v0
.LBB14_19:                              ;   in Loop: Header=BB14_12 Depth=1
	s_wait_alu 0xfffe
	s_or_b32 exec_lo, exec_lo, s4
	v_add_nc_u32_e32 v0, s56, v184
	s_xor_b32 s4, vcc_lo, -1
	s_delay_alu instid0(VALU_DEP_1)
	v_cmp_le_i32_e64 s3, s24, v0
	s_wait_alu 0xfffe
	s_or_b32 s3, s3, s4
	s_wait_alu 0xfffe
	s_and_saveexec_b32 s5, s3
	s_wait_alu 0xfffe
	s_xor_b32 s3, exec_lo, s5
; %bb.20:                               ;   in Loop: Header=BB14_12 Depth=1
	v_add_nc_u32_e32 v0, v103, v183
	ds_store_b32 v0, v175 offset:416
                                        ; implicit-def: $vgpr0
; %bb.21:                               ;   in Loop: Header=BB14_12 Depth=1
	s_wait_alu 0xfffe
	s_and_not1_saveexec_b32 s3, s3
	s_cbranch_execz .LBB14_23
; %bb.22:                               ;   in Loop: Header=BB14_12 Depth=1
	v_mad_co_u64_u32 v[0:1], null, v0, s35, v[85:86]
	s_delay_alu instid0(VALU_DEP_1) | instskip(NEXT) | instid1(VALU_DEP_1)
	v_ashrrev_i32_e32 v1, 31, v0
	v_lshlrev_b64_e32 v[0:1], 3, v[0:1]
	s_delay_alu instid0(VALU_DEP_1) | instskip(SKIP_1) | instid1(VALU_DEP_2)
	v_add_co_u32 v0, vcc_lo, s92, v0
	s_wait_alu 0xfffd
	v_add_co_ci_u32_e64 v1, null, s93, v1, vcc_lo
	global_load_b64 v[0:1], v[0:1], off
	s_wait_loadcnt 0x0
	v_cvt_f16_f32_e32 v0, v0
	v_cvt_f16_f32_e32 v1, v1
	s_delay_alu instid0(VALU_DEP_1) | instskip(SKIP_1) | instid1(VALU_DEP_2)
	v_pack_b32_f16 v0, v0, v1
	v_add_nc_u32_e32 v1, v103, v183
	v_pk_mul_f16 v0, v0, s102
	ds_store_b32 v1, v0 offset:416
.LBB14_23:                              ;   in Loop: Header=BB14_12 Depth=1
	s_wait_alu 0xfffe
	s_or_b32 exec_lo, exec_lo, s3
	v_add_nc_u32_e32 v0, s56, v185
	s_delay_alu instid0(VALU_DEP_1)
	v_cmp_le_i32_e32 vcc_lo, s24, v0
	s_or_b32 s3, vcc_lo, s4
	s_wait_alu 0xfffe
	s_and_saveexec_b32 s5, s3
	s_wait_alu 0xfffe
	s_xor_b32 s3, exec_lo, s5
; %bb.24:                               ;   in Loop: Header=BB14_12 Depth=1
	v_add_nc_u32_e32 v0, v103, v183
	ds_store_b32 v0, v175 offset:832
                                        ; implicit-def: $vgpr0
; %bb.25:                               ;   in Loop: Header=BB14_12 Depth=1
	s_wait_alu 0xfffe
	s_and_not1_saveexec_b32 s3, s3
	s_cbranch_execz .LBB14_27
; %bb.26:                               ;   in Loop: Header=BB14_12 Depth=1
	v_mad_co_u64_u32 v[0:1], null, v0, s35, v[85:86]
	s_delay_alu instid0(VALU_DEP_1) | instskip(NEXT) | instid1(VALU_DEP_1)
	v_ashrrev_i32_e32 v1, 31, v0
	v_lshlrev_b64_e32 v[0:1], 3, v[0:1]
	s_delay_alu instid0(VALU_DEP_1) | instskip(SKIP_1) | instid1(VALU_DEP_2)
	v_add_co_u32 v0, vcc_lo, s92, v0
	s_wait_alu 0xfffd
	v_add_co_ci_u32_e64 v1, null, s93, v1, vcc_lo
	global_load_b64 v[0:1], v[0:1], off
	s_wait_loadcnt 0x0
	v_cvt_f16_f32_e32 v0, v0
	v_cvt_f16_f32_e32 v1, v1
	s_delay_alu instid0(VALU_DEP_1) | instskip(SKIP_1) | instid1(VALU_DEP_2)
	v_pack_b32_f16 v0, v0, v1
	v_add_nc_u32_e32 v1, v103, v183
	v_pk_mul_f16 v0, v0, s102
	ds_store_b32 v1, v0 offset:832
.LBB14_27:                              ;   in Loop: Header=BB14_12 Depth=1
	s_wait_alu 0xfffe
	s_or_b32 exec_lo, exec_lo, s3
	v_add_nc_u32_e32 v0, s56, v186
	s_delay_alu instid0(VALU_DEP_1)
	v_cmp_le_i32_e32 vcc_lo, s24, v0
	s_or_b32 s3, vcc_lo, s4
	;; [unrolled: 37-line block ×6, first 2 shown]
	s_wait_alu 0xfffe
	s_and_saveexec_b32 s4, s3
	s_wait_alu 0xfffe
	s_xor_b32 s3, exec_lo, s4
; %bb.44:                               ;   in Loop: Header=BB14_12 Depth=1
	v_add_nc_u32_e32 v0, v103, v183
	ds_store_b32 v0, v175 offset:2912
                                        ; implicit-def: $vgpr0
; %bb.45:                               ;   in Loop: Header=BB14_12 Depth=1
	s_wait_alu 0xfffe
	s_and_not1_saveexec_b32 s3, s3
	s_cbranch_execz .LBB14_47
; %bb.46:                               ;   in Loop: Header=BB14_12 Depth=1
	v_mad_co_u64_u32 v[0:1], null, v0, s35, v[85:86]
	s_delay_alu instid0(VALU_DEP_1) | instskip(NEXT) | instid1(VALU_DEP_1)
	v_ashrrev_i32_e32 v1, 31, v0
	v_lshlrev_b64_e32 v[0:1], 3, v[0:1]
	s_delay_alu instid0(VALU_DEP_1) | instskip(SKIP_1) | instid1(VALU_DEP_2)
	v_add_co_u32 v0, vcc_lo, s92, v0
	s_wait_alu 0xfffd
	v_add_co_ci_u32_e64 v1, null, s93, v1, vcc_lo
	global_load_b64 v[0:1], v[0:1], off
	s_wait_loadcnt 0x0
	v_cvt_f16_f32_e32 v0, v0
	v_cvt_f16_f32_e32 v1, v1
	s_delay_alu instid0(VALU_DEP_1) | instskip(SKIP_1) | instid1(VALU_DEP_2)
	v_pack_b32_f16 v0, v0, v1
	v_add_nc_u32_e32 v1, v103, v183
	v_pk_mul_f16 v0, v0, s102
	ds_store_b32 v1, v0 offset:2912
.LBB14_47:                              ;   in Loop: Header=BB14_12 Depth=1
	s_wait_alu 0xfffe
	s_or_b32 exec_lo, exec_lo, s3
	v_add_nc_u32_e32 v0, s56, v117
	v_or_b32_e32 v1, s39, v182
	s_delay_alu instid0(VALU_DEP_2) | instskip(NEXT) | instid1(VALU_DEP_2)
	v_cmp_le_i32_e64 s3, s24, v0
	v_cmp_le_i32_e64 s4, s33, v1
	v_cmp_gt_i32_e32 vcc_lo, s33, v1
	s_or_b32 s3, s3, s4
	s_wait_alu 0xfffe
	s_and_saveexec_b32 s4, s3
	s_wait_alu 0xfffe
	s_xor_b32 s3, exec_lo, s4
; %bb.48:                               ;   in Loop: Header=BB14_12 Depth=1
	ds_store_b32 v190, v175 offset:128
                                        ; implicit-def: $vgpr0
; %bb.49:                               ;   in Loop: Header=BB14_12 Depth=1
	s_wait_alu 0xfffe
	s_and_not1_saveexec_b32 s4, s3
	s_cbranch_execz .LBB14_51
; %bb.50:                               ;   in Loop: Header=BB14_12 Depth=1
	v_mad_co_u64_u32 v[0:1], null, v0, s35, v[76:77]
	s_delay_alu instid0(VALU_DEP_1) | instskip(NEXT) | instid1(VALU_DEP_1)
	v_ashrrev_i32_e32 v1, 31, v0
	v_lshlrev_b64_e32 v[0:1], 3, v[0:1]
	s_delay_alu instid0(VALU_DEP_1) | instskip(SKIP_1) | instid1(VALU_DEP_2)
	v_add_co_u32 v0, s3, s92, v0
	s_wait_alu 0xf1ff
	v_add_co_ci_u32_e64 v1, null, s93, v1, s3
	global_load_b64 v[0:1], v[0:1], off
	s_wait_loadcnt 0x0
	v_cvt_f16_f32_e32 v0, v0
	v_cvt_f16_f32_e32 v1, v1
	s_delay_alu instid0(VALU_DEP_1) | instskip(SKIP_1) | instid1(VALU_DEP_2)
	v_pack_b32_f16 v0, v0, v1
	v_add_nc_u32_e32 v1, v161, v192
	v_pk_mul_f16 v0, v0, s102
	ds_store_b32 v1, v0 offset:128
.LBB14_51:                              ;   in Loop: Header=BB14_12 Depth=1
	s_wait_alu 0xfffe
	s_or_b32 exec_lo, exec_lo, s4
	v_add_nc_u32_e32 v0, s56, v193
	s_xor_b32 s4, vcc_lo, -1
	s_delay_alu instid0(VALU_DEP_1)
	v_cmp_le_i32_e64 s3, s24, v0
	s_wait_alu 0xfffe
	s_or_b32 s3, s3, s4
	s_wait_alu 0xfffe
	s_and_saveexec_b32 s5, s3
	s_wait_alu 0xfffe
	s_xor_b32 s3, exec_lo, s5
; %bb.52:                               ;   in Loop: Header=BB14_12 Depth=1
	ds_store_b32 v194, v175 offset:128
                                        ; implicit-def: $vgpr0
; %bb.53:                               ;   in Loop: Header=BB14_12 Depth=1
	s_wait_alu 0xfffe
	s_and_not1_saveexec_b32 s3, s3
	s_cbranch_execz .LBB14_55
; %bb.54:                               ;   in Loop: Header=BB14_12 Depth=1
	v_mad_co_u64_u32 v[0:1], null, v0, s35, v[76:77]
	s_delay_alu instid0(VALU_DEP_1) | instskip(NEXT) | instid1(VALU_DEP_1)
	v_ashrrev_i32_e32 v1, 31, v0
	v_lshlrev_b64_e32 v[0:1], 3, v[0:1]
	s_delay_alu instid0(VALU_DEP_1) | instskip(SKIP_1) | instid1(VALU_DEP_2)
	v_add_co_u32 v0, vcc_lo, s92, v0
	s_wait_alu 0xfffd
	v_add_co_ci_u32_e64 v1, null, s93, v1, vcc_lo
	global_load_b64 v[0:1], v[0:1], off
	s_wait_loadcnt 0x0
	v_cvt_f16_f32_e32 v0, v0
	v_cvt_f16_f32_e32 v1, v1
	s_delay_alu instid0(VALU_DEP_1) | instskip(SKIP_1) | instid1(VALU_DEP_2)
	v_pack_b32_f16 v0, v0, v1
	v_add_nc_u32_e32 v1, v161, v192
	v_pk_mul_f16 v0, v0, s102
	ds_store_b32 v1, v0 offset:960
.LBB14_55:                              ;   in Loop: Header=BB14_12 Depth=1
	s_wait_alu 0xfffe
	s_or_b32 exec_lo, exec_lo, s3
	v_add_nc_u32_e32 v0, s56, v118
	s_delay_alu instid0(VALU_DEP_1)
	v_cmp_le_i32_e32 vcc_lo, s24, v0
	s_or_b32 s3, vcc_lo, s4
	s_wait_alu 0xfffe
	s_and_saveexec_b32 s5, s3
	s_wait_alu 0xfffe
	s_xor_b32 s3, exec_lo, s5
; %bb.56:                               ;   in Loop: Header=BB14_12 Depth=1
	ds_store_b32 v195, v175 offset:128
                                        ; implicit-def: $vgpr0
; %bb.57:                               ;   in Loop: Header=BB14_12 Depth=1
	s_wait_alu 0xfffe
	s_and_not1_saveexec_b32 s3, s3
	s_cbranch_execz .LBB14_59
; %bb.58:                               ;   in Loop: Header=BB14_12 Depth=1
	v_mad_co_u64_u32 v[0:1], null, v0, s35, v[76:77]
	s_delay_alu instid0(VALU_DEP_1) | instskip(NEXT) | instid1(VALU_DEP_1)
	v_ashrrev_i32_e32 v1, 31, v0
	v_lshlrev_b64_e32 v[0:1], 3, v[0:1]
	s_delay_alu instid0(VALU_DEP_1) | instskip(SKIP_1) | instid1(VALU_DEP_2)
	v_add_co_u32 v0, vcc_lo, s92, v0
	s_wait_alu 0xfffd
	v_add_co_ci_u32_e64 v1, null, s93, v1, vcc_lo
	global_load_b64 v[0:1], v[0:1], off
	s_wait_loadcnt 0x0
	v_cvt_f16_f32_e32 v0, v0
	v_cvt_f16_f32_e32 v1, v1
	s_delay_alu instid0(VALU_DEP_1) | instskip(SKIP_1) | instid1(VALU_DEP_2)
	v_pack_b32_f16 v0, v0, v1
	v_add_nc_u32_e32 v1, v161, v192
	v_pk_mul_f16 v0, v0, s102
	ds_store_b32 v1, v0 offset:1792
.LBB14_59:                              ;   in Loop: Header=BB14_12 Depth=1
	s_wait_alu 0xfffe
	s_or_b32 exec_lo, exec_lo, s3
	v_add_nc_u32_e32 v0, s56, v119
	s_delay_alu instid0(VALU_DEP_1)
	v_cmp_le_i32_e32 vcc_lo, s24, v0
	s_or_b32 s3, vcc_lo, s4
	s_wait_alu 0xfffe
	s_and_saveexec_b32 s4, s3
	s_wait_alu 0xfffe
	s_xor_b32 s3, exec_lo, s4
; %bb.60:                               ;   in Loop: Header=BB14_12 Depth=1
	ds_store_b32 v196, v175 offset:128
                                        ; implicit-def: $vgpr0
; %bb.61:                               ;   in Loop: Header=BB14_12 Depth=1
	s_wait_alu 0xfffe
	s_and_not1_saveexec_b32 s3, s3
	s_cbranch_execz .LBB14_63
; %bb.62:                               ;   in Loop: Header=BB14_12 Depth=1
	v_mad_co_u64_u32 v[0:1], null, v0, s35, v[76:77]
	s_delay_alu instid0(VALU_DEP_1) | instskip(NEXT) | instid1(VALU_DEP_1)
	v_ashrrev_i32_e32 v1, 31, v0
	v_lshlrev_b64_e32 v[0:1], 3, v[0:1]
	s_delay_alu instid0(VALU_DEP_1) | instskip(SKIP_1) | instid1(VALU_DEP_2)
	v_add_co_u32 v0, vcc_lo, s92, v0
	s_wait_alu 0xfffd
	v_add_co_ci_u32_e64 v1, null, s93, v1, vcc_lo
	global_load_b64 v[0:1], v[0:1], off
	s_wait_loadcnt 0x0
	v_cvt_f16_f32_e32 v0, v0
	v_cvt_f16_f32_e32 v1, v1
	s_delay_alu instid0(VALU_DEP_1) | instskip(SKIP_1) | instid1(VALU_DEP_2)
	v_pack_b32_f16 v0, v0, v1
	v_add_nc_u32_e32 v1, v161, v192
	v_pk_mul_f16 v0, v0, s102
	ds_store_b32 v1, v0 offset:2624
.LBB14_63:                              ;   in Loop: Header=BB14_12 Depth=1
	s_wait_alu 0xfffe
	s_or_b32 exec_lo, exec_lo, s3
	s_wait_storecnt_dscnt 0x0
	s_barrier_signal -1
	s_barrier_wait -1
	global_inv scope:SCOPE_SE
	ds_load_b128 v[44:47], v104
	ds_load_b128 v[40:43], v104 offset:32
	ds_load_b128 v[32:35], v104 offset:64
	;; [unrolled: 1-line block ×5, first 2 shown]
	v_add_nc_u32_e32 v1, s56, v116
	v_add_nc_u32_e32 v0, s56, v177
	s_add_co_i32 s67, s40, -1
	s_mov_b32 s3, -1
	s_wait_alu 0xfffe
	s_cmp_lt_i32 s96, s67
	v_mul_hi_u32 v3, s6, v1
	v_mul_hi_u32 v2, s6, v0
	s_wait_loadcnt_dscnt 0x0
	s_barrier_signal -1
	s_barrier_wait -1
	global_inv scope:SCOPE_SE
                                        ; implicit-def: $vgpr89_vgpr90
                                        ; implicit-def: $vgpr87_vgpr88
                                        ; implicit-def: $vgpr228
                                        ; implicit-def: $vgpr229
	s_cbranch_scc1 .LBB14_65
; %bb.64:                               ;   in Loop: Header=BB14_12 Depth=1
	v_dual_mov_b32 v229, 32 :: v_dual_add_nc_u32 v4, v1, v3
	v_add_nc_u32_e32 v5, v0, v2
	v_xor_b32_e32 v228, 16, v224
	s_mov_b32 s3, 0
	s_delay_alu instid0(VALU_DEP_3) | instskip(NEXT) | instid1(VALU_DEP_3)
	v_lshrrev_b32_e32 v4, s7, v4
	v_lshrrev_b32_e32 v5, s7, v5
	s_delay_alu instid0(VALU_DEP_2) | instskip(NEXT) | instid1(VALU_DEP_2)
	v_mul_lo_u32 v4, v4, s24
	v_mul_lo_u32 v5, v5, s24
	s_delay_alu instid0(VALU_DEP_2) | instskip(NEXT) | instid1(VALU_DEP_2)
	v_sub_nc_u32_e32 v4, v1, v4
	v_sub_nc_u32_e32 v5, v0, v5
	s_delay_alu instid0(VALU_DEP_2) | instskip(NEXT) | instid1(VALU_DEP_2)
	v_mad_co_i64_i32 v[89:90], null, v4, s38, 0
	v_mad_co_i64_i32 v[87:88], null, v5, s38, 0
.LBB14_65:                              ;   in Loop: Header=BB14_12 Depth=1
	s_wait_alu 0xfffe
	s_and_not1_b32 vcc_lo, exec_lo, s3
	s_wait_alu 0xfffe
	s_cbranch_vccnz .LBB14_69
; %bb.66:                               ;   in Loop: Header=BB14_12 Depth=1
	v_dual_mov_b32 v226, 0 :: v_dual_add_nc_u32 v3, v1, v3
	v_dual_mov_b32 v229, 32 :: v_dual_add_nc_u32 v2, v0, v2
	v_xor_b32_e32 v228, 16, v224
	s_delay_alu instid0(VALU_DEP_3) | instskip(SKIP_1) | instid1(VALU_DEP_4)
	v_lshrrev_b32_e32 v3, s7, v3
	v_dual_mov_b32 v227, 0xfeffffff :: v_dual_mov_b32 v12, 0
	v_lshrrev_b32_e32 v2, s7, v2
	s_delay_alu instid0(VALU_DEP_4) | instskip(NEXT) | instid1(VALU_DEP_4)
	v_cmp_gt_i32_e32 vcc_lo, 32, v228
	v_mul_lo_u32 v3, v3, s24
	v_dual_mov_b32 v13, v226 :: v_dual_lshlrev_b32 v4, 1, v105
	v_mov_b32_e32 v14, v226
	v_mul_lo_u32 v2, v2, s24
	s_wait_alu 0xfffd
	v_dual_cndmask_b32 v5, v224, v228 :: v_dual_mov_b32 v8, 0
	v_add_co_u32 v144, s3, s80, v4
	v_sub_nc_u32_e32 v1, v1, v3
	s_wait_alu 0xf1ff
	v_add_co_ci_u32_e64 v230, null, s81, 0, s3
	v_sub_nc_u32_e32 v0, v0, v2
	v_lshlrev_b32_e32 v231, 2, v5
	v_mad_co_i64_i32 v[89:90], null, v1, s38, 0
	v_dual_mov_b32 v15, v226 :: v_dual_mov_b32 v10, v8
	s_delay_alu instid0(VALU_DEP_4)
	v_mad_co_i64_i32 v[87:88], null, v0, s38, 0
	v_dual_mov_b32 v9, v8 :: v_dual_mov_b32 v16, 0
	v_dual_mov_b32 v11, v8 :: v_dual_mov_b32 v18, v226
	;; [unrolled: 1-line block ×8, first 2 shown]
	v_mov_b32_e32 v1, v226
	v_mov_b32_e32 v3, v226
	s_lshl_b32 s94, s96, 5
.LBB14_67:                              ;   Parent Loop BB14_12 Depth=1
                                        ; =>  This Inner Loop Header: Depth=2
	s_wait_alu 0xfffe
	s_ashr_i32 s95, s94, 31
	v_lshlrev_b64_e32 v[81:82], 1, v[89:90]
	s_wait_alu 0xfffe
	s_lshl_b64 s[4:5], s[94:95], 1
	v_lshlrev_b64_e32 v[83:84], 1, v[87:88]
	s_wait_alu 0xfffe
	v_add_co_u32 v79, vcc_lo, v144, s4
	s_wait_alu 0xfffd
	v_add_co_ci_u32_e64 v80, null, s5, v230, vcc_lo
	s_mul_u64 s[4:5], s[94:95], s[26:27]
	v_add_co_u32 v81, vcc_lo, v79, v81
	s_wait_alu 0xfffd
	v_add_co_ci_u32_e64 v82, null, v80, v82, vcc_lo
	v_add_co_u32 v83, vcc_lo, v79, v83
	s_wait_alu 0xfffd
	v_add_co_ci_u32_e64 v84, null, v80, v84, vcc_lo
	s_clause 0x1
	global_load_b32 v79, v[81:82], off
	global_load_b32 v80, v[83:84], off
	v_add_nc_u32_e32 v81, v178, v176
	s_wait_alu 0xfffe
	s_lshl_b64 s[4:5], s[4:5], 2
	s_add_co_i32 s96, s96, 1
	s_wait_alu 0xfffe
	s_add_nc_u64 s[4:5], s[78:79], s[4:5]
	v_add_nc_u32_e32 v81, 0x1800, v81
	s_wait_loadcnt 0x0
	ds_store_2addr_b32 v81, v79, v80 offset0:128 offset1:208
	s_wait_alu 0xfffe
	v_add_co_u32 v79, vcc_lo, s4, v57
	s_wait_alu 0xfffd
	v_add_co_ci_u32_e64 v80, null, s5, v58, vcc_lo
	s_delay_alu instid0(VALU_DEP_2) | instskip(SKIP_1) | instid1(VALU_DEP_2)
	v_add_co_u32 v81, vcc_lo, v79, v173
	s_wait_alu 0xfffd
	v_add_co_ci_u32_e64 v82, null, 0, v80, vcc_lo
	v_add_co_u32 v79, vcc_lo, s4, v65
	s_wait_alu 0xfffd
	v_add_co_ci_u32_e64 v80, null, s5, v66, vcc_lo
	s_delay_alu instid0(VALU_DEP_2) | instskip(SKIP_1) | instid1(VALU_DEP_2)
	v_add_co_u32 v127, vcc_lo, v79, v173
	s_wait_alu 0xfffd
	v_add_co_ci_u32_e64 v128, null, 0, v80, vcc_lo
	s_clause 0x1
	global_load_b128 v[81:84], v[81:82], off offset:128
	global_load_b128 v[127:130], v[127:128], off offset:128
	v_add_co_u32 v79, vcc_lo, s4, v67
	s_wait_alu 0xfffd
	v_add_co_ci_u32_e64 v80, null, s5, v68, vcc_lo
	s_wait_loadcnt 0x1
	ds_store_b128 v114, v[81:84]
	s_wait_loadcnt 0x0
	ds_store_b128 v115, v[127:130]
	v_add_co_u32 v81, vcc_lo, v79, v174
	s_wait_alu 0xfffd
	v_add_co_ci_u32_e64 v82, null, 0, v80, vcc_lo
	v_add_co_u32 v79, vcc_lo, s4, v69
	s_wait_alu 0xfffd
	v_add_co_ci_u32_e64 v80, null, s5, v70, vcc_lo
	s_delay_alu instid0(VALU_DEP_2) | instskip(SKIP_1) | instid1(VALU_DEP_2)
	v_add_co_u32 v127, vcc_lo, v79, v174
	s_wait_alu 0xfffd
	v_add_co_ci_u32_e64 v128, null, 0, v80, vcc_lo
	s_clause 0x1
	global_load_b128 v[81:84], v[81:82], off
	global_load_b128 v[127:130], v[127:128], off
	v_add_co_u32 v79, vcc_lo, s4, v71
	s_wait_alu 0xfffd
	v_add_co_ci_u32_e64 v80, null, s5, v72, vcc_lo
	s_wait_loadcnt 0x1
	ds_store_b128 v106, v[81:84]
	s_wait_loadcnt 0x0
	ds_store_b128 v179, v[127:130]
	v_add_co_u32 v81, vcc_lo, v79, v174
	s_wait_alu 0xfffd
	v_add_co_ci_u32_e64 v82, null, 0, v80, vcc_lo
	v_add_co_u32 v79, vcc_lo, s4, v73
	s_wait_alu 0xfffd
	v_add_co_ci_u32_e64 v80, null, s5, v74, vcc_lo
	s_mul_u64 s[4:5], s[94:95], s[36:37]
	v_add_co_u32 v127, vcc_lo, v79, v174
	s_wait_alu 0xfffd
	v_add_co_ci_u32_e64 v128, null, 0, v80, vcc_lo
	s_clause 0x1
	global_load_b128 v[81:84], v[81:82], off
	global_load_b128 v[127:130], v[127:128], off
	s_wait_alu 0xfffe
	s_lshl_b64 s[4:5], s[4:5], 2
	s_add_co_i32 s94, s94, 32
	s_wait_alu 0xfffe
	s_add_nc_u64 s[4:5], s[76:77], s[4:5]
	s_cmp_lt_i32 s96, s67
	s_wait_loadcnt 0x1
	ds_store_b128 v180, v[81:84]
	s_wait_loadcnt 0x0
	ds_store_b128 v181, v[127:130]
	s_wait_dscnt 0x0
	s_barrier_signal -1
	s_barrier_wait -1
	global_inv scope:SCOPE_SE
	ds_load_b128 v[81:84], v107
	ds_load_b128 v[127:130], v107 offset:32
	s_wait_dscnt 0x1
	v_wmma_f32_16x16x16_f16 v[136:143], v[81:84], v[44:47], 0
	s_wait_dscnt 0x0
	s_delay_alu instid0(VALU_DEP_1)
	v_wmma_f32_16x16x16_f16 v[136:143], v[127:130], v[40:43], v[136:143]
	ds_load_b128 v[81:84], v107 offset:64
	ds_load_b128 v[127:130], v107 offset:96
	s_wait_dscnt 0x1
	v_wmma_f32_16x16x16_f16 v[136:143], v[81:84], v[32:35], v[136:143]
	s_wait_dscnt 0x0
	s_delay_alu instid0(VALU_DEP_1)
	v_wmma_f32_16x16x16_f16 v[136:143], v[127:130], v[36:39], v[136:143]
	ds_load_b128 v[81:84], v107 offset:128
	ds_load_b128 v[127:130], v107 offset:160
	s_wait_loadcnt_dscnt 0x0
	s_barrier_signal -1
	s_barrier_wait -1
	global_inv scope:SCOPE_SE
	v_wmma_f32_16x16x16_f16 v[136:143], v[81:84], v[28:31], v[136:143]
	s_delay_alu instid0(VALU_DEP_1)
	v_wmma_f32_16x16x16_f16 v[136:143], v[127:130], v[24:27], v[136:143]
	v_add_nc_u32_e32 v79, 0x1a00, v108
	v_add_nc_u32_e32 v80, 0x1a08, v108
	ds_load_2addr_b32 v[81:82], v79 offset1:1
	ds_load_2addr_b32 v[83:84], v80 offset1:1
	s_wait_dscnt 0x1
	v_cvt_f32_f16_e32 v79, v81
	v_lshrrev_b32_e32 v80, 16, v81
	v_cvt_f32_f16_e32 v81, v82
	v_lshrrev_b32_e32 v82, 16, v82
	s_wait_dscnt 0x0
	v_lshrrev_b32_e32 v127, 16, v84
	v_cvt_f32_f16_e32 v126, v83
	v_lshrrev_b32_e32 v83, 16, v83
	v_cvt_f32_f16_e32 v80, v80
	v_cvt_f32_f16_e32 v82, v82
	;; [unrolled: 1-line block ×3, first 2 shown]
	v_add_f32_e32 v131, v138, v81
	s_wait_alu 0xfffe
	v_add_co_u32 v81, vcc_lo, s4, v50
	v_cvt_f32_f16_e32 v83, v83
	v_dual_add_f32 v80, v137, v80 :: v_dual_add_f32 v151, v139, v82
	s_wait_alu 0xfffd
	v_add_co_ci_u32_e64 v82, null, s5, v51, vcc_lo
	v_cvt_f32_f16_e32 v84, v84
	v_add_co_u32 v81, vcc_lo, v81, v173
	v_add_f32_e32 v152, v141, v83
	s_wait_alu 0xfffd
	v_add_co_ci_u32_e64 v82, null, 0, v82, vcc_lo
	v_add_co_u32 v83, vcc_lo, s4, v53
	v_add_f32_e32 v153, v142, v84
	s_wait_alu 0xfffd
	v_add_co_ci_u32_e64 v84, null, s5, v54, vcc_lo
	v_add_f32_e32 v154, v143, v127
	v_add_co_u32 v127, vcc_lo, v83, v173
	s_wait_alu 0xfffd
	s_delay_alu instid0(VALU_DEP_3)
	v_add_co_ci_u32_e64 v128, null, 0, v84, vcc_lo
	s_clause 0x1
	global_load_b128 v[81:84], v[81:82], off offset:128
	global_load_b128 v[127:130], v[127:128], off offset:128
	v_add_f32_e32 v79, v136, v79
	v_add_f32_e32 v126, v140, v126
	s_wait_loadcnt 0x1
	ds_store_b128 v114, v[81:84]
	s_wait_loadcnt 0x0
	ds_store_b128 v115, v[127:130]
	v_add_co_u32 v81, vcc_lo, s4, v55
	s_wait_alu 0xfffd
	v_add_co_ci_u32_e64 v82, null, s5, v56, vcc_lo
	s_delay_alu instid0(VALU_DEP_2) | instskip(SKIP_1) | instid1(VALU_DEP_2)
	v_add_co_u32 v81, vcc_lo, v81, v174
	s_wait_alu 0xfffd
	v_add_co_ci_u32_e64 v82, null, 0, v82, vcc_lo
	v_add_co_u32 v83, vcc_lo, s4, v59
	s_wait_alu 0xfffd
	v_add_co_ci_u32_e64 v84, null, s5, v60, vcc_lo
	s_delay_alu instid0(VALU_DEP_2) | instskip(SKIP_1) | instid1(VALU_DEP_2)
	v_add_co_u32 v127, vcc_lo, v83, v174
	s_wait_alu 0xfffd
	v_add_co_ci_u32_e64 v128, null, 0, v84, vcc_lo
	s_clause 0x1
	global_load_b128 v[81:84], v[81:82], off
	global_load_b128 v[127:130], v[127:128], off
	s_wait_loadcnt 0x1
	ds_store_b128 v106, v[81:84]
	s_wait_loadcnt 0x0
	ds_store_b128 v179, v[127:130]
	v_add_co_u32 v81, vcc_lo, s4, v61
	s_wait_alu 0xfffd
	v_add_co_ci_u32_e64 v82, null, s5, v62, vcc_lo
	s_delay_alu instid0(VALU_DEP_2) | instskip(SKIP_1) | instid1(VALU_DEP_2)
	v_add_co_u32 v81, vcc_lo, v81, v174
	s_wait_alu 0xfffd
	v_add_co_ci_u32_e64 v82, null, 0, v82, vcc_lo
	v_add_co_u32 v83, vcc_lo, s4, v63
	s_wait_alu 0xfffd
	v_add_co_ci_u32_e64 v84, null, s5, v64, vcc_lo
	s_delay_alu instid0(VALU_DEP_2) | instskip(SKIP_1) | instid1(VALU_DEP_2)
	v_add_co_u32 v127, vcc_lo, v83, v174
	s_wait_alu 0xfffd
	v_add_co_ci_u32_e64 v128, null, 0, v84, vcc_lo
	s_clause 0x1
	global_load_b128 v[81:84], v[81:82], off
	global_load_b128 v[127:130], v[127:128], off
	s_wait_loadcnt 0x1
	ds_store_b128 v180, v[81:84]
	s_wait_loadcnt 0x0
	ds_store_b128 v181, v[127:130]
	v_add_nc_u32_e32 v81, 0x200, v110
	s_wait_dscnt 0x0
	s_barrier_signal -1
	s_barrier_wait -1
	global_inv scope:SCOPE_SE
	ds_load_2addr_b32 v[81:82], v81 offset0:112 offset1:132
	ds_load_2addr_b32 v[127:128], v110 offset0:208 offset1:224
	ds_load_2addr_b32 v[132:133], v111 offset1:16
	ds_load_2addr_b32 v[135:136], v112 offset1:16
	s_wait_dscnt 0x2
	v_perm_b32 v83, v82, v127, 0x7060302
	v_perm_b32 v129, v82, v127, 0x5040100
	v_add_nc_u32_e32 v82, 0x400, v110
	s_wait_dscnt 0x0
	v_perm_b32 v84, v135, v132, 0x7060302
	v_perm_b32 v130, v135, v132, 0x5040100
	;; [unrolled: 1-line block ×4, first 2 shown]
	ds_load_2addr_b32 v[142:143], v82 offset0:20 offset1:36
	s_wait_dscnt 0x0
	v_perm_b32 v134, v142, v128, 0x7060302
	v_perm_b32 v138, v142, v128, 0x5040100
	ds_load_2addr_b32 v[136:137], v110 offset0:104 offset1:120
	ds_load_2addr_b32 v[127:128], v110 offset0:136 offset1:156
	;; [unrolled: 1-line block ×3, first 2 shown]
	v_perm_b32 v142, v143, v81, 0x7060302
	v_perm_b32 v159, v143, v81, 0x5040100
	v_mov_b32_e32 v143, v227
	s_wait_dscnt 0x1
	v_perm_b32 v82, v128, v136, 0x7060302
	s_wait_dscnt 0x0
	v_perm_b32 v133, v155, v137, 0x7060302
	v_perm_b32 v137, v155, v137, 0x5040100
	;; [unrolled: 1-line block ×4, first 2 shown]
	ds_load_2addr_b32 v[155:156], v110 offset1:16
	ds_load_2addr_b32 v[202:203], v110 offset0:32 offset1:52
	v_perm_b32 v128, v128, v136, 0x5040100
	s_wait_dscnt 0x0
	v_perm_b32 v81, v203, v155, 0x7060302
	v_perm_b32 v127, v203, v155, 0x5040100
	ds_load_2addr_b32 v[203:204], v110 offset0:68 offset1:84
	v_add_f32_e32 v155, 0x40051340, v79
	s_wait_dscnt 0x0
	v_perm_b32 v132, v203, v156, 0x7060302
	v_perm_b32 v136, v203, v156, 0x5040100
	v_add_f32_e32 v156, 0x40051340, v80
	v_add_f32_e32 v160, 0x40051340, v151
	v_perm_b32 v140, v204, v202, 0x7060302
	v_perm_b32 v157, v204, v202, 0x5040100
	s_delay_alu instid0(VALU_DEP_4) | instskip(SKIP_1) | instid1(VALU_DEP_1)
	v_max3_num_f32 v155, v143, v155, v156
	v_add_f32_e32 v156, 0x40051340, v131
	v_max3_num_f32 v155, v155, v156, v160
	v_add_f32_e32 v156, 0x40051340, v126
	v_add_f32_e32 v160, 0x40051340, v152
	s_delay_alu instid0(VALU_DEP_1) | instskip(SKIP_2) | instid1(VALU_DEP_1)
	v_max3_num_f32 v155, v155, v156, v160
	v_add_f32_e32 v156, 0x40051340, v153
	v_add_f32_e32 v160, 0x40051340, v154
	v_max3_num_f32 v155, v155, v156, v160
	ds_bpermute_b32 v156, v231, v155
	s_wait_dscnt 0x0
	v_max_num_f32_e32 v156, v156, v156
	s_delay_alu instid0(VALU_DEP_1) | instskip(NEXT) | instid1(VALU_DEP_1)
	v_max_num_f32_e32 v227, v155, v156
	v_sub_f32_e32 v126, v126, v227
	v_sub_f32_e32 v152, v152, v227
	;; [unrolled: 1-line block ×5, first 2 shown]
	v_dual_mul_f32 v155, 0x3fb8aa3b, v126 :: v_dual_sub_f32 v154, v154, v227
	v_sub_f32_e32 v80, v80, v227
	v_sub_f32_e32 v79, v79, v227
	;; [unrolled: 1-line block ×3, first 2 shown]
	s_delay_alu instid0(VALU_DEP_4) | instskip(SKIP_4) | instid1(VALU_DEP_4)
	v_fma_f32 v156, 0x3fb8aa3b, v126, -v155
	v_rndne_f32_e32 v160, v155
	v_cmp_ngt_f32_e32 vcc_lo, 0xc2ce8ed0, v152
	v_cmp_ngt_f32_e64 s3, 0xc2ce8ed0, v153
	v_cmp_ngt_f32_e64 s4, 0xc2ce8ed0, v154
	v_dual_fmac_f32 v156, 0x32a5705f, v126 :: v_dual_sub_f32 v155, v155, v160
	v_cvt_i32_f32_e32 v160, v160
	v_cmp_ngt_f32_e64 s5, 0xc2ce8ed0, v126
	s_delay_alu instid0(VALU_DEP_3) | instskip(SKIP_1) | instid1(VALU_DEP_2)
	v_add_f32_e32 v155, v155, v156
	v_mul_f32_e32 v156, 0x3fb8aa3b, v152
	v_exp_f32_e32 v155, v155
	s_delay_alu instid0(VALU_DEP_1) | instskip(SKIP_1) | instid1(VALU_DEP_2)
	v_fma_f32 v200, 0x3fb8aa3b, v152, -v156
	v_rndne_f32_e32 v201, v156
	v_fmac_f32_e32 v200, 0x32a5705f, v152
	s_delay_alu instid0(VALU_DEP_2) | instskip(NEXT) | instid1(TRANS32_DEP_1)
	v_sub_f32_e32 v156, v156, v201
	v_ldexp_f32 v155, v155, v160
	s_delay_alu instid0(VALU_DEP_2) | instskip(SKIP_1) | instid1(VALU_DEP_2)
	v_add_f32_e32 v156, v156, v200
	v_mul_f32_e32 v200, 0x3fb8aa3b, v153
	v_exp_f32_e32 v156, v156
	s_delay_alu instid0(VALU_DEP_1) | instskip(SKIP_1) | instid1(VALU_DEP_2)
	v_fma_f32 v202, 0x3fb8aa3b, v153, -v200
	v_rndne_f32_e32 v203, v200
	v_fmac_f32_e32 v202, 0x32a5705f, v153
	s_delay_alu instid0(VALU_DEP_2) | instskip(SKIP_1) | instid1(VALU_DEP_2)
	v_sub_f32_e32 v200, v200, v203
	v_cvt_i32_f32_e32 v160, v203
	v_add_f32_e32 v200, v200, v202
	v_mul_f32_e32 v202, 0x3fb8aa3b, v154
	s_delay_alu instid0(VALU_DEP_2) | instskip(NEXT) | instid1(VALU_DEP_1)
	v_exp_f32_e32 v200, v200
	v_fma_f32 v204, 0x3fb8aa3b, v154, -v202
	v_rndne_f32_e32 v205, v202
	s_delay_alu instid0(VALU_DEP_2) | instskip(NEXT) | instid1(VALU_DEP_2)
	v_fmac_f32_e32 v204, 0x32a5705f, v154
	v_sub_f32_e32 v202, v202, v205
	s_delay_alu instid0(TRANS32_DEP_1) | instskip(SKIP_1) | instid1(VALU_DEP_3)
	v_ldexp_f32 v160, v200, v160
	v_cvt_i32_f32_e32 v200, v201
	v_add_f32_e32 v202, v202, v204
	s_delay_alu instid0(VALU_DEP_2) | instskip(NEXT) | instid1(VALU_DEP_2)
	v_ldexp_f32 v156, v156, v200
	v_exp_f32_e32 v201, v202
	v_cvt_i32_f32_e32 v200, v205
	s_wait_alu 0xfffd
	s_delay_alu instid0(VALU_DEP_2) | instskip(SKIP_4) | instid1(TRANS32_DEP_1)
	v_cndmask_b32_e32 v156, 0, v156, vcc_lo
	v_cmp_nlt_f32_e32 vcc_lo, 0x42b17218, v152
	s_wait_alu 0xf1ff
	v_cndmask_b32_e64 v152, 0, v160, s3
	v_cmp_nlt_f32_e64 s3, 0x42b17218, v153
	v_ldexp_f32 v200, v201, v200
	s_wait_alu 0xf1ff
	s_delay_alu instid0(VALU_DEP_2) | instskip(SKIP_1) | instid1(VALU_DEP_3)
	v_cndmask_b32_e64 v152, 0x7f800000, v152, s3
	v_cmp_ngt_f32_e64 s3, 0xc2ce8ed0, v131
	v_cndmask_b32_e64 v153, 0, v200, s4
	v_cmp_nlt_f32_e64 s4, 0x42b17218, v154
	v_cndmask_b32_e64 v154, 0, v155, s5
	v_cmp_nlt_f32_e64 s5, 0x42b17218, v126
	s_wait_alu 0xf1ff
	s_delay_alu instid0(VALU_DEP_3) | instskip(NEXT) | instid1(VALU_DEP_2)
	v_cndmask_b32_e64 v153, 0x7f800000, v153, s4
	v_cndmask_b32_e64 v126, 0x7f800000, v154, s5
	s_wait_alu 0xfffd
	v_cndmask_b32_e32 v154, 0x7f800000, v156, vcc_lo
	v_cvt_f16_f32_e64 v156, v152
	v_cvt_f16_f32_e64 v160, v153
	v_cmp_ngt_f32_e32 vcc_lo, 0xc2ce8ed0, v151
	v_cvt_f16_f32_e64 v155, v126
	v_cvt_f16_f32_e64 v200, v154
	s_delay_alu instid0(VALU_DEP_4) | instskip(NEXT) | instid1(VALU_DEP_2)
	v_perm_b32 v205, v160, v156, 0x5040100
	v_perm_b32 v204, v200, v155, 0x5040100
	v_mul_f32_e32 v155, 0x3fb8aa3b, v151
	s_delay_alu instid0(VALU_DEP_1) | instskip(SKIP_1) | instid1(VALU_DEP_1)
	v_fma_f32 v156, 0x3fb8aa3b, v151, -v155
	v_rndne_f32_e32 v160, v155
	v_dual_fmac_f32 v156, 0x32a5705f, v151 :: v_dual_sub_f32 v155, v155, v160
	v_cvt_i32_f32_e32 v160, v160
	s_delay_alu instid0(VALU_DEP_2) | instskip(NEXT) | instid1(VALU_DEP_1)
	v_dual_add_f32 v155, v155, v156 :: v_dual_mul_f32 v156, 0x3fb8aa3b, v131
	v_exp_f32_e32 v155, v155
	s_delay_alu instid0(VALU_DEP_1) | instskip(SKIP_1) | instid1(VALU_DEP_2)
	v_fma_f32 v200, 0x3fb8aa3b, v131, -v156
	v_rndne_f32_e32 v201, v156
	v_fmac_f32_e32 v200, 0x32a5705f, v131
	s_delay_alu instid0(VALU_DEP_2) | instskip(NEXT) | instid1(TRANS32_DEP_1)
	v_sub_f32_e32 v156, v156, v201
	v_ldexp_f32 v155, v155, v160
	v_cvt_i32_f32_e32 v160, v201
	s_wait_alu 0xfffd
	s_delay_alu instid0(VALU_DEP_2) | instskip(SKIP_1) | instid1(VALU_DEP_2)
	v_dual_add_f32 v156, v156, v200 :: v_dual_cndmask_b32 v155, 0, v155
	v_cmp_nlt_f32_e32 vcc_lo, 0x42b17218, v151
	v_exp_f32_e32 v156, v156
	s_delay_alu instid0(TRANS32_DEP_1) | instskip(NEXT) | instid1(VALU_DEP_1)
	v_ldexp_f32 v156, v156, v160
	v_cndmask_b32_e64 v151, 0, v156, s3
	v_cmp_nlt_f32_e64 s3, 0x42b17218, v131
	s_wait_alu 0xf1ff
	s_delay_alu instid0(VALU_DEP_1)
	v_cndmask_b32_e64 v131, 0x7f800000, v151, s3
	s_wait_alu 0xfffd
	v_cndmask_b32_e32 v151, 0x7f800000, v155, vcc_lo
	v_cmp_ngt_f32_e32 vcc_lo, 0xc2ce8ed0, v80
	v_cmp_ngt_f32_e64 s3, 0xc2ce8ed0, v79
	v_cvt_f16_f32_e64 v155, v131
	s_delay_alu instid0(VALU_DEP_4) | instskip(NEXT) | instid1(VALU_DEP_1)
	v_cvt_f16_f32_e64 v156, v151
	v_perm_b32 v203, v156, v155, 0x5040100
	v_mul_f32_e32 v155, 0x3fb8aa3b, v80
	s_delay_alu instid0(VALU_DEP_1) | instskip(SKIP_1) | instid1(VALU_DEP_2)
	v_fma_f32 v156, 0x3fb8aa3b, v80, -v155
	v_rndne_f32_e32 v160, v155
	v_fmac_f32_e32 v156, 0x32a5705f, v80
	s_delay_alu instid0(VALU_DEP_2) | instskip(SKIP_1) | instid1(VALU_DEP_2)
	v_sub_f32_e32 v155, v155, v160
	v_cvt_i32_f32_e32 v160, v160
	v_dual_add_f32 v155, v155, v156 :: v_dual_mul_f32 v156, 0x3fb8aa3b, v79
	s_delay_alu instid0(VALU_DEP_1) | instskip(NEXT) | instid1(VALU_DEP_1)
	v_exp_f32_e32 v155, v155
	v_fma_f32 v200, 0x3fb8aa3b, v79, -v156
	v_rndne_f32_e32 v201, v156
	s_delay_alu instid0(VALU_DEP_2) | instskip(NEXT) | instid1(VALU_DEP_2)
	v_fmac_f32_e32 v200, 0x32a5705f, v79
	v_sub_f32_e32 v156, v156, v201
	s_delay_alu instid0(TRANS32_DEP_1) | instskip(SKIP_2) | instid1(VALU_DEP_2)
	v_ldexp_f32 v155, v155, v160
	v_cvt_i32_f32_e32 v160, v201
	s_wait_alu 0xfffd
	v_dual_add_f32 v156, v156, v200 :: v_dual_cndmask_b32 v155, 0, v155
	v_cmp_nlt_f32_e32 vcc_lo, 0x42b17218, v80
	s_delay_alu instid0(VALU_DEP_2) | instskip(NEXT) | instid1(TRANS32_DEP_1)
	v_exp_f32_e32 v156, v156
	v_ldexp_f32 v156, v156, v160
	s_wait_alu 0xf1ff
	s_delay_alu instid0(VALU_DEP_1) | instskip(SKIP_2) | instid1(VALU_DEP_1)
	v_cndmask_b32_e64 v80, 0, v156, s3
	v_cmp_nlt_f32_e64 s3, 0x42b17218, v79
	s_wait_alu 0xf1ff
	v_cndmask_b32_e64 v79, 0x7f800000, v80, s3
	s_wait_alu 0xfffd
	v_cndmask_b32_e32 v80, 0x7f800000, v155, vcc_lo
	v_cmp_ngt_f32_e32 vcc_lo, 0xc2ce8ed0, v143
	s_delay_alu instid0(VALU_DEP_3) | instskip(NEXT) | instid1(VALU_DEP_3)
	v_cvt_f16_f32_e64 v155, v79
	v_cvt_f16_f32_e64 v156, v80
	v_dual_add_f32 v79, v79, v80 :: v_dual_mov_b32 v80, v226
	s_delay_alu instid0(VALU_DEP_2) | instskip(SKIP_1) | instid1(VALU_DEP_3)
	v_perm_b32 v202, v156, v155, 0x5040100
	v_mul_f32_e32 v155, 0x3fb8aa3b, v143
	v_add_f32_e32 v79, v131, v79
	s_delay_alu instid0(VALU_DEP_2) | instskip(SKIP_1) | instid1(VALU_DEP_3)
	v_fma_f32 v156, 0x3fb8aa3b, v143, -v155
	v_rndne_f32_e32 v160, v155
	v_add_f32_e32 v79, v151, v79
	s_delay_alu instid0(VALU_DEP_2) | instskip(NEXT) | instid1(VALU_DEP_2)
	v_dual_fmac_f32 v156, 0x32a5705f, v143 :: v_dual_sub_f32 v155, v155, v160
	v_add_f32_e32 v79, v126, v79
	s_delay_alu instid0(VALU_DEP_2) | instskip(SKIP_1) | instid1(VALU_DEP_3)
	v_add_f32_e32 v155, v155, v156
	v_cvt_i32_f32_e32 v156, v160
	v_add_f32_e32 v79, v154, v79
	s_delay_alu instid0(VALU_DEP_3) | instskip(NEXT) | instid1(VALU_DEP_1)
	v_exp_f32_e32 v155, v155
	v_add_f32_e32 v79, v152, v79
	s_delay_alu instid0(VALU_DEP_1) | instskip(NEXT) | instid1(TRANS32_DEP_1)
	v_add_f32_e32 v226, v153, v79
	v_ldexp_f32 v155, v155, v156
	s_wait_alu 0xfffd
	s_delay_alu instid0(VALU_DEP_1) | instskip(SKIP_2) | instid1(VALU_DEP_2)
	v_cndmask_b32_e32 v155, 0, v155, vcc_lo
	v_cmp_nlt_f32_e32 vcc_lo, 0x42b17218, v143
	s_wait_alu 0xfffd
	v_cndmask_b32_e32 v155, 0x7f800000, v155, vcc_lo
	v_cmp_le_f32_e32 vcc_lo, 0xc1a00000, v143
	s_wait_alu 0xfffd
	s_delay_alu instid0(VALU_DEP_2) | instskip(NEXT) | instid1(VALU_DEP_1)
	v_cndmask_b32_e32 v155, 0, v155, vcc_lo
	v_cvt_f16_f32_e64 v143, v155
	v_fmac_f32_e32 v226, v80, v155
	s_delay_alu instid0(VALU_DEP_2) | instskip(NEXT) | instid1(VALU_DEP_1)
	v_and_b32_e32 v143, 0xffff, v143
	v_mul_u32_u24_e32 v156, 0x10001, v143
	s_delay_alu instid0(VALU_DEP_1)
	v_pk_mul_f16 v16, v16, v156
	v_pk_mul_f16 v17, v17, v156
	;; [unrolled: 1-line block ×8, first 2 shown]
	v_wmma_f16_16x16x16_f16 v[16:19], v[81:84], v[202:205], v[16:19]
	ds_load_b32 v81, v111 offset:128
	ds_load_b32 v82, v112 offset:128
	v_pk_mul_f16 v8, v8, v156
	v_pk_mul_f16 v9, v9, v156
	;; [unrolled: 1-line block ×16, first 2 shown]
	v_wmma_f16_16x16x16_f16 v[20:23], v[127:130], v[202:205], v[20:23]
	v_wmma_f16_16x16x16_f16 v[8:11], v[136:139], v[202:205], v[8:11]
	;; [unrolled: 1-line block ×3, first 2 shown]
	s_wait_dscnt 0x0
	v_perm_b32 v160, v82, v81, 0x5040100
	v_perm_b32 v143, v82, v81, 0x7060302
	s_wait_loadcnt 0x0
	s_barrier_signal -1
	s_barrier_wait -1
	v_wmma_f16_16x16x16_f16 v[4:7], v[157:160], v[202:205], v[4:7]
	v_wmma_f16_16x16x16_f16 v[0:3], v[140:143], v[202:205], v[0:3]
	global_inv scope:SCOPE_SE
	s_cbranch_scc1 .LBB14_67
	s_branch .LBB14_70
.LBB14_68:                              ;   in Loop: Header=BB14_12 Depth=1
	s_cbranch_execz .LBB14_11
	s_branch .LBB14_196
.LBB14_69:                              ;   in Loop: Header=BB14_12 Depth=1
	v_dual_mov_b32 v3, 0 :: v_dual_mov_b32 v226, 0
	v_mov_b32_e32 v7, 0
	s_delay_alu instid0(VALU_DEP_2) | instskip(SKIP_1) | instid1(VALU_DEP_3)
	v_dual_mov_b32 v227, 0xfeffffff :: v_dual_mov_b32 v2, v3
	v_dual_mov_b32 v0, v3 :: v_dual_mov_b32 v1, v3
	;; [unrolled: 1-line block ×11, first 2 shown]
	v_mov_b32_e32 v12, v3
.LBB14_70:                              ;   in Loop: Header=BB14_12 Depth=1
	s_lshl_b32 s4, s96, 5
	v_lshlrev_b32_e32 v79, 1, v105
	s_wait_alu 0xfffe
	s_ashr_i32 s5, s4, 31
	v_lshlrev_b64_e32 v[81:82], 1, v[89:90]
	s_wait_alu 0xfffe
	s_lshl_b64 s[94:95], s[4:5], 1
	v_lshlrev_b64_e32 v[83:84], 1, v[87:88]
	s_wait_alu 0xfffe
	s_add_nc_u64 s[94:95], s[80:81], s[94:95]
	s_wait_alu 0xfffe
	v_add_co_u32 v79, s3, s94, v79
	s_wait_alu 0xf1ff
	v_add_co_ci_u32_e64 v80, null, s95, 0, s3
	s_mul_u64 s[94:95], s[26:27], s[4:5]
	v_add_co_u32 v81, vcc_lo, v79, v81
	s_wait_alu 0xfffd
	v_add_co_ci_u32_e64 v82, null, v80, v82, vcc_lo
	v_add_co_u32 v83, vcc_lo, v79, v83
	s_wait_alu 0xfffd
	v_add_co_ci_u32_e64 v84, null, v80, v84, vcc_lo
	s_clause 0x1
	global_load_b32 v79, v[81:82], off
	global_load_b32 v80, v[83:84], off
	v_add_nc_u32_e32 v81, v178, v176
	s_wait_alu 0xfffe
	s_lshl_b64 s[94:95], s[94:95], 2
	s_mul_u64 s[4:5], s[36:37], s[4:5]
	s_wait_alu 0xfffe
	s_add_nc_u64 s[94:95], s[78:79], s[94:95]
	s_lshl_b64 s[4:5], s[4:5], 2
	v_add_nc_u32_e32 v81, 0x1800, v81
	s_wait_alu 0xfffe
	s_add_nc_u64 s[4:5], s[76:77], s[4:5]
	s_cmp_eq_u64 s[74:75], 0
	s_wait_loadcnt 0x0
	ds_store_2addr_b32 v81, v79, v80 offset0:128 offset1:208
	v_add_co_u32 v79, vcc_lo, s94, v57
	s_wait_alu 0xfffd
	v_add_co_ci_u32_e64 v80, null, s95, v58, vcc_lo
	s_delay_alu instid0(VALU_DEP_2) | instskip(SKIP_1) | instid1(VALU_DEP_2)
	v_add_co_u32 v81, vcc_lo, v79, v173
	s_wait_alu 0xfffd
	v_add_co_ci_u32_e64 v82, null, 0, v80, vcc_lo
	v_add_co_u32 v79, vcc_lo, s94, v65
	s_wait_alu 0xfffd
	v_add_co_ci_u32_e64 v80, null, s95, v66, vcc_lo
	s_delay_alu instid0(VALU_DEP_2) | instskip(SKIP_1) | instid1(VALU_DEP_2)
	v_add_co_u32 v87, vcc_lo, v79, v173
	s_wait_alu 0xfffd
	v_add_co_ci_u32_e64 v88, null, 0, v80, vcc_lo
	s_clause 0x1
	global_load_b128 v[81:84], v[81:82], off offset:128
	global_load_b128 v[87:90], v[87:88], off offset:128
	v_add_co_u32 v79, vcc_lo, s94, v67
	s_wait_alu 0xfffd
	v_add_co_ci_u32_e64 v80, null, s95, v68, vcc_lo
	s_wait_loadcnt 0x1
	ds_store_b128 v114, v[81:84]
	s_wait_loadcnt 0x0
	ds_store_b128 v115, v[87:90]
	v_add_co_u32 v81, vcc_lo, v79, v174
	s_wait_alu 0xfffd
	v_add_co_ci_u32_e64 v82, null, 0, v80, vcc_lo
	v_add_co_u32 v79, vcc_lo, s94, v69
	s_wait_alu 0xfffd
	v_add_co_ci_u32_e64 v80, null, s95, v70, vcc_lo
	s_delay_alu instid0(VALU_DEP_2) | instskip(SKIP_1) | instid1(VALU_DEP_2)
	v_add_co_u32 v87, vcc_lo, v79, v174
	s_wait_alu 0xfffd
	v_add_co_ci_u32_e64 v88, null, 0, v80, vcc_lo
	s_clause 0x1
	global_load_b128 v[81:84], v[81:82], off
	global_load_b128 v[87:90], v[87:88], off
	v_add_co_u32 v79, vcc_lo, s94, v71
	s_wait_alu 0xfffd
	v_add_co_ci_u32_e64 v80, null, s95, v72, vcc_lo
	s_wait_loadcnt 0x1
	ds_store_b128 v106, v[81:84]
	s_wait_loadcnt 0x0
	ds_store_b128 v179, v[87:90]
	v_add_co_u32 v81, vcc_lo, v79, v174
	s_wait_alu 0xfffd
	v_add_co_ci_u32_e64 v82, null, 0, v80, vcc_lo
	v_add_co_u32 v79, vcc_lo, s94, v73
	s_wait_alu 0xfffd
	v_add_co_ci_u32_e64 v80, null, s95, v74, vcc_lo
	s_delay_alu instid0(VALU_DEP_2) | instskip(SKIP_1) | instid1(VALU_DEP_2)
	v_add_co_u32 v87, vcc_lo, v79, v174
	s_wait_alu 0xfffd
	v_add_co_ci_u32_e64 v88, null, 0, v80, vcc_lo
	s_clause 0x1
	global_load_b128 v[81:84], v[81:82], off
	global_load_b128 v[87:90], v[87:88], off
	v_cmp_lt_i32_e32 vcc_lo, v228, v229
	s_wait_loadcnt 0x1
	ds_store_b128 v180, v[81:84]
	s_wait_loadcnt 0x0
	ds_store_b128 v181, v[87:90]
	s_wait_dscnt 0x0
	s_barrier_signal -1
	s_barrier_wait -1
	global_inv scope:SCOPE_SE
	ds_load_b128 v[81:84], v107
	ds_load_b128 v[87:90], v107 offset:32
	s_wait_dscnt 0x1
	v_wmma_f32_16x16x16_f16 v[136:143], v[81:84], v[44:47], 0
	s_wait_dscnt 0x0
	s_delay_alu instid0(VALU_DEP_1)
	v_wmma_f32_16x16x16_f16 v[136:143], v[87:90], v[40:43], v[136:143]
	ds_load_b128 v[40:43], v107 offset:64
	ds_load_b128 v[44:47], v107 offset:96
	s_wait_dscnt 0x1
	v_wmma_f32_16x16x16_f16 v[136:143], v[40:43], v[32:35], v[136:143]
	s_wait_dscnt 0x0
	s_delay_alu instid0(VALU_DEP_1)
	v_wmma_f32_16x16x16_f16 v[136:143], v[44:47], v[36:39], v[136:143]
	ds_load_b128 v[32:35], v107 offset:128
	ds_load_b128 v[36:39], v107 offset:160
	s_wait_loadcnt_dscnt 0x0
	s_barrier_signal -1
	s_barrier_wait -1
	global_inv scope:SCOPE_SE
	v_wmma_f32_16x16x16_f16 v[136:143], v[32:35], v[28:31], v[136:143]
	s_delay_alu instid0(VALU_DEP_1)
	v_wmma_f32_16x16x16_f16 v[136:143], v[36:39], v[24:27], v[136:143]
	v_add_nc_u32_e32 v24, 0x1a00, v108
	v_add_nc_u32_e32 v26, 0x1a08, v108
	ds_load_2addr_b32 v[24:25], v24 offset1:1
	ds_load_2addr_b32 v[26:27], v26 offset1:1
	s_wait_dscnt 0x1
	v_cvt_f32_f16_e32 v28, v24
	v_lshrrev_b32_e32 v24, 16, v24
	v_cvt_f32_f16_e32 v29, v25
	v_lshrrev_b32_e32 v25, 16, v25
	s_wait_dscnt 0x0
	v_cvt_f32_f16_e32 v30, v26
	v_lshrrev_b32_e32 v26, 16, v26
	v_cvt_f32_f16_e32 v24, v24
	v_lshrrev_b32_e32 v31, 16, v27
	v_cvt_f32_f16_e32 v32, v27
	v_cvt_f32_f16_e32 v33, v25
	;; [unrolled: 1-line block ×3, first 2 shown]
	v_dual_add_f32 v25, v136, v28 :: v_dual_add_f32 v28, v138, v29
	v_add_f32_e32 v27, v137, v24
	s_delay_alu instid0(VALU_DEP_3) | instskip(NEXT) | instid1(VALU_DEP_3)
	v_dual_add_f32 v29, v139, v33 :: v_dual_add_f32 v80, v141, v26
	v_add_f32_e32 v24, 0x40051340, v25
	v_cvt_f32_f16_e32 v31, v31
	s_delay_alu instid0(VALU_DEP_4) | instskip(NEXT) | instid1(VALU_DEP_4)
	v_dual_add_f32 v26, 0x40051340, v27 :: v_dual_add_f32 v79, v140, v30
	v_add_f32_e32 v30, 0x40051340, v29
	v_add_f32_e32 v90, v142, v32
	s_delay_alu instid0(VALU_DEP_4) | instskip(NEXT) | instid1(VALU_DEP_4)
	v_add_f32_e32 v126, v143, v31
	v_max3_num_f32 v24, v227, v24, v26
	v_add_f32_e32 v26, 0x40051340, v28
	s_delay_alu instid0(VALU_DEP_1) | instskip(SKIP_2) | instid1(VALU_DEP_1)
	v_max3_num_f32 v24, v24, v26, v30
	v_add_f32_e32 v26, 0x40051340, v79
	v_add_f32_e32 v30, 0x40051340, v80
	v_max3_num_f32 v24, v24, v26, v30
	v_add_f32_e32 v26, 0x40051340, v90
	v_add_f32_e32 v30, 0x40051340, v126
	s_delay_alu instid0(VALU_DEP_1) | instskip(SKIP_2) | instid1(VALU_DEP_1)
	v_max3_num_f32 v24, v24, v26, v30
	s_wait_alu 0xfffd
	v_cndmask_b32_e32 v26, v224, v228, vcc_lo
	v_lshlrev_b32_e32 v26, 2, v26
	ds_bpermute_b32 v30, v26, v24
	s_wait_dscnt 0x0
	v_max_num_f32_e32 v30, v30, v30
	s_delay_alu instid0(VALU_DEP_1) | instskip(NEXT) | instid1(VALU_DEP_1)
	v_max_num_f32_e32 v24, v24, v30
	v_sub_f32_e32 v30, v227, v24
	s_delay_alu instid0(VALU_DEP_1) | instskip(SKIP_1) | instid1(VALU_DEP_2)
	v_dual_sub_f32 v90, v90, v24 :: v_dual_mul_f32 v31, 0x3fb8aa3b, v30
	v_cmp_ngt_f32_e32 vcc_lo, 0xc2ce8ed0, v30
	v_fma_f32 v32, 0x3fb8aa3b, v30, -v31
	v_rndne_f32_e32 v33, v31
	s_delay_alu instid0(VALU_DEP_1) | instskip(NEXT) | instid1(VALU_DEP_1)
	v_dual_fmac_f32 v32, 0x32a5705f, v30 :: v_dual_sub_f32 v31, v31, v33
	v_add_f32_e32 v31, v31, v32
	v_cvt_i32_f32_e32 v32, v33
	s_delay_alu instid0(VALU_DEP_2) | instskip(NEXT) | instid1(TRANS32_DEP_1)
	v_exp_f32_e32 v31, v31
	v_ldexp_f32 v31, v31, v32
	s_wait_alu 0xfffd
	s_delay_alu instid0(VALU_DEP_1) | instskip(SKIP_2) | instid1(VALU_DEP_2)
	v_cndmask_b32_e32 v31, 0, v31, vcc_lo
	v_cmp_nlt_f32_e32 vcc_lo, 0x42b17218, v30
	s_wait_alu 0xfffd
	v_cndmask_b32_e32 v31, 0x7f800000, v31, vcc_lo
	v_cmp_le_f32_e32 vcc_lo, 0xc1a00000, v30
	s_wait_alu 0xfffd
	s_delay_alu instid0(VALU_DEP_2) | instskip(NEXT) | instid1(VALU_DEP_1)
	v_cndmask_b32_e32 v131, 0, v31, vcc_lo
	v_cvt_f16_f32_e64 v30, v131
	s_delay_alu instid0(VALU_DEP_1) | instskip(NEXT) | instid1(VALU_DEP_1)
	v_and_b32_e32 v30, 0xffff, v30
	v_mul_u32_u24_e32 v30, 0x10001, v30
	s_delay_alu instid0(VALU_DEP_1)
	v_pk_mul_f16 v20, v20, v30
	v_pk_mul_f16 v21, v21, v30
	;; [unrolled: 1-line block ×24, first 2 shown]
	s_wait_alu 0xfffe
	v_add_co_u32 v30, vcc_lo, s4, v50
	s_wait_alu 0xfffd
	v_add_co_ci_u32_e64 v31, null, s5, v51, vcc_lo
	s_delay_alu instid0(VALU_DEP_2) | instskip(SKIP_1) | instid1(VALU_DEP_2)
	v_add_co_u32 v30, vcc_lo, v30, v173
	s_wait_alu 0xfffd
	v_add_co_ci_u32_e64 v31, null, 0, v31, vcc_lo
	v_add_co_u32 v32, vcc_lo, s4, v53
	s_wait_alu 0xfffd
	v_add_co_ci_u32_e64 v33, null, s5, v54, vcc_lo
	s_delay_alu instid0(VALU_DEP_2) | instskip(SKIP_1) | instid1(VALU_DEP_2)
	v_add_co_u32 v34, vcc_lo, v32, v173
	s_wait_alu 0xfffd
	v_add_co_ci_u32_e64 v35, null, 0, v33, vcc_lo
	s_clause 0x1
	global_load_b128 v[30:33], v[30:31], off offset:128
	global_load_b128 v[34:37], v[34:35], off offset:128
	s_wait_loadcnt 0x1
	ds_store_b128 v114, v[30:33]
	s_wait_loadcnt 0x0
	ds_store_b128 v115, v[34:37]
	v_add_co_u32 v30, vcc_lo, s4, v55
	s_wait_alu 0xfffd
	v_add_co_ci_u32_e64 v31, null, s5, v56, vcc_lo
	s_delay_alu instid0(VALU_DEP_2) | instskip(SKIP_1) | instid1(VALU_DEP_2)
	v_add_co_u32 v30, vcc_lo, v30, v174
	s_wait_alu 0xfffd
	v_add_co_ci_u32_e64 v31, null, 0, v31, vcc_lo
	v_add_co_u32 v32, vcc_lo, s4, v59
	s_wait_alu 0xfffd
	v_add_co_ci_u32_e64 v33, null, s5, v60, vcc_lo
	s_delay_alu instid0(VALU_DEP_2) | instskip(SKIP_1) | instid1(VALU_DEP_2)
	v_add_co_u32 v34, vcc_lo, v32, v174
	s_wait_alu 0xfffd
	v_add_co_ci_u32_e64 v35, null, 0, v33, vcc_lo
	s_clause 0x1
	global_load_b128 v[30:33], v[30:31], off
	global_load_b128 v[34:37], v[34:35], off
	s_wait_loadcnt 0x1
	ds_store_b128 v106, v[30:33]
	s_wait_loadcnt 0x0
	ds_store_b128 v179, v[34:37]
	v_add_co_u32 v30, vcc_lo, s4, v61
	s_wait_alu 0xfffd
	v_add_co_ci_u32_e64 v31, null, s5, v62, vcc_lo
	s_delay_alu instid0(VALU_DEP_2) | instskip(SKIP_1) | instid1(VALU_DEP_2)
	v_add_co_u32 v30, vcc_lo, v30, v174
	s_wait_alu 0xfffd
	v_add_co_ci_u32_e64 v31, null, 0, v31, vcc_lo
	v_add_co_u32 v32, vcc_lo, s4, v63
	s_wait_alu 0xfffd
	v_add_co_ci_u32_e64 v33, null, s5, v64, vcc_lo
	s_delay_alu instid0(VALU_DEP_2) | instskip(SKIP_1) | instid1(VALU_DEP_2)
	v_add_co_u32 v34, vcc_lo, v32, v174
	s_wait_alu 0xfffd
	v_add_co_ci_u32_e64 v35, null, 0, v33, vcc_lo
	s_clause 0x1
	global_load_b128 v[30:33], v[30:31], off
	global_load_b128 v[34:37], v[34:35], off
	s_wait_loadcnt 0x1
	ds_store_b128 v180, v[30:33]
	s_wait_loadcnt 0x0
	ds_store_b128 v181, v[34:37]
	v_add_nc_u32_e32 v30, 0x200, v110
	s_wait_dscnt 0x0
	s_barrier_signal -1
	s_barrier_wait -1
	global_inv scope:SCOPE_SE
	ds_load_2addr_b32 v[30:31], v30 offset0:112 offset1:132
	ds_load_2addr_b32 v[34:35], v110 offset0:208 offset1:224
	ds_load_2addr_b32 v[37:38], v111 offset1:16
	ds_load_2addr_b32 v[41:42], v112 offset1:16
	s_wait_dscnt 0x2
	v_perm_b32 v32, v31, v34, 0x7060302
	v_perm_b32 v36, v31, v34, 0x5040100
	v_add_nc_u32_e32 v31, 0x400, v110
	s_wait_dscnt 0x0
	v_perm_b32 v33, v41, v37, 0x7060302
	v_perm_b32 v37, v41, v37, 0x5040100
	;; [unrolled: 1-line block ×4, first 2 shown]
	ds_load_2addr_b32 v[46:47], v31 offset0:20 offset1:36
	s_wait_dscnt 0x0
	v_perm_b32 v40, v46, v35, 0x7060302
	v_perm_b32 v44, v46, v35, 0x5040100
	ds_load_2addr_b32 v[42:43], v110 offset0:104 offset1:120
	ds_load_2addr_b32 v[34:35], v110 offset0:136 offset1:156
	;; [unrolled: 1-line block ×3, first 2 shown]
	v_perm_b32 v89, v47, v30, 0x5040100
	s_wait_dscnt 0x1
	v_perm_b32 v31, v35, v42, 0x7060302
	s_wait_dscnt 0x0
	v_perm_b32 v39, v83, v43, 0x7060302
	v_perm_b32 v43, v83, v43, 0x5040100
	;; [unrolled: 1-line block ×3, first 2 shown]
	ds_load_2addr_b32 v[46:47], v110 offset1:16
	ds_load_2addr_b32 v[127:128], v110 offset0:32 offset1:52
	v_perm_b32 v82, v84, v34, 0x7060302
	v_perm_b32 v88, v84, v34, 0x5040100
	;; [unrolled: 1-line block ×3, first 2 shown]
	s_wait_dscnt 0x0
	v_perm_b32 v30, v128, v46, 0x7060302
	v_perm_b32 v34, v128, v46, 0x5040100
	ds_load_2addr_b32 v[128:129], v110 offset0:68 offset1:84
	v_sub_f32_e32 v46, v79, v24
	s_wait_dscnt 0x0
	v_perm_b32 v38, v128, v47, 0x7060302
	v_perm_b32 v42, v128, v47, 0x5040100
	s_delay_alu instid0(VALU_DEP_3) | instskip(SKIP_2) | instid1(VALU_DEP_3)
	v_mul_f32_e32 v47, 0x3fb8aa3b, v46
	v_perm_b32 v81, v129, v127, 0x7060302
	v_perm_b32 v87, v129, v127, 0x5040100
	v_fma_f32 v79, 0x3fb8aa3b, v46, -v47
	v_rndne_f32_e32 v84, v47
	s_delay_alu instid0(VALU_DEP_2) | instskip(NEXT) | instid1(VALU_DEP_2)
	v_fmac_f32_e32 v79, 0x32a5705f, v46
	v_sub_f32_e32 v47, v47, v84
	v_cvt_i32_f32_e32 v84, v84
	s_delay_alu instid0(VALU_DEP_2) | instskip(SKIP_1) | instid1(VALU_DEP_2)
	v_add_f32_e32 v47, v47, v79
	v_sub_f32_e32 v79, v80, v24
	v_exp_f32_e32 v47, v47
	s_delay_alu instid0(VALU_DEP_1) | instskip(SKIP_1) | instid1(VALU_DEP_2)
	v_mul_f32_e32 v80, 0x3fb8aa3b, v79
	v_cmp_ngt_f32_e32 vcc_lo, 0xc2ce8ed0, v79
	v_fma_f32 v127, 0x3fb8aa3b, v79, -v80
	v_rndne_f32_e32 v128, v80
	s_delay_alu instid0(TRANS32_DEP_1) | instskip(NEXT) | instid1(VALU_DEP_2)
	v_ldexp_f32 v47, v47, v84
	v_dual_fmac_f32 v127, 0x32a5705f, v79 :: v_dual_sub_f32 v80, v80, v128
	v_cvt_i32_f32_e32 v84, v128
	s_delay_alu instid0(VALU_DEP_2) | instskip(SKIP_1) | instid1(VALU_DEP_2)
	v_dual_add_f32 v80, v80, v127 :: v_dual_mul_f32 v127, 0x3fb8aa3b, v90
	v_cmp_ngt_f32_e64 s5, 0xc2ce8ed0, v46
	v_fma_f32 v129, 0x3fb8aa3b, v90, -v127
	v_rndne_f32_e32 v130, v127
	s_wait_alu 0xf1ff
	s_delay_alu instid0(VALU_DEP_3) | instskip(SKIP_1) | instid1(VALU_DEP_3)
	v_cndmask_b32_e64 v47, 0, v47, s5
	v_cmp_nlt_f32_e64 s5, 0x42b17218, v46
	v_sub_f32_e32 v127, v127, v130
	v_fmac_f32_e32 v129, 0x32a5705f, v90
	v_exp_f32_e32 v80, v80
	v_cmp_ngt_f32_e64 s3, 0xc2ce8ed0, v90
	s_wait_alu 0xf1ff
	v_cndmask_b32_e64 v46, 0x7f800000, v47, s5
	v_add_f32_e32 v127, v127, v129
	v_sub_f32_e32 v25, v25, v24
	v_sub_f32_e32 v126, v126, v24
	;; [unrolled: 1-line block ×4, first 2 shown]
	s_delay_alu instid0(TRANS32_DEP_1)
	v_ldexp_f32 v80, v80, v84
	v_exp_f32_e32 v84, v127
	v_cvt_i32_f32_e32 v127, v130
	v_mul_f32_e32 v129, 0x3fb8aa3b, v126
	v_cmp_ngt_f32_e64 s4, 0xc2ce8ed0, v126
	s_wait_alu 0xfffd
	v_cndmask_b32_e32 v80, 0, v80, vcc_lo
	v_cmp_nlt_f32_e32 vcc_lo, 0x42b17218, v79
	v_fma_f32 v132, 0x3fb8aa3b, v126, -v129
	v_rndne_f32_e32 v133, v129
	s_delay_alu instid0(TRANS32_DEP_1)
	v_ldexp_f32 v84, v84, v127
	s_wait_alu 0xfffd
	v_cndmask_b32_e32 v80, 0x7f800000, v80, vcc_lo
	v_cmp_ngt_f32_e32 vcc_lo, 0xc2ce8ed0, v29
	v_sub_f32_e32 v129, v129, v133
	v_cvt_i32_f32_e32 v128, v133
	v_cndmask_b32_e64 v79, 0, v84, s3
	v_cmp_nlt_f32_e64 s3, 0x42b17218, v90
	s_wait_alu 0xf1ff
	s_delay_alu instid0(VALU_DEP_1) | instskip(SKIP_2) | instid1(VALU_DEP_3)
	v_cndmask_b32_e64 v47, 0x7f800000, v79, s3
	v_sub_f32_e32 v28, v28, v24
	v_fmac_f32_e32 v132, 0x32a5705f, v126
	v_cvt_f16_f32_e32 v90, v47
	s_delay_alu instid0(VALU_DEP_3) | instskip(NEXT) | instid1(VALU_DEP_3)
	v_cmp_ngt_f32_e64 s3, 0xc2ce8ed0, v28
	v_add_f32_e32 v129, v129, v132
	s_delay_alu instid0(VALU_DEP_1) | instskip(NEXT) | instid1(TRANS32_DEP_1)
	v_exp_f32_e32 v127, v129
	v_ldexp_f32 v127, v127, v128
	s_delay_alu instid0(VALU_DEP_1) | instskip(SKIP_3) | instid1(VALU_DEP_2)
	v_cndmask_b32_e64 v84, 0, v127, s4
	v_cmp_nlt_f32_e64 s4, 0x42b17218, v126
	v_cvt_f16_f32_e32 v127, v80
	s_wait_alu 0xf1ff
	v_cndmask_b32_e64 v79, 0x7f800000, v84, s4
	v_cvt_f16_f32_e32 v84, v46
	s_delay_alu instid0(VALU_DEP_2) | instskip(NEXT) | instid1(VALU_DEP_2)
	v_cvt_f16_f32_e32 v126, v79
	v_perm_b32 v129, v127, v84, 0x5040100
	v_mul_f32_e32 v84, 0x3fb8aa3b, v29
	s_delay_alu instid0(VALU_DEP_3) | instskip(NEXT) | instid1(VALU_DEP_2)
	v_perm_b32 v130, v126, v90, 0x5040100
	v_fma_f32 v90, 0x3fb8aa3b, v29, -v84
	v_rndne_f32_e32 v126, v84
	s_delay_alu instid0(VALU_DEP_2) | instskip(NEXT) | instid1(VALU_DEP_2)
	v_fmac_f32_e32 v90, 0x32a5705f, v29
	v_sub_f32_e32 v84, v84, v126
	v_cvt_i32_f32_e32 v126, v126
	s_delay_alu instid0(VALU_DEP_2) | instskip(SKIP_1) | instid1(VALU_DEP_2)
	v_add_f32_e32 v84, v84, v90
	v_mul_f32_e32 v90, 0x3fb8aa3b, v28
	v_exp_f32_e32 v84, v84
	s_delay_alu instid0(VALU_DEP_1) | instskip(SKIP_1) | instid1(VALU_DEP_2)
	v_fma_f32 v127, 0x3fb8aa3b, v28, -v90
	v_rndne_f32_e32 v128, v90
	v_fmac_f32_e32 v127, 0x32a5705f, v28
	s_delay_alu instid0(VALU_DEP_2) | instskip(NEXT) | instid1(TRANS32_DEP_1)
	v_sub_f32_e32 v90, v90, v128
	v_ldexp_f32 v84, v84, v126
	v_cvt_i32_f32_e32 v126, v128
	s_wait_alu 0xfffd
	s_delay_alu instid0(VALU_DEP_2) | instskip(SKIP_2) | instid1(VALU_DEP_1)
	v_cndmask_b32_e32 v84, 0, v84, vcc_lo
	v_cmp_nlt_f32_e32 vcc_lo, 0x42b17218, v29
	v_add_f32_e32 v90, v90, v127
	v_exp_f32_e32 v90, v90
	s_delay_alu instid0(TRANS32_DEP_1) | instskip(NEXT) | instid1(VALU_DEP_1)
	v_ldexp_f32 v90, v90, v126
	v_cndmask_b32_e64 v29, 0, v90, s3
	v_cmp_nlt_f32_e64 s3, 0x42b17218, v28
	s_wait_alu 0xf1ff
	s_delay_alu instid0(VALU_DEP_1) | instskip(SKIP_3) | instid1(VALU_DEP_3)
	v_cndmask_b32_e64 v28, 0x7f800000, v29, s3
	s_wait_alu 0xfffd
	v_cndmask_b32_e32 v29, 0x7f800000, v84, vcc_lo
	v_cmp_ngt_f32_e32 vcc_lo, 0xc2ce8ed0, v27
	v_cvt_f16_f32_e32 v84, v28
	s_delay_alu instid0(VALU_DEP_3) | instskip(NEXT) | instid1(VALU_DEP_1)
	v_cvt_f16_f32_e32 v90, v29
	v_perm_b32 v128, v90, v84, 0x5040100
	v_mul_f32_e32 v84, 0x3fb8aa3b, v27
	s_delay_alu instid0(VALU_DEP_1) | instskip(SKIP_1) | instid1(VALU_DEP_2)
	v_fma_f32 v90, 0x3fb8aa3b, v27, -v84
	v_rndne_f32_e32 v126, v84
	v_fmac_f32_e32 v90, 0x32a5705f, v27
	s_delay_alu instid0(VALU_DEP_2) | instskip(SKIP_1) | instid1(VALU_DEP_2)
	v_sub_f32_e32 v84, v84, v126
	v_cvt_i32_f32_e32 v126, v126
	v_add_f32_e32 v84, v84, v90
	v_mul_f32_e32 v90, 0x3fb8aa3b, v25
	s_delay_alu instid0(VALU_DEP_2) | instskip(NEXT) | instid1(VALU_DEP_1)
	v_exp_f32_e32 v84, v84
	v_fma_f32 v127, 0x3fb8aa3b, v25, -v90
	v_rndne_f32_e32 v132, v90
	s_delay_alu instid0(VALU_DEP_1) | instskip(NEXT) | instid1(TRANS32_DEP_1)
	v_dual_fmac_f32 v127, 0x32a5705f, v25 :: v_dual_sub_f32 v90, v90, v132
	v_ldexp_f32 v84, v84, v126
	v_cvt_i32_f32_e32 v126, v132
	s_delay_alu instid0(VALU_DEP_3)
	v_add_f32_e32 v90, v90, v127
	v_cmp_ngt_f32_e64 s3, 0xc2ce8ed0, v25
	s_wait_alu 0xfffd
	v_cndmask_b32_e32 v84, 0, v84, vcc_lo
	v_cmp_nlt_f32_e32 vcc_lo, 0x42b17218, v27
	v_exp_f32_e32 v90, v90
	s_delay_alu instid0(TRANS32_DEP_1) | instskip(SKIP_1) | instid1(VALU_DEP_1)
	v_ldexp_f32 v90, v90, v126
	s_wait_alu 0xf1ff
	v_cndmask_b32_e64 v27, 0, v90, s3
	v_cmp_nlt_f32_e64 s3, 0x42b17218, v25
	s_wait_alu 0xf1ff
	s_delay_alu instid0(VALU_DEP_1)
	v_cndmask_b32_e64 v25, 0x7f800000, v27, s3
	s_wait_alu 0xfffd
	v_cndmask_b32_e32 v27, 0x7f800000, v84, vcc_lo
	s_cselect_b32 s3, -1, 0
	s_xor_b32 s4, s0, -1
	v_cvt_f16_f32_e32 v84, v25
	s_delay_alu instid0(VALU_DEP_2) | instskip(SKIP_3) | instid1(VALU_DEP_2)
	v_cvt_f16_f32_e32 v90, v27
	v_add_f32_e32 v25, v25, v27
	s_wait_alu 0xfffe
	s_or_b32 s3, s4, s3
	v_perm_b32 v127, v90, v84, 0x5040100
	s_delay_alu instid0(VALU_DEP_2) | instskip(NEXT) | instid1(VALU_DEP_2)
	v_add_f32_e32 v25, v28, v25
	v_wmma_f16_16x16x16_f16 v[16:19], v[30:33], v[127:130], v[16:19]
	ds_load_b32 v30, v111 offset:128
	ds_load_b32 v31, v112 offset:128
	v_add_f32_e32 v25, v29, v25
	v_wmma_f16_16x16x16_f16 v[20:23], v[34:37], v[127:130], v[20:23]
	v_wmma_f16_16x16x16_f16 v[8:11], v[42:45], v[127:130], v[8:11]
	;; [unrolled: 1-line block ×3, first 2 shown]
	s_wait_loadcnt_dscnt 0x0
	v_add_f32_e32 v25, v46, v25
	s_barrier_signal -1
	s_barrier_wait -1
	global_inv scope:SCOPE_SE
	v_add_f32_e32 v25, v80, v25
	s_delay_alu instid0(VALU_DEP_1) | instskip(SKIP_2) | instid1(VALU_DEP_3)
	v_add_f32_e32 v25, v47, v25
	v_perm_b32 v90, v31, v30, 0x5040100
	v_perm_b32 v84, v31, v30, 0x7060302
	v_add_f32_e32 v25, v79, v25
	s_delay_alu instid0(VALU_DEP_3) | instskip(NEXT) | instid1(VALU_DEP_3)
	v_wmma_f16_16x16x16_f16 v[4:7], v[87:90], v[127:130], v[4:7]
	v_wmma_f16_16x16x16_f16 v[0:3], v[81:84], v[127:130], v[0:3]
	s_delay_alu instid0(VALU_DEP_3)
	v_fmac_f32_e32 v25, v226, v131
	ds_bpermute_b32 v27, v26, v25
	s_wait_alu 0xfffe
	s_and_saveexec_b32 s4, s3
	s_wait_alu 0xfffe
	s_xor_b32 s3, exec_lo, s4
	s_wait_alu 0xfffe
	s_or_saveexec_b32 s3, s3
	s_wait_dscnt 0x0
	v_add_f32_e32 v25, v25, v27
	s_wait_alu 0xfffe
	s_xor_b32 exec_lo, exec_lo, s3
	s_cbranch_execz .LBB14_72
; %bb.71:                               ;   in Loop: Header=BB14_12 Depth=1
	v_dual_max_num_f32 v28, v24, v24 :: v_dual_lshlrev_b32 v27, 2, v165
	global_load_b32 v27, v27, s[74:75]
	s_wait_loadcnt 0x0
	v_max_num_f32_e32 v29, v27, v27
	s_delay_alu instid0(VALU_DEP_1) | instskip(NEXT) | instid1(VALU_DEP_1)
	v_max_num_f32_e32 v28, v28, v29
	v_sub_f32_e32 v24, v24, v28
	s_delay_alu instid0(VALU_DEP_1) | instskip(SKIP_2) | instid1(VALU_DEP_3)
	v_mul_f32_e32 v29, 0x3fb8aa3b, v24
	v_sub_f32_e32 v27, v27, v28
	v_cmp_ngt_f32_e32 vcc_lo, 0xc2ce8ed0, v24
	v_fma_f32 v30, 0x3fb8aa3b, v24, -v29
	v_rndne_f32_e32 v31, v29
	s_delay_alu instid0(VALU_DEP_1) | instskip(SKIP_1) | instid1(VALU_DEP_2)
	v_dual_fmac_f32 v30, 0x32a5705f, v24 :: v_dual_sub_f32 v29, v29, v31
	v_cvt_i32_f32_e32 v31, v31
	v_dual_add_f32 v29, v29, v30 :: v_dual_mul_f32 v30, 0x3fb8aa3b, v27
	s_delay_alu instid0(VALU_DEP_1) | instskip(NEXT) | instid1(VALU_DEP_1)
	v_exp_f32_e32 v29, v29
	v_fma_f32 v32, 0x3fb8aa3b, v27, -v30
	v_rndne_f32_e32 v33, v30
	s_delay_alu instid0(VALU_DEP_1) | instskip(NEXT) | instid1(TRANS32_DEP_1)
	v_sub_f32_e32 v30, v30, v33
	v_ldexp_f32 v29, v29, v31
	s_delay_alu instid0(VALU_DEP_4) | instskip(SKIP_2) | instid1(VALU_DEP_3)
	v_fmac_f32_e32 v32, 0x32a5705f, v27
	v_cvt_i32_f32_e32 v31, v33
	s_wait_alu 0xfffd
	v_cndmask_b32_e32 v29, 0, v29, vcc_lo
	v_cmp_nlt_f32_e32 vcc_lo, 0x42b17218, v24
	s_wait_alu 0xfffd
	s_delay_alu instid0(VALU_DEP_2) | instskip(NEXT) | instid1(VALU_DEP_1)
	v_dual_add_f32 v30, v30, v32 :: v_dual_cndmask_b32 v29, 0x7f800000, v29
	v_exp_f32_e32 v30, v30
	v_cmp_le_f32_e32 vcc_lo, 0xc1a00000, v24
	s_delay_alu instid0(TRANS32_DEP_1)
	v_ldexp_f32 v24, v30, v31
	s_wait_alu 0xfffd
	v_cndmask_b32_e32 v29, 0, v29, vcc_lo
	v_cmp_ngt_f32_e32 vcc_lo, 0xc2ce8ed0, v27
	s_wait_alu 0xfffd
	v_cndmask_b32_e32 v24, 0, v24, vcc_lo
	s_delay_alu instid0(VALU_DEP_3) | instskip(SKIP_2) | instid1(VALU_DEP_3)
	v_cvt_f16_f32_e32 v30, v29
	v_cmp_nlt_f32_e32 vcc_lo, 0x42b17218, v27
	s_wait_alu 0xfffd
	v_dual_cndmask_b32 v27, 0x7f800000, v24 :: v_dual_mov_b32 v24, v28
	s_delay_alu instid0(VALU_DEP_1) | instskip(NEXT) | instid1(VALU_DEP_1)
	v_dual_fmac_f32 v27, v25, v29 :: v_dual_and_b32 v30, 0xffff, v30
	v_mul_u32_u24_e32 v30, 0x10001, v30
	s_delay_alu instid0(VALU_DEP_2) | instskip(NEXT) | instid1(VALU_DEP_2)
	v_mov_b32_e32 v25, v27
	v_pk_mul_f16 v20, v20, v30
	v_pk_mul_f16 v21, v21, v30
	;; [unrolled: 1-line block ×24, first 2 shown]
.LBB14_72:                              ;   in Loop: Header=BB14_12 Depth=1
	s_or_b32 exec_lo, exec_lo, s3
	s_and_saveexec_b32 s3, s2
; %bb.73:                               ;   in Loop: Header=BB14_12 Depth=1
	v_add_nc_u32_e32 v27, 0, v120
	ds_store_2addr_b32 v27, v24, v25 offset0:48 offset1:49
; %bb.74:                               ;   in Loop: Header=BB14_12 Depth=1
	s_wait_alu 0xfffe
	s_or_b32 exec_lo, exec_lo, s3
	s_wait_loadcnt_dscnt 0x0
	s_barrier_signal -1
	s_barrier_wait -1
	global_inv scope:SCOPE_SE
	s_and_saveexec_b32 s3, s1
	s_wait_alu 0xfffe
	s_xor_b32 s3, exec_lo, s3
	s_cbranch_execz .LBB14_76
; %bb.75:                               ;   in Loop: Header=BB14_12 Depth=1
	s_wait_loadcnt 0x0
	s_barrier_signal -1
	s_barrier_wait -1
	global_inv scope:SCOPE_SE
                                        ; implicit-def: $vgpr26
.LBB14_76:                              ;   in Loop: Header=BB14_12 Depth=1
	s_wait_alu 0xfffe
	s_and_not1_saveexec_b32 s3, s3
	s_cbranch_execz .LBB14_80
; %bb.77:                               ;   in Loop: Header=BB14_12 Depth=1
	v_add_nc_u32_e32 v29, 0, v121
	ds_load_b64 v[27:28], v29 offset:192
	s_wait_loadcnt_dscnt 0x0
	s_barrier_signal -1
	s_barrier_wait -1
	global_inv scope:SCOPE_SE
	ds_bpermute_b32 v24, v26, v27
	s_wait_dscnt 0x0
	v_dual_max_num_f32 v25, v27, v27 :: v_dual_max_num_f32 v24, v24, v24
	s_delay_alu instid0(VALU_DEP_1) | instskip(NEXT) | instid1(VALU_DEP_1)
	v_max_num_f32_e32 v24, v25, v24
	v_sub_f32_e32 v25, v27, v24
	s_delay_alu instid0(VALU_DEP_1) | instskip(SKIP_1) | instid1(VALU_DEP_2)
	v_mul_f32_e32 v27, 0x3fb8aa3b, v25
	v_cmp_ngt_f32_e32 vcc_lo, 0xc2ce8ed0, v25
	v_fma_f32 v30, 0x3fb8aa3b, v25, -v27
	v_rndne_f32_e32 v31, v27
	s_delay_alu instid0(VALU_DEP_1) | instskip(NEXT) | instid1(VALU_DEP_1)
	v_dual_fmac_f32 v30, 0x32a5705f, v25 :: v_dual_sub_f32 v27, v27, v31
	v_add_f32_e32 v27, v27, v30
	v_cvt_i32_f32_e32 v30, v31
	s_delay_alu instid0(VALU_DEP_2) | instskip(NEXT) | instid1(TRANS32_DEP_1)
	v_exp_f32_e32 v27, v27
	v_ldexp_f32 v27, v27, v30
	s_wait_alu 0xfffd
	s_delay_alu instid0(VALU_DEP_1) | instskip(SKIP_2) | instid1(VALU_DEP_2)
	v_cndmask_b32_e32 v27, 0, v27, vcc_lo
	v_cmp_nlt_f32_e32 vcc_lo, 0x42b17218, v25
	s_wait_alu 0xfffd
	v_cndmask_b32_e32 v25, 0x7f800000, v27, vcc_lo
	s_delay_alu instid0(VALU_DEP_1)
	v_mul_f32_e32 v27, v28, v25
	ds_bpermute_b32 v26, v26, v27
	s_wait_dscnt 0x0
	v_fmac_f32_e32 v26, v28, v25
	ds_store_b64 v29, v[25:26] offset:192
	s_and_saveexec_b32 s4, s2
	s_cbranch_execz .LBB14_79
; %bb.78:                               ;   in Loop: Header=BB14_12 Depth=1
	v_mov_b32_e32 v25, v26
	global_store_b64 v[48:49], v[24:25], off
.LBB14_79:                              ;   in Loop: Header=BB14_12 Depth=1
	s_wait_alu 0xfffe
	s_or_b32 exec_lo, exec_lo, s4
.LBB14_80:                              ;   in Loop: Header=BB14_12 Depth=1
	s_wait_alu 0xfffe
	s_or_b32 exec_lo, exec_lo, s3
	v_perm_b32 v24, v16, v20, 0x5040100
	v_perm_b32 v16, v16, v20, 0x7060302
	;; [unrolled: 1-line block ×8, first 2 shown]
	ds_store_2addr_b32 v113, v24, v16 offset1:1
	ds_store_2addr_b32 v113, v20, v17 offset0:2 offset1:3
	ds_store_2addr_b32 v113, v21, v18 offset0:4 offset1:5
	;; [unrolled: 1-line block ×3, first 2 shown]
	v_perm_b32 v16, v12, v8, 0x5040100
	v_perm_b32 v8, v12, v8, 0x7060302
	;; [unrolled: 1-line block ×16, first 2 shown]
	ds_store_2addr_b32 v113, v16, v8 offset0:16 offset1:17
	ds_store_2addr_b32 v113, v12, v9 offset0:18 offset1:19
	;; [unrolled: 1-line block ×8, first 2 shown]
	s_wait_storecnt 0x0
	s_wait_loadcnt_dscnt 0x0
	s_barrier_signal -1
	s_barrier_wait -1
	global_inv scope:SCOPE_SE
	s_and_saveexec_b32 s5, s0
	s_cbranch_execz .LBB14_195
; %bb.81:                               ;   in Loop: Header=BB14_12 Depth=1
	v_add_nc_u32_e32 v0, s56, v197
	v_or_b32_e32 v1, s39, v86
	s_delay_alu instid0(VALU_DEP_1) | instskip(SKIP_1) | instid1(VALU_DEP_4)
	v_cmp_gt_i32_e32 vcc_lo, s33, v1
	v_mov_b32_e32 v1, 0x47
	v_cmp_gt_i32_e64 s3, s24, v0
	s_and_b32 s3, s3, vcc_lo
	s_wait_alu 0xfffe
	s_and_saveexec_b32 s4, s3
	s_cbranch_execz .LBB14_83
; %bb.82:                               ;   in Loop: Header=BB14_12 Depth=1
	v_add_nc_u32_e32 v1, 0, v122
	v_add_nc_u32_e32 v2, v103, v122
	v_mad_co_u64_u32 v[5:6], null, v0, s25, v[86:87]
	s_delay_alu instid0(VALU_DEP_3) | instskip(SKIP_3) | instid1(VALU_DEP_1)
	v_add_nc_u32_e32 v3, 0xc0, v1
	ds_load_2addr_stride64_b32 v[1:2], v2 offset1:13
	ds_load_2addr_stride64_b32 v[3:4], v3 offset1:13
	v_mad_co_u64_u32 v[5:6], null, v5, 48, v[52:53]
	v_ashrrev_i32_e32 v6, 31, v5
	s_wait_dscnt 0x0
	v_fma_mix_f32 v7, v3, v1, 0 op_sel_hi:[0,1,0]
	v_fma_mix_f32 v8, v3, v1, 0 op_sel:[0,1,0] op_sel_hi:[0,1,0]
	s_delay_alu instid0(VALU_DEP_3) | instskip(NEXT) | instid1(VALU_DEP_3)
	v_lshlrev_b64_e32 v[0:1], 3, v[5:6]
	v_fma_mix_f32 v3, v4, v2, v7 op_sel_hi:[0,1,0]
	s_delay_alu instid0(VALU_DEP_3) | instskip(NEXT) | instid1(VALU_DEP_3)
	v_fma_mix_f32 v4, v4, v2, v8 op_sel:[0,1,0] op_sel_hi:[0,1,0]
	v_add_co_u32 v5, s3, s72, v0
	s_wait_alu 0xf1ff
	s_delay_alu instid0(VALU_DEP_4)
	v_add_co_ci_u32_e64 v6, null, s73, v1, s3
	v_mov_b32_e32 v1, 0
	global_store_b64 v[5:6], v[3:4], off
.LBB14_83:                              ;   in Loop: Header=BB14_12 Depth=1
	s_wait_alu 0xfffe
	s_or_b32 exec_lo, exec_lo, s4
	s_mov_b32 s4, -1
	s_mov_b32 s41, exec_lo
	v_cmpx_gt_i32_e32 0x47, v1
; %bb.84:                               ;   in Loop: Header=BB14_12 Depth=1
	v_cmp_eq_u32_e64 s3, 0, v1
	s_or_not1_b32 s4, s3, exec_lo
; %bb.85:                               ;   in Loop: Header=BB14_12 Depth=1
	s_wait_alu 0xfffe
	s_or_b32 exec_lo, exec_lo, s41
	s_and_saveexec_b32 s41, s4
	s_cbranch_execz .LBB14_158
; %bb.86:                               ;   in Loop: Header=BB14_12 Depth=1
	v_add_nc_u32_e32 v0, s56, v198
	v_or_b32_e32 v1, s39, v77
	s_delay_alu instid0(VALU_DEP_1) | instskip(SKIP_1) | instid1(VALU_DEP_4)
	v_cmp_gt_i32_e64 s4, s33, v1
	v_mov_b32_e32 v1, 0x47
	v_cmp_gt_i32_e64 s3, s24, v0
	s_and_b32 s3, s3, s4
	s_wait_alu 0xfffe
	s_and_saveexec_b32 s4, s3
	s_cbranch_execz .LBB14_88
; %bb.87:                               ;   in Loop: Header=BB14_12 Depth=1
	v_add_nc_u32_e32 v1, 0, v123
	v_add_nc_u32_e32 v2, v103, v123
	v_mad_co_u64_u32 v[5:6], null, v0, s25, v[77:78]
	s_delay_alu instid0(VALU_DEP_3) | instskip(SKIP_3) | instid1(VALU_DEP_1)
	v_add_nc_u32_e32 v3, 0xc0, v1
	ds_load_2addr_stride64_b32 v[1:2], v2 offset1:13
	ds_load_2addr_stride64_b32 v[3:4], v3 offset1:13
	v_mad_co_u64_u32 v[5:6], null, v5, 48, v[52:53]
	v_ashrrev_i32_e32 v6, 31, v5
	s_wait_dscnt 0x0
	v_fma_mix_f32 v7, v3, v1, 0 op_sel_hi:[0,1,0]
	v_fma_mix_f32 v8, v3, v1, 0 op_sel:[0,1,0] op_sel_hi:[0,1,0]
	s_delay_alu instid0(VALU_DEP_3) | instskip(NEXT) | instid1(VALU_DEP_3)
	v_lshlrev_b64_e32 v[0:1], 3, v[5:6]
	v_fma_mix_f32 v3, v4, v2, v7 op_sel_hi:[0,1,0]
	s_delay_alu instid0(VALU_DEP_3) | instskip(NEXT) | instid1(VALU_DEP_3)
	v_fma_mix_f32 v4, v4, v2, v8 op_sel:[0,1,0] op_sel_hi:[0,1,0]
	v_add_co_u32 v5, s3, s72, v0
	s_wait_alu 0xf1ff
	s_delay_alu instid0(VALU_DEP_4)
	v_add_co_ci_u32_e64 v6, null, s73, v1, s3
	v_mov_b32_e32 v1, 0
	global_store_b64 v[5:6], v[3:4], off
.LBB14_88:                              ;   in Loop: Header=BB14_12 Depth=1
	s_wait_alu 0xfffe
	s_or_b32 exec_lo, exec_lo, s4
	s_mov_b32 s4, -1
	s_mov_b32 s67, exec_lo
	v_cmpx_gt_i32_e32 0x47, v1
; %bb.89:                               ;   in Loop: Header=BB14_12 Depth=1
	v_cmp_eq_u32_e64 s3, 0, v1
	s_or_not1_b32 s4, s3, exec_lo
; %bb.90:                               ;   in Loop: Header=BB14_12 Depth=1
	s_wait_alu 0xfffe
	s_or_b32 exec_lo, exec_lo, s67
	s_delay_alu instid0(SALU_CYCLE_1)
	s_and_b32 exec_lo, exec_lo, s4
	s_cbranch_execz .LBB14_158
; %bb.91:                               ;   in Loop: Header=BB14_12 Depth=1
	v_dual_mov_b32 v0, 0x47 :: v_dual_add_nc_u32 v1, s56, v124
	s_delay_alu instid0(VALU_DEP_1)
	v_cmp_gt_i32_e64 s3, s24, v1
	s_and_b32 s3, s3, vcc_lo
	s_wait_alu 0xfffe
	s_and_saveexec_b32 s4, s3
	s_cbranch_execz .LBB14_93
; %bb.92:                               ;   in Loop: Header=BB14_12 Depth=1
	v_add_nc_u32_e32 v0, 0, v125
	v_add_nc_u32_e32 v2, v103, v125
	s_delay_alu instid0(VALU_DEP_2) | instskip(SKIP_3) | instid1(VALU_DEP_1)
	v_add_nc_u32_e32 v0, 0xc0, v0
	ds_load_2addr_stride64_b32 v[2:3], v2 offset1:13
	ds_load_2addr_stride64_b32 v[4:5], v0 offset1:13
	v_mad_co_u64_u32 v[0:1], null, v1, s25, v[86:87]
	v_mad_co_u64_u32 v[0:1], null, v0, 48, v[52:53]
	s_delay_alu instid0(VALU_DEP_1) | instskip(SKIP_3) | instid1(VALU_DEP_3)
	v_ashrrev_i32_e32 v1, 31, v0
	s_wait_dscnt 0x0
	v_fma_mix_f32 v6, v4, v2, 0 op_sel_hi:[0,1,0]
	v_fma_mix_f32 v4, v4, v2, 0 op_sel:[0,1,0] op_sel_hi:[0,1,0]
	v_lshlrev_b64_e32 v[0:1], 3, v[0:1]
	s_delay_alu instid0(VALU_DEP_3) | instskip(NEXT) | instid1(VALU_DEP_3)
	v_fma_mix_f32 v2, v5, v3, v6 op_sel_hi:[0,1,0]
	v_fma_mix_f32 v3, v5, v3, v4 op_sel:[0,1,0] op_sel_hi:[0,1,0]
	s_delay_alu instid0(VALU_DEP_3) | instskip(SKIP_1) | instid1(VALU_DEP_4)
	v_add_co_u32 v4, s3, s72, v0
	s_wait_alu 0xf1ff
	v_add_co_ci_u32_e64 v5, null, s73, v1, s3
	v_mov_b32_e32 v0, 0
	global_store_b64 v[4:5], v[2:3], off
.LBB14_93:                              ;   in Loop: Header=BB14_12 Depth=1
	s_wait_alu 0xfffe
	s_or_b32 exec_lo, exec_lo, s4
	s_mov_b32 s4, -1
	s_mov_b32 s67, exec_lo
	v_cmpx_gt_i32_e32 0x47, v0
; %bb.94:                               ;   in Loop: Header=BB14_12 Depth=1
	v_cmp_eq_u32_e64 s3, 0, v0
	s_or_not1_b32 s4, s3, exec_lo
; %bb.95:                               ;   in Loop: Header=BB14_12 Depth=1
	s_wait_alu 0xfffe
	s_or_b32 exec_lo, exec_lo, s67
	s_delay_alu instid0(SALU_CYCLE_1)
	s_and_b32 exec_lo, exec_lo, s4
	s_cbranch_execz .LBB14_158
; %bb.96:                               ;   in Loop: Header=BB14_12 Depth=1
	v_add_nc_u32_e32 v0, s56, v199
	v_or_b32_e32 v1, s39, v78
	s_delay_alu instid0(VALU_DEP_1) | instskip(SKIP_1) | instid1(VALU_DEP_4)
	v_cmp_gt_i32_e64 s4, s33, v1
	v_mov_b32_e32 v1, 0x47
	v_cmp_gt_i32_e64 s3, s24, v0
	s_and_b32 s3, s3, s4
	s_wait_alu 0xfffe
	s_and_saveexec_b32 s4, s3
	s_cbranch_execz .LBB14_98
; %bb.97:                               ;   in Loop: Header=BB14_12 Depth=1
	scratch_load_b32 v2, off, off offset:4  ; 4-byte Folded Reload
	v_mad_co_u64_u32 v[5:6], null, v0, s25, v[78:79]
	s_delay_alu instid0(VALU_DEP_1) | instskip(NEXT) | instid1(VALU_DEP_1)
	v_mad_co_u64_u32 v[5:6], null, v5, 48, v[52:53]
	v_ashrrev_i32_e32 v6, 31, v5
	s_wait_loadcnt 0x0
	v_add_nc_u32_e32 v1, 0, v2
	v_add_nc_u32_e32 v2, v103, v2
	s_delay_alu instid0(VALU_DEP_2)
	v_add_nc_u32_e32 v3, 0xc0, v1
	ds_load_2addr_stride64_b32 v[1:2], v2 offset1:13
	ds_load_2addr_stride64_b32 v[3:4], v3 offset1:13
	s_wait_dscnt 0x0
	v_fma_mix_f32 v7, v3, v1, 0 op_sel_hi:[0,1,0]
	v_fma_mix_f32 v8, v3, v1, 0 op_sel:[0,1,0] op_sel_hi:[0,1,0]
	v_lshlrev_b64_e32 v[0:1], 3, v[5:6]
	s_delay_alu instid0(VALU_DEP_3) | instskip(NEXT) | instid1(VALU_DEP_3)
	v_fma_mix_f32 v3, v4, v2, v7 op_sel_hi:[0,1,0]
	v_fma_mix_f32 v4, v4, v2, v8 op_sel:[0,1,0] op_sel_hi:[0,1,0]
	s_delay_alu instid0(VALU_DEP_3) | instskip(SKIP_1) | instid1(VALU_DEP_4)
	v_add_co_u32 v5, s3, s72, v0
	s_wait_alu 0xf1ff
	v_add_co_ci_u32_e64 v6, null, s73, v1, s3
	v_mov_b32_e32 v1, 0
	global_store_b64 v[5:6], v[3:4], off
.LBB14_98:                              ;   in Loop: Header=BB14_12 Depth=1
	s_wait_alu 0xfffe
	s_or_b32 exec_lo, exec_lo, s4
	s_mov_b32 s4, -1
	s_mov_b32 s67, exec_lo
	v_cmpx_gt_i32_e32 0x47, v1
; %bb.99:                               ;   in Loop: Header=BB14_12 Depth=1
	v_cmp_eq_u32_e64 s3, 0, v1
	s_or_not1_b32 s4, s3, exec_lo
; %bb.100:                              ;   in Loop: Header=BB14_12 Depth=1
	s_wait_alu 0xfffe
	s_or_b32 exec_lo, exec_lo, s67
	s_delay_alu instid0(SALU_CYCLE_1)
	s_and_b32 exec_lo, exec_lo, s4
	s_cbranch_execz .LBB14_158
; %bb.101:                              ;   in Loop: Header=BB14_12 Depth=1
	scratch_load_b32 v0, off, off offset:8  ; 4-byte Folded Reload
	s_wait_loadcnt 0x0
	v_dual_mov_b32 v0, 0x47 :: v_dual_add_nc_u32 v1, s56, v0
	s_delay_alu instid0(VALU_DEP_1)
	v_cmp_gt_i32_e64 s3, s24, v1
	s_and_b32 s3, s3, vcc_lo
	s_wait_alu 0xfffe
	s_and_saveexec_b32 s4, s3
	s_cbranch_execz .LBB14_103
; %bb.102:                              ;   in Loop: Header=BB14_12 Depth=1
	scratch_load_b32 v2, off, off offset:28 ; 4-byte Folded Reload
	s_wait_loadcnt 0x0
	v_add_nc_u32_e32 v0, 0, v2
	v_add_nc_u32_e32 v2, v103, v2
	s_delay_alu instid0(VALU_DEP_2) | instskip(SKIP_3) | instid1(VALU_DEP_1)
	v_add_nc_u32_e32 v0, 0xc0, v0
	ds_load_2addr_stride64_b32 v[2:3], v2 offset1:13
	ds_load_2addr_stride64_b32 v[4:5], v0 offset1:13
	v_mad_co_u64_u32 v[0:1], null, v1, s25, v[86:87]
	v_mad_co_u64_u32 v[0:1], null, v0, 48, v[52:53]
	s_delay_alu instid0(VALU_DEP_1) | instskip(SKIP_3) | instid1(VALU_DEP_3)
	v_ashrrev_i32_e32 v1, 31, v0
	s_wait_dscnt 0x0
	v_fma_mix_f32 v6, v4, v2, 0 op_sel_hi:[0,1,0]
	v_fma_mix_f32 v4, v4, v2, 0 op_sel:[0,1,0] op_sel_hi:[0,1,0]
	v_lshlrev_b64_e32 v[0:1], 3, v[0:1]
	s_delay_alu instid0(VALU_DEP_3) | instskip(NEXT) | instid1(VALU_DEP_3)
	v_fma_mix_f32 v2, v5, v3, v6 op_sel_hi:[0,1,0]
	v_fma_mix_f32 v3, v5, v3, v4 op_sel:[0,1,0] op_sel_hi:[0,1,0]
	s_delay_alu instid0(VALU_DEP_3) | instskip(SKIP_1) | instid1(VALU_DEP_4)
	v_add_co_u32 v4, s3, s72, v0
	s_wait_alu 0xf1ff
	v_add_co_ci_u32_e64 v5, null, s73, v1, s3
	v_mov_b32_e32 v0, 0
	global_store_b64 v[4:5], v[2:3], off
.LBB14_103:                             ;   in Loop: Header=BB14_12 Depth=1
	s_wait_alu 0xfffe
	s_or_b32 exec_lo, exec_lo, s4
	s_mov_b32 s4, -1
	s_mov_b32 s67, exec_lo
	v_cmpx_gt_i32_e32 0x47, v0
; %bb.104:                              ;   in Loop: Header=BB14_12 Depth=1
	v_cmp_eq_u32_e64 s3, 0, v0
	s_or_not1_b32 s4, s3, exec_lo
; %bb.105:                              ;   in Loop: Header=BB14_12 Depth=1
	s_wait_alu 0xfffe
	s_or_b32 exec_lo, exec_lo, s67
	s_delay_alu instid0(SALU_CYCLE_1)
	s_and_b32 exec_lo, exec_lo, s4
	s_cbranch_execz .LBB14_158
; %bb.106:                              ;   in Loop: Header=BB14_12 Depth=1
	s_clause 0x1
	scratch_load_b32 v0, off, off offset:40
	scratch_load_b64 v[1:2], off, off offset:20
	s_wait_loadcnt 0x1
	v_add_nc_u32_e32 v0, s56, v0
	s_wait_loadcnt 0x0
	v_or_b32_e32 v1, s39, v1
	s_delay_alu instid0(VALU_DEP_1)
	v_cmp_gt_i32_e64 s4, s33, v1
	v_mov_b32_e32 v1, 0x47
	v_cmp_gt_i32_e64 s3, s24, v0
	s_and_b32 s3, s3, s4
	s_wait_alu 0xfffe
	s_and_saveexec_b32 s4, s3
	s_cbranch_execz .LBB14_108
; %bb.107:                              ;   in Loop: Header=BB14_12 Depth=1
	scratch_load_b32 v2, off, off offset:44 ; 4-byte Folded Reload
	s_wait_loadcnt 0x0
	v_add_nc_u32_e32 v1, 0, v2
	v_add_nc_u32_e32 v2, v103, v2
	s_delay_alu instid0(VALU_DEP_2)
	v_add_nc_u32_e32 v3, 0xc0, v1
	ds_load_2addr_stride64_b32 v[1:2], v2 offset1:13
	ds_load_2addr_stride64_b32 v[3:4], v3 offset1:13
	scratch_load_b64 v[5:6], off, off offset:20 ; 8-byte Folded Reload
	s_wait_dscnt 0x0
	v_fma_mix_f32 v7, v3, v1, 0 op_sel_hi:[0,1,0]
	v_fma_mix_f32 v8, v3, v1, 0 op_sel:[0,1,0] op_sel_hi:[0,1,0]
	s_delay_alu instid0(VALU_DEP_2) | instskip(NEXT) | instid1(VALU_DEP_2)
	v_fma_mix_f32 v3, v4, v2, v7 op_sel_hi:[0,1,0]
	v_fma_mix_f32 v4, v4, v2, v8 op_sel:[0,1,0] op_sel_hi:[0,1,0]
	s_wait_loadcnt 0x0
	v_mad_co_u64_u32 v[5:6], null, v0, s25, v[5:6]
	s_delay_alu instid0(VALU_DEP_1) | instskip(NEXT) | instid1(VALU_DEP_1)
	v_mad_co_u64_u32 v[5:6], null, v5, 48, v[52:53]
	v_ashrrev_i32_e32 v6, 31, v5
	s_delay_alu instid0(VALU_DEP_1) | instskip(NEXT) | instid1(VALU_DEP_1)
	v_lshlrev_b64_e32 v[0:1], 3, v[5:6]
	v_add_co_u32 v5, s3, s72, v0
	s_wait_alu 0xf1ff
	s_delay_alu instid0(VALU_DEP_2)
	v_add_co_ci_u32_e64 v6, null, s73, v1, s3
	v_mov_b32_e32 v1, 0
	global_store_b64 v[5:6], v[3:4], off
.LBB14_108:                             ;   in Loop: Header=BB14_12 Depth=1
	s_wait_alu 0xfffe
	s_or_b32 exec_lo, exec_lo, s4
	s_mov_b32 s4, -1
	s_mov_b32 s67, exec_lo
	v_cmpx_gt_i32_e32 0x47, v1
; %bb.109:                              ;   in Loop: Header=BB14_12 Depth=1
	v_cmp_eq_u32_e64 s3, 0, v1
	s_or_not1_b32 s4, s3, exec_lo
; %bb.110:                              ;   in Loop: Header=BB14_12 Depth=1
	s_wait_alu 0xfffe
	s_or_b32 exec_lo, exec_lo, s67
	s_delay_alu instid0(SALU_CYCLE_1)
	s_and_b32 exec_lo, exec_lo, s4
	s_cbranch_execz .LBB14_158
; %bb.111:                              ;   in Loop: Header=BB14_12 Depth=1
	scratch_load_b32 v0, off, off offset:48 ; 4-byte Folded Reload
	s_wait_loadcnt 0x0
	v_dual_mov_b32 v0, 0x47 :: v_dual_add_nc_u32 v1, s56, v0
	s_delay_alu instid0(VALU_DEP_1)
	v_cmp_gt_i32_e64 s3, s24, v1
	s_and_b32 s3, s3, vcc_lo
	s_wait_alu 0xfffe
	s_and_saveexec_b32 s4, s3
	s_cbranch_execz .LBB14_113
; %bb.112:                              ;   in Loop: Header=BB14_12 Depth=1
	scratch_load_b32 v2, off, off offset:68 ; 4-byte Folded Reload
	s_wait_loadcnt 0x0
	v_add_nc_u32_e32 v0, 0, v2
	v_add_nc_u32_e32 v2, v103, v2
	s_delay_alu instid0(VALU_DEP_2) | instskip(SKIP_3) | instid1(VALU_DEP_1)
	v_add_nc_u32_e32 v0, 0xc0, v0
	ds_load_2addr_stride64_b32 v[2:3], v2 offset1:13
	ds_load_2addr_stride64_b32 v[4:5], v0 offset1:13
	v_mad_co_u64_u32 v[0:1], null, v1, s25, v[86:87]
	v_mad_co_u64_u32 v[0:1], null, v0, 48, v[52:53]
	s_delay_alu instid0(VALU_DEP_1) | instskip(SKIP_3) | instid1(VALU_DEP_3)
	v_ashrrev_i32_e32 v1, 31, v0
	s_wait_dscnt 0x0
	v_fma_mix_f32 v6, v4, v2, 0 op_sel_hi:[0,1,0]
	v_fma_mix_f32 v4, v4, v2, 0 op_sel:[0,1,0] op_sel_hi:[0,1,0]
	v_lshlrev_b64_e32 v[0:1], 3, v[0:1]
	s_delay_alu instid0(VALU_DEP_3) | instskip(NEXT) | instid1(VALU_DEP_3)
	v_fma_mix_f32 v2, v5, v3, v6 op_sel_hi:[0,1,0]
	v_fma_mix_f32 v3, v5, v3, v4 op_sel:[0,1,0] op_sel_hi:[0,1,0]
	s_delay_alu instid0(VALU_DEP_3) | instskip(SKIP_1) | instid1(VALU_DEP_4)
	v_add_co_u32 v4, s3, s72, v0
	s_wait_alu 0xf1ff
	v_add_co_ci_u32_e64 v5, null, s73, v1, s3
	v_mov_b32_e32 v0, 0
	global_store_b64 v[4:5], v[2:3], off
.LBB14_113:                             ;   in Loop: Header=BB14_12 Depth=1
	s_wait_alu 0xfffe
	s_or_b32 exec_lo, exec_lo, s4
	s_mov_b32 s4, -1
	s_mov_b32 s67, exec_lo
	v_cmpx_gt_i32_e32 0x47, v0
; %bb.114:                              ;   in Loop: Header=BB14_12 Depth=1
	v_cmp_eq_u32_e64 s3, 0, v0
	s_or_not1_b32 s4, s3, exec_lo
; %bb.115:                              ;   in Loop: Header=BB14_12 Depth=1
	s_wait_alu 0xfffe
	s_or_b32 exec_lo, exec_lo, s67
	s_delay_alu instid0(SALU_CYCLE_1)
	s_and_b32 exec_lo, exec_lo, s4
	s_cbranch_execz .LBB14_158
; %bb.116:                              ;   in Loop: Header=BB14_12 Depth=1
	s_clause 0x1
	scratch_load_b32 v0, off, off offset:80
	scratch_load_b64 v[1:2], off, off offset:60
	s_wait_loadcnt 0x1
	v_add_nc_u32_e32 v0, s56, v0
	s_wait_loadcnt 0x0
	v_or_b32_e32 v1, s39, v1
	s_delay_alu instid0(VALU_DEP_1)
	v_cmp_gt_i32_e64 s4, s33, v1
	v_mov_b32_e32 v1, 0x47
	v_cmp_gt_i32_e64 s3, s24, v0
	s_and_b32 s3, s3, s4
	s_wait_alu 0xfffe
	s_and_saveexec_b32 s4, s3
	s_cbranch_execz .LBB14_118
; %bb.117:                              ;   in Loop: Header=BB14_12 Depth=1
	scratch_load_b32 v2, off, off offset:84 ; 4-byte Folded Reload
	s_wait_loadcnt 0x0
	v_add_nc_u32_e32 v1, 0, v2
	v_add_nc_u32_e32 v2, v103, v2
	s_delay_alu instid0(VALU_DEP_2)
	v_add_nc_u32_e32 v3, 0xc0, v1
	ds_load_2addr_stride64_b32 v[1:2], v2 offset1:13
	ds_load_2addr_stride64_b32 v[3:4], v3 offset1:13
	scratch_load_b64 v[5:6], off, off offset:60 ; 8-byte Folded Reload
	s_wait_dscnt 0x0
	v_fma_mix_f32 v7, v3, v1, 0 op_sel_hi:[0,1,0]
	v_fma_mix_f32 v8, v3, v1, 0 op_sel:[0,1,0] op_sel_hi:[0,1,0]
	s_delay_alu instid0(VALU_DEP_2) | instskip(NEXT) | instid1(VALU_DEP_2)
	v_fma_mix_f32 v3, v4, v2, v7 op_sel_hi:[0,1,0]
	v_fma_mix_f32 v4, v4, v2, v8 op_sel:[0,1,0] op_sel_hi:[0,1,0]
	s_wait_loadcnt 0x0
	v_mad_co_u64_u32 v[5:6], null, v0, s25, v[5:6]
	s_delay_alu instid0(VALU_DEP_1) | instskip(NEXT) | instid1(VALU_DEP_1)
	v_mad_co_u64_u32 v[5:6], null, v5, 48, v[52:53]
	v_ashrrev_i32_e32 v6, 31, v5
	s_delay_alu instid0(VALU_DEP_1) | instskip(NEXT) | instid1(VALU_DEP_1)
	v_lshlrev_b64_e32 v[0:1], 3, v[5:6]
	v_add_co_u32 v5, s3, s72, v0
	s_wait_alu 0xf1ff
	s_delay_alu instid0(VALU_DEP_2)
	v_add_co_ci_u32_e64 v6, null, s73, v1, s3
	v_mov_b32_e32 v1, 0
	global_store_b64 v[5:6], v[3:4], off
.LBB14_118:                             ;   in Loop: Header=BB14_12 Depth=1
	s_wait_alu 0xfffe
	s_or_b32 exec_lo, exec_lo, s4
	s_mov_b32 s4, -1
	s_mov_b32 s67, exec_lo
	v_cmpx_gt_i32_e32 0x47, v1
; %bb.119:                              ;   in Loop: Header=BB14_12 Depth=1
	v_cmp_eq_u32_e64 s3, 0, v1
	s_or_not1_b32 s4, s3, exec_lo
; %bb.120:                              ;   in Loop: Header=BB14_12 Depth=1
	s_wait_alu 0xfffe
	s_or_b32 exec_lo, exec_lo, s67
	s_delay_alu instid0(SALU_CYCLE_1)
	s_and_b32 exec_lo, exec_lo, s4
	s_cbranch_execz .LBB14_158
; %bb.121:                              ;   in Loop: Header=BB14_12 Depth=1
	scratch_load_b32 v0, off, off offset:88 ; 4-byte Folded Reload
	s_wait_loadcnt 0x0
	v_dual_mov_b32 v0, 0x47 :: v_dual_add_nc_u32 v1, s56, v0
	s_delay_alu instid0(VALU_DEP_1)
	v_cmp_gt_i32_e64 s3, s24, v1
	s_and_b32 s3, s3, vcc_lo
	s_wait_alu 0xfffe
	s_and_saveexec_b32 s4, s3
	s_cbranch_execz .LBB14_123
; %bb.122:                              ;   in Loop: Header=BB14_12 Depth=1
	scratch_load_b32 v2, off, off offset:104 ; 4-byte Folded Reload
	s_wait_loadcnt 0x0
	v_add_nc_u32_e32 v0, 0, v2
	v_add_nc_u32_e32 v2, v103, v2
	s_delay_alu instid0(VALU_DEP_2) | instskip(SKIP_3) | instid1(VALU_DEP_1)
	v_add_nc_u32_e32 v0, 0xc0, v0
	ds_load_2addr_stride64_b32 v[2:3], v2 offset1:13
	ds_load_2addr_stride64_b32 v[4:5], v0 offset1:13
	v_mad_co_u64_u32 v[0:1], null, v1, s25, v[86:87]
	v_mad_co_u64_u32 v[0:1], null, v0, 48, v[52:53]
	s_delay_alu instid0(VALU_DEP_1) | instskip(SKIP_3) | instid1(VALU_DEP_3)
	v_ashrrev_i32_e32 v1, 31, v0
	s_wait_dscnt 0x0
	v_fma_mix_f32 v6, v4, v2, 0 op_sel_hi:[0,1,0]
	v_fma_mix_f32 v4, v4, v2, 0 op_sel:[0,1,0] op_sel_hi:[0,1,0]
	v_lshlrev_b64_e32 v[0:1], 3, v[0:1]
	s_delay_alu instid0(VALU_DEP_3) | instskip(NEXT) | instid1(VALU_DEP_3)
	v_fma_mix_f32 v2, v5, v3, v6 op_sel_hi:[0,1,0]
	v_fma_mix_f32 v3, v5, v3, v4 op_sel:[0,1,0] op_sel_hi:[0,1,0]
	s_delay_alu instid0(VALU_DEP_3) | instskip(SKIP_1) | instid1(VALU_DEP_4)
	v_add_co_u32 v4, s3, s72, v0
	s_wait_alu 0xf1ff
	v_add_co_ci_u32_e64 v5, null, s73, v1, s3
	v_mov_b32_e32 v0, 0
	global_store_b64 v[4:5], v[2:3], off
.LBB14_123:                             ;   in Loop: Header=BB14_12 Depth=1
	s_wait_alu 0xfffe
	s_or_b32 exec_lo, exec_lo, s4
	s_mov_b32 s4, -1
	s_mov_b32 s67, exec_lo
	v_cmpx_gt_i32_e32 0x47, v0
; %bb.124:                              ;   in Loop: Header=BB14_12 Depth=1
	v_cmp_eq_u32_e64 s3, 0, v0
	s_or_not1_b32 s4, s3, exec_lo
; %bb.125:                              ;   in Loop: Header=BB14_12 Depth=1
	s_wait_alu 0xfffe
	s_or_b32 exec_lo, exec_lo, s67
	s_delay_alu instid0(SALU_CYCLE_1)
	s_and_b32 exec_lo, exec_lo, s4
	s_cbranch_execz .LBB14_158
; %bb.126:                              ;   in Loop: Header=BB14_12 Depth=1
	s_clause 0x1
	scratch_load_b32 v0, off, off offset:108
	scratch_load_b64 v[1:2], off, off offset:96
	s_wait_loadcnt 0x1
	v_add_nc_u32_e32 v0, s56, v0
	s_wait_loadcnt 0x0
	v_or_b32_e32 v1, s39, v1
	s_delay_alu instid0(VALU_DEP_1)
	v_cmp_gt_i32_e64 s4, s33, v1
	v_mov_b32_e32 v1, 0x47
	v_cmp_gt_i32_e64 s3, s24, v0
	s_and_b32 s3, s3, s4
	s_wait_alu 0xfffe
	s_and_saveexec_b32 s4, s3
	s_cbranch_execz .LBB14_128
; %bb.127:                              ;   in Loop: Header=BB14_12 Depth=1
	scratch_load_b32 v2, off, off offset:112 ; 4-byte Folded Reload
	s_wait_loadcnt 0x0
	v_add_nc_u32_e32 v1, 0, v2
	v_add_nc_u32_e32 v2, v103, v2
	s_delay_alu instid0(VALU_DEP_2)
	v_add_nc_u32_e32 v3, 0xc0, v1
	ds_load_2addr_stride64_b32 v[1:2], v2 offset1:13
	ds_load_2addr_stride64_b32 v[3:4], v3 offset1:13
	scratch_load_b64 v[5:6], off, off offset:96 ; 8-byte Folded Reload
	s_wait_dscnt 0x0
	v_fma_mix_f32 v7, v3, v1, 0 op_sel_hi:[0,1,0]
	v_fma_mix_f32 v8, v3, v1, 0 op_sel:[0,1,0] op_sel_hi:[0,1,0]
	s_delay_alu instid0(VALU_DEP_2) | instskip(NEXT) | instid1(VALU_DEP_2)
	v_fma_mix_f32 v3, v4, v2, v7 op_sel_hi:[0,1,0]
	v_fma_mix_f32 v4, v4, v2, v8 op_sel:[0,1,0] op_sel_hi:[0,1,0]
	s_wait_loadcnt 0x0
	v_mad_co_u64_u32 v[5:6], null, v0, s25, v[5:6]
	s_delay_alu instid0(VALU_DEP_1) | instskip(NEXT) | instid1(VALU_DEP_1)
	v_mad_co_u64_u32 v[5:6], null, v5, 48, v[52:53]
	v_ashrrev_i32_e32 v6, 31, v5
	s_delay_alu instid0(VALU_DEP_1) | instskip(NEXT) | instid1(VALU_DEP_1)
	v_lshlrev_b64_e32 v[0:1], 3, v[5:6]
	v_add_co_u32 v5, s3, s72, v0
	s_wait_alu 0xf1ff
	s_delay_alu instid0(VALU_DEP_2)
	v_add_co_ci_u32_e64 v6, null, s73, v1, s3
	v_mov_b32_e32 v1, 0
	global_store_b64 v[5:6], v[3:4], off
.LBB14_128:                             ;   in Loop: Header=BB14_12 Depth=1
	s_wait_alu 0xfffe
	s_or_b32 exec_lo, exec_lo, s4
	s_mov_b32 s4, -1
	s_mov_b32 s67, exec_lo
	v_cmpx_gt_i32_e32 0x47, v1
; %bb.129:                              ;   in Loop: Header=BB14_12 Depth=1
	v_cmp_eq_u32_e64 s3, 0, v1
	s_or_not1_b32 s4, s3, exec_lo
; %bb.130:                              ;   in Loop: Header=BB14_12 Depth=1
	s_wait_alu 0xfffe
	s_or_b32 exec_lo, exec_lo, s67
	s_delay_alu instid0(SALU_CYCLE_1)
	s_and_b32 exec_lo, exec_lo, s4
	s_cbranch_execz .LBB14_158
; %bb.131:                              ;   in Loop: Header=BB14_12 Depth=1
	scratch_load_b32 v0, off, off offset:116 ; 4-byte Folded Reload
	s_wait_loadcnt 0x0
	v_dual_mov_b32 v0, 0x47 :: v_dual_add_nc_u32 v1, s56, v0
	s_delay_alu instid0(VALU_DEP_1)
	v_cmp_gt_i32_e64 s3, s24, v1
	s_and_b32 s3, s3, vcc_lo
	s_wait_alu 0xfffe
	s_and_saveexec_b32 s4, s3
	s_cbranch_execz .LBB14_133
; %bb.132:                              ;   in Loop: Header=BB14_12 Depth=1
	scratch_load_b32 v2, off, off offset:128 ; 4-byte Folded Reload
	s_wait_loadcnt 0x0
	v_add_nc_u32_e32 v0, 0, v2
	v_add_nc_u32_e32 v2, v103, v2
	s_delay_alu instid0(VALU_DEP_2) | instskip(SKIP_3) | instid1(VALU_DEP_1)
	v_add_nc_u32_e32 v0, 0xc0, v0
	ds_load_2addr_stride64_b32 v[2:3], v2 offset1:13
	ds_load_2addr_stride64_b32 v[4:5], v0 offset1:13
	v_mad_co_u64_u32 v[0:1], null, v1, s25, v[86:87]
	v_mad_co_u64_u32 v[0:1], null, v0, 48, v[52:53]
	s_delay_alu instid0(VALU_DEP_1) | instskip(SKIP_3) | instid1(VALU_DEP_3)
	v_ashrrev_i32_e32 v1, 31, v0
	s_wait_dscnt 0x0
	v_fma_mix_f32 v6, v4, v2, 0 op_sel_hi:[0,1,0]
	v_fma_mix_f32 v4, v4, v2, 0 op_sel:[0,1,0] op_sel_hi:[0,1,0]
	v_lshlrev_b64_e32 v[0:1], 3, v[0:1]
	s_delay_alu instid0(VALU_DEP_3) | instskip(NEXT) | instid1(VALU_DEP_3)
	v_fma_mix_f32 v2, v5, v3, v6 op_sel_hi:[0,1,0]
	v_fma_mix_f32 v3, v5, v3, v4 op_sel:[0,1,0] op_sel_hi:[0,1,0]
	s_delay_alu instid0(VALU_DEP_3) | instskip(SKIP_1) | instid1(VALU_DEP_4)
	v_add_co_u32 v4, s3, s72, v0
	s_wait_alu 0xf1ff
	v_add_co_ci_u32_e64 v5, null, s73, v1, s3
	v_mov_b32_e32 v0, 0
	global_store_b64 v[4:5], v[2:3], off
.LBB14_133:                             ;   in Loop: Header=BB14_12 Depth=1
	s_wait_alu 0xfffe
	s_or_b32 exec_lo, exec_lo, s4
	s_mov_b32 s4, -1
	s_mov_b32 s67, exec_lo
	v_cmpx_gt_i32_e32 0x47, v0
; %bb.134:                              ;   in Loop: Header=BB14_12 Depth=1
	v_cmp_eq_u32_e64 s3, 0, v0
	s_or_not1_b32 s4, s3, exec_lo
; %bb.135:                              ;   in Loop: Header=BB14_12 Depth=1
	s_wait_alu 0xfffe
	s_or_b32 exec_lo, exec_lo, s67
	s_delay_alu instid0(SALU_CYCLE_1)
	s_and_b32 exec_lo, exec_lo, s4
	s_cbranch_execz .LBB14_158
; %bb.136:                              ;   in Loop: Header=BB14_12 Depth=1
	s_clause 0x1
	scratch_load_b32 v0, off, off offset:132
	scratch_load_b64 v[1:2], off, off offset:120
	s_wait_loadcnt 0x1
	v_add_nc_u32_e32 v0, s56, v0
	s_wait_loadcnt 0x0
	v_or_b32_e32 v1, s39, v1
	s_delay_alu instid0(VALU_DEP_1)
	v_cmp_gt_i32_e64 s4, s33, v1
	v_mov_b32_e32 v1, 0x47
	v_cmp_gt_i32_e64 s3, s24, v0
	s_and_b32 s3, s3, s4
	s_wait_alu 0xfffe
	s_and_saveexec_b32 s4, s3
	s_cbranch_execz .LBB14_138
; %bb.137:                              ;   in Loop: Header=BB14_12 Depth=1
	scratch_load_b32 v2, off, off offset:136 ; 4-byte Folded Reload
	s_wait_loadcnt 0x0
	v_add_nc_u32_e32 v1, 0, v2
	v_add_nc_u32_e32 v2, v103, v2
	s_delay_alu instid0(VALU_DEP_2)
	v_add_nc_u32_e32 v3, 0xc0, v1
	ds_load_2addr_stride64_b32 v[1:2], v2 offset1:13
	ds_load_2addr_stride64_b32 v[3:4], v3 offset1:13
	scratch_load_b64 v[5:6], off, off offset:120 ; 8-byte Folded Reload
	s_wait_dscnt 0x0
	v_fma_mix_f32 v7, v3, v1, 0 op_sel_hi:[0,1,0]
	v_fma_mix_f32 v8, v3, v1, 0 op_sel:[0,1,0] op_sel_hi:[0,1,0]
	s_delay_alu instid0(VALU_DEP_2) | instskip(NEXT) | instid1(VALU_DEP_2)
	v_fma_mix_f32 v3, v4, v2, v7 op_sel_hi:[0,1,0]
	v_fma_mix_f32 v4, v4, v2, v8 op_sel:[0,1,0] op_sel_hi:[0,1,0]
	s_wait_loadcnt 0x0
	v_mad_co_u64_u32 v[5:6], null, v0, s25, v[5:6]
	s_delay_alu instid0(VALU_DEP_1) | instskip(NEXT) | instid1(VALU_DEP_1)
	v_mad_co_u64_u32 v[5:6], null, v5, 48, v[52:53]
	v_ashrrev_i32_e32 v6, 31, v5
	s_delay_alu instid0(VALU_DEP_1) | instskip(NEXT) | instid1(VALU_DEP_1)
	v_lshlrev_b64_e32 v[0:1], 3, v[5:6]
	v_add_co_u32 v5, s3, s72, v0
	s_wait_alu 0xf1ff
	s_delay_alu instid0(VALU_DEP_2)
	v_add_co_ci_u32_e64 v6, null, s73, v1, s3
	v_mov_b32_e32 v1, 0
	global_store_b64 v[5:6], v[3:4], off
.LBB14_138:                             ;   in Loop: Header=BB14_12 Depth=1
	s_wait_alu 0xfffe
	s_or_b32 exec_lo, exec_lo, s4
	s_mov_b32 s4, -1
	s_mov_b32 s67, exec_lo
	v_cmpx_gt_i32_e32 0x47, v1
; %bb.139:                              ;   in Loop: Header=BB14_12 Depth=1
	v_cmp_eq_u32_e64 s3, 0, v1
	s_or_not1_b32 s4, s3, exec_lo
; %bb.140:                              ;   in Loop: Header=BB14_12 Depth=1
	s_wait_alu 0xfffe
	s_or_b32 exec_lo, exec_lo, s67
	s_delay_alu instid0(SALU_CYCLE_1)
	s_and_b32 exec_lo, exec_lo, s4
	s_cbranch_execz .LBB14_158
; %bb.141:                              ;   in Loop: Header=BB14_12 Depth=1
	scratch_load_b32 v0, off, off offset:140 ; 4-byte Folded Reload
	s_wait_loadcnt 0x0
	v_dual_mov_b32 v0, 0x47 :: v_dual_add_nc_u32 v1, s56, v0
	s_delay_alu instid0(VALU_DEP_1)
	v_cmp_gt_i32_e64 s3, s24, v1
	s_and_b32 s3, s3, vcc_lo
	s_wait_alu 0xfffe
	s_and_saveexec_b32 s4, s3
	s_cbranch_execz .LBB14_143
; %bb.142:                              ;   in Loop: Header=BB14_12 Depth=1
	scratch_load_b32 v2, off, off offset:152 ; 4-byte Folded Reload
	s_wait_loadcnt 0x0
	v_add_nc_u32_e32 v0, 0, v2
	v_add_nc_u32_e32 v2, v103, v2
	s_delay_alu instid0(VALU_DEP_2) | instskip(SKIP_3) | instid1(VALU_DEP_1)
	v_add_nc_u32_e32 v0, 0xc0, v0
	ds_load_2addr_stride64_b32 v[2:3], v2 offset1:13
	ds_load_2addr_stride64_b32 v[4:5], v0 offset1:13
	v_mad_co_u64_u32 v[0:1], null, v1, s25, v[86:87]
	v_mad_co_u64_u32 v[0:1], null, v0, 48, v[52:53]
	s_delay_alu instid0(VALU_DEP_1) | instskip(SKIP_3) | instid1(VALU_DEP_3)
	v_ashrrev_i32_e32 v1, 31, v0
	s_wait_dscnt 0x0
	v_fma_mix_f32 v6, v4, v2, 0 op_sel_hi:[0,1,0]
	v_fma_mix_f32 v4, v4, v2, 0 op_sel:[0,1,0] op_sel_hi:[0,1,0]
	v_lshlrev_b64_e32 v[0:1], 3, v[0:1]
	s_delay_alu instid0(VALU_DEP_3) | instskip(NEXT) | instid1(VALU_DEP_3)
	v_fma_mix_f32 v2, v5, v3, v6 op_sel_hi:[0,1,0]
	v_fma_mix_f32 v3, v5, v3, v4 op_sel:[0,1,0] op_sel_hi:[0,1,0]
	s_delay_alu instid0(VALU_DEP_3) | instskip(SKIP_1) | instid1(VALU_DEP_4)
	v_add_co_u32 v4, s3, s72, v0
	s_wait_alu 0xf1ff
	v_add_co_ci_u32_e64 v5, null, s73, v1, s3
	v_mov_b32_e32 v0, 0
	global_store_b64 v[4:5], v[2:3], off
.LBB14_143:                             ;   in Loop: Header=BB14_12 Depth=1
	s_wait_alu 0xfffe
	s_or_b32 exec_lo, exec_lo, s4
	s_mov_b32 s4, -1
	s_mov_b32 s67, exec_lo
	v_cmpx_gt_i32_e32 0x47, v0
; %bb.144:                              ;   in Loop: Header=BB14_12 Depth=1
	v_cmp_eq_u32_e64 s3, 0, v0
	s_or_not1_b32 s4, s3, exec_lo
; %bb.145:                              ;   in Loop: Header=BB14_12 Depth=1
	s_wait_alu 0xfffe
	s_or_b32 exec_lo, exec_lo, s67
	s_delay_alu instid0(SALU_CYCLE_1)
	s_and_b32 exec_lo, exec_lo, s4
	s_cbranch_execz .LBB14_158
; %bb.146:                              ;   in Loop: Header=BB14_12 Depth=1
	s_clause 0x1
	scratch_load_b32 v0, off, off offset:156
	scratch_load_b64 v[1:2], off, off offset:144
	s_wait_loadcnt 0x1
	v_add_nc_u32_e32 v0, s56, v0
	s_wait_loadcnt 0x0
	v_or_b32_e32 v1, s39, v1
	s_delay_alu instid0(VALU_DEP_1)
	v_cmp_gt_i32_e64 s4, s33, v1
	v_mov_b32_e32 v1, 0x47
	v_cmp_gt_i32_e64 s3, s24, v0
	s_and_b32 s3, s3, s4
	s_wait_alu 0xfffe
	s_and_saveexec_b32 s4, s3
	s_cbranch_execz .LBB14_148
; %bb.147:                              ;   in Loop: Header=BB14_12 Depth=1
	scratch_load_b32 v2, off, off offset:160 ; 4-byte Folded Reload
	s_wait_loadcnt 0x0
	v_add_nc_u32_e32 v1, 0, v2
	v_add_nc_u32_e32 v2, v103, v2
	s_delay_alu instid0(VALU_DEP_2)
	v_add_nc_u32_e32 v3, 0xc0, v1
	ds_load_2addr_stride64_b32 v[1:2], v2 offset1:13
	ds_load_2addr_stride64_b32 v[3:4], v3 offset1:13
	scratch_load_b64 v[5:6], off, off offset:144 ; 8-byte Folded Reload
	s_wait_dscnt 0x0
	v_fma_mix_f32 v7, v3, v1, 0 op_sel_hi:[0,1,0]
	v_fma_mix_f32 v8, v3, v1, 0 op_sel:[0,1,0] op_sel_hi:[0,1,0]
	s_delay_alu instid0(VALU_DEP_2) | instskip(NEXT) | instid1(VALU_DEP_2)
	v_fma_mix_f32 v3, v4, v2, v7 op_sel_hi:[0,1,0]
	v_fma_mix_f32 v4, v4, v2, v8 op_sel:[0,1,0] op_sel_hi:[0,1,0]
	s_wait_loadcnt 0x0
	v_mad_co_u64_u32 v[5:6], null, v0, s25, v[5:6]
	s_delay_alu instid0(VALU_DEP_1) | instskip(NEXT) | instid1(VALU_DEP_1)
	v_mad_co_u64_u32 v[5:6], null, v5, 48, v[52:53]
	v_ashrrev_i32_e32 v6, 31, v5
	s_delay_alu instid0(VALU_DEP_1) | instskip(NEXT) | instid1(VALU_DEP_1)
	v_lshlrev_b64_e32 v[0:1], 3, v[5:6]
	v_add_co_u32 v5, s3, s72, v0
	s_wait_alu 0xf1ff
	s_delay_alu instid0(VALU_DEP_2)
	v_add_co_ci_u32_e64 v6, null, s73, v1, s3
	v_mov_b32_e32 v1, 0
	global_store_b64 v[5:6], v[3:4], off
.LBB14_148:                             ;   in Loop: Header=BB14_12 Depth=1
	s_wait_alu 0xfffe
	s_or_b32 exec_lo, exec_lo, s4
	s_mov_b32 s4, -1
	s_mov_b32 s67, exec_lo
	v_cmpx_gt_i32_e32 0x47, v1
; %bb.149:                              ;   in Loop: Header=BB14_12 Depth=1
	v_cmp_eq_u32_e64 s3, 0, v1
	s_or_not1_b32 s4, s3, exec_lo
; %bb.150:                              ;   in Loop: Header=BB14_12 Depth=1
	s_wait_alu 0xfffe
	s_or_b32 exec_lo, exec_lo, s67
	s_delay_alu instid0(SALU_CYCLE_1)
	s_and_b32 exec_lo, exec_lo, s4
	s_cbranch_execz .LBB14_158
; %bb.151:                              ;   in Loop: Header=BB14_12 Depth=1
	scratch_load_b32 v0, off, off offset:164 ; 4-byte Folded Reload
	s_wait_loadcnt 0x0
	v_dual_mov_b32 v0, 0x47 :: v_dual_add_nc_u32 v1, s56, v0
	s_delay_alu instid0(VALU_DEP_1)
	v_cmp_gt_i32_e64 s3, s24, v1
	s_and_b32 s4, s3, vcc_lo
	s_wait_alu 0xfffe
	s_and_saveexec_b32 s3, s4
	s_cbranch_execz .LBB14_153
; %bb.152:                              ;   in Loop: Header=BB14_12 Depth=1
	scratch_load_b32 v2, off, off offset:176 ; 4-byte Folded Reload
	s_wait_loadcnt 0x0
	v_add_nc_u32_e32 v0, 0, v2
	v_add_nc_u32_e32 v2, v103, v2
	s_delay_alu instid0(VALU_DEP_2) | instskip(SKIP_3) | instid1(VALU_DEP_1)
	v_add_nc_u32_e32 v0, 0xc0, v0
	ds_load_2addr_stride64_b32 v[2:3], v2 offset1:13
	ds_load_2addr_stride64_b32 v[4:5], v0 offset1:13
	v_mad_co_u64_u32 v[0:1], null, v1, s25, v[86:87]
	v_mad_co_u64_u32 v[0:1], null, v0, 48, v[52:53]
	s_delay_alu instid0(VALU_DEP_1) | instskip(SKIP_3) | instid1(VALU_DEP_3)
	v_ashrrev_i32_e32 v1, 31, v0
	s_wait_dscnt 0x0
	v_fma_mix_f32 v6, v4, v2, 0 op_sel_hi:[0,1,0]
	v_fma_mix_f32 v4, v4, v2, 0 op_sel:[0,1,0] op_sel_hi:[0,1,0]
	v_lshlrev_b64_e32 v[0:1], 3, v[0:1]
	s_delay_alu instid0(VALU_DEP_3) | instskip(NEXT) | instid1(VALU_DEP_3)
	v_fma_mix_f32 v2, v5, v3, v6 op_sel_hi:[0,1,0]
	v_fma_mix_f32 v3, v5, v3, v4 op_sel:[0,1,0] op_sel_hi:[0,1,0]
	s_delay_alu instid0(VALU_DEP_3) | instskip(SKIP_1) | instid1(VALU_DEP_4)
	v_add_co_u32 v4, vcc_lo, s72, v0
	s_wait_alu 0xfffd
	v_add_co_ci_u32_e64 v5, null, s73, v1, vcc_lo
	v_mov_b32_e32 v0, 0
	global_store_b64 v[4:5], v[2:3], off
.LBB14_153:                             ;   in Loop: Header=BB14_12 Depth=1
	s_wait_alu 0xfffe
	s_or_b32 exec_lo, exec_lo, s3
	s_mov_b32 s3, -1
	s_mov_b32 s4, exec_lo
	v_cmpx_gt_i32_e32 0x47, v0
; %bb.154:                              ;   in Loop: Header=BB14_12 Depth=1
	v_cmp_eq_u32_e32 vcc_lo, 0, v0
	s_or_not1_b32 s3, vcc_lo, exec_lo
; %bb.155:                              ;   in Loop: Header=BB14_12 Depth=1
	s_wait_alu 0xfffe
	s_or_b32 exec_lo, exec_lo, s4
	s_delay_alu instid0(SALU_CYCLE_1)
	s_and_b32 exec_lo, exec_lo, s3
	s_cbranch_execz .LBB14_158
; %bb.156:                              ;   in Loop: Header=BB14_12 Depth=1
	s_clause 0x1
	scratch_load_b32 v0, off, off offset:180
	scratch_load_b64 v[1:2], off, off offset:168
	s_wait_loadcnt 0x1
	v_add_nc_u32_e32 v0, s56, v0
	s_wait_loadcnt 0x0
	v_or_b32_e32 v1, s39, v1
	s_delay_alu instid0(VALU_DEP_2) | instskip(NEXT) | instid1(VALU_DEP_2)
	v_cmp_gt_i32_e32 vcc_lo, s24, v0
	v_cmp_gt_i32_e64 s3, s33, v1
	s_and_b32 s3, vcc_lo, s3
	s_wait_alu 0xfffe
	s_and_b32 exec_lo, exec_lo, s3
	s_cbranch_execz .LBB14_158
; %bb.157:                              ;   in Loop: Header=BB14_12 Depth=1
	scratch_load_b32 v2, off, off offset:184 ; 4-byte Folded Reload
	s_wait_loadcnt 0x0
	v_add_nc_u32_e32 v1, 0, v2
	v_add_nc_u32_e32 v2, v103, v2
	s_delay_alu instid0(VALU_DEP_2)
	v_add_nc_u32_e32 v3, 0xc0, v1
	ds_load_2addr_stride64_b32 v[1:2], v2 offset1:13
	ds_load_2addr_stride64_b32 v[3:4], v3 offset1:13
	scratch_load_b64 v[5:6], off, off offset:168 ; 8-byte Folded Reload
	s_wait_dscnt 0x0
	v_fma_mix_f32 v7, v3, v1, 0 op_sel_hi:[0,1,0]
	v_fma_mix_f32 v8, v3, v1, 0 op_sel:[0,1,0] op_sel_hi:[0,1,0]
	s_delay_alu instid0(VALU_DEP_2) | instskip(NEXT) | instid1(VALU_DEP_2)
	v_fma_mix_f32 v3, v4, v2, v7 op_sel_hi:[0,1,0]
	v_fma_mix_f32 v4, v4, v2, v8 op_sel:[0,1,0] op_sel_hi:[0,1,0]
	s_wait_loadcnt 0x0
	v_mad_co_u64_u32 v[5:6], null, v0, s25, v[5:6]
	s_delay_alu instid0(VALU_DEP_1) | instskip(NEXT) | instid1(VALU_DEP_1)
	v_mad_co_u64_u32 v[5:6], null, v5, 48, v[52:53]
	v_ashrrev_i32_e32 v6, 31, v5
	s_delay_alu instid0(VALU_DEP_1) | instskip(NEXT) | instid1(VALU_DEP_1)
	v_lshlrev_b64_e32 v[0:1], 3, v[5:6]
	v_add_co_u32 v0, vcc_lo, s72, v0
	s_wait_alu 0xfffd
	s_delay_alu instid0(VALU_DEP_2)
	v_add_co_ci_u32_e64 v1, null, s73, v1, vcc_lo
	global_store_b64 v[0:1], v[3:4], off
.LBB14_158:                             ;   in Loop: Header=BB14_12 Depth=1
	s_wait_alu 0xfffe
	s_or_b32 exec_lo, exec_lo, s41
	v_add_nc_u32_e32 v0, s56, v145
	v_or_b32_e32 v1, s39, v75
	s_delay_alu instid0(VALU_DEP_1) | instskip(SKIP_1) | instid1(VALU_DEP_4)
	v_cmp_gt_i32_e32 vcc_lo, s33, v1
	v_mov_b32_e32 v1, 0x47
	v_cmp_gt_i32_e64 s3, s24, v0
	s_and_b32 s3, s3, vcc_lo
	s_wait_alu 0xfffe
	s_and_saveexec_b32 s4, s3
	s_cbranch_execz .LBB14_160
; %bb.159:                              ;   in Loop: Header=BB14_12 Depth=1
	v_add_nc_u32_e32 v1, 0, v146
	v_add_nc_u32_e32 v2, v161, v146
	s_delay_alu instid0(VALU_DEP_2) | instskip(NEXT) | instid1(VALU_DEP_2)
	v_add_nc_u32_e32 v3, 0xc0, v1
	v_add_nc_u32_e32 v4, 0x80, v2
	v_mad_co_u64_u32 v[0:1], null, v0, s25, v[75:76]
	ds_load_2addr_stride64_b32 v[1:2], v3 offset1:13
	ds_load_2addr_stride64_b32 v[3:4], v4 offset1:13
	v_mul_lo_u32 v0, v0, 48
	s_delay_alu instid0(VALU_DEP_1) | instskip(SKIP_4) | instid1(VALU_DEP_3)
	v_ashrrev_i32_e32 v6, 31, v0
	v_or_b32_e32 v5, v0, v102
	s_wait_dscnt 0x0
	v_fma_mix_f32 v7, v1, v3, 0 op_sel_hi:[0,1,0]
	v_fma_mix_f32 v8, v1, v3, 0 op_sel:[0,1,0] op_sel_hi:[0,1,0]
	v_lshlrev_b64_e32 v[0:1], 3, v[5:6]
	s_delay_alu instid0(VALU_DEP_3) | instskip(NEXT) | instid1(VALU_DEP_3)
	v_fma_mix_f32 v3, v2, v4, v7 op_sel_hi:[0,1,0]
	v_fma_mix_f32 v4, v2, v4, v8 op_sel:[0,1,0] op_sel_hi:[0,1,0]
	s_delay_alu instid0(VALU_DEP_3) | instskip(SKIP_1) | instid1(VALU_DEP_4)
	v_add_co_u32 v5, s3, s72, v0
	s_wait_alu 0xf1ff
	v_add_co_ci_u32_e64 v6, null, s73, v1, s3
	v_mov_b32_e32 v1, 0
	global_store_b64 v[5:6], v[3:4], off offset:256
.LBB14_160:                             ;   in Loop: Header=BB14_12 Depth=1
	s_wait_alu 0xfffe
	s_or_b32 exec_lo, exec_lo, s4
	s_mov_b32 s4, -1
	s_mov_b32 s41, exec_lo
	v_cmpx_gt_i32_e32 0x47, v1
; %bb.161:                              ;   in Loop: Header=BB14_12 Depth=1
	v_cmp_eq_u32_e64 s3, 0, v1
	s_or_not1_b32 s4, s3, exec_lo
; %bb.162:                              ;   in Loop: Header=BB14_12 Depth=1
	s_wait_alu 0xfffe
	s_or_b32 exec_lo, exec_lo, s41
	s_delay_alu instid0(SALU_CYCLE_1)
	s_and_b32 exec_lo, exec_lo, s4
	s_cbranch_execz .LBB14_195
; %bb.163:                              ;   in Loop: Header=BB14_12 Depth=1
	v_dual_mov_b32 v0, 0x47 :: v_dual_add_nc_u32 v1, s56, v147
	s_delay_alu instid0(VALU_DEP_1)
	v_cmp_gt_i32_e64 s3, s24, v1
	s_and_b32 s3, s3, vcc_lo
	s_wait_alu 0xfffe
	s_and_saveexec_b32 s4, s3
	s_cbranch_execz .LBB14_165
; %bb.164:                              ;   in Loop: Header=BB14_12 Depth=1
	v_add_nc_u32_e32 v0, 0, v148
	v_add_nc_u32_e32 v2, v161, v148
	s_delay_alu instid0(VALU_DEP_2) | instskip(NEXT) | instid1(VALU_DEP_2)
	v_add_nc_u32_e32 v3, 0xc0, v0
	v_add_nc_u32_e32 v4, 0x80, v2
	v_mad_co_u64_u32 v[0:1], null, v1, s25, v[75:76]
	ds_load_2addr_stride64_b32 v[1:2], v3 offset1:13
	ds_load_2addr_stride64_b32 v[3:4], v4 offset1:13
	v_mul_lo_u32 v0, v0, 48
	s_delay_alu instid0(VALU_DEP_1) | instskip(SKIP_4) | instid1(VALU_DEP_3)
	v_ashrrev_i32_e32 v6, 31, v0
	v_or_b32_e32 v5, v0, v102
	s_wait_dscnt 0x0
	v_fma_mix_f32 v7, v1, v3, 0 op_sel_hi:[0,1,0]
	v_fma_mix_f32 v8, v1, v3, 0 op_sel:[0,1,0] op_sel_hi:[0,1,0]
	v_lshlrev_b64_e32 v[0:1], 3, v[5:6]
	s_delay_alu instid0(VALU_DEP_3) | instskip(NEXT) | instid1(VALU_DEP_3)
	v_fma_mix_f32 v3, v2, v4, v7 op_sel_hi:[0,1,0]
	v_fma_mix_f32 v4, v2, v4, v8 op_sel:[0,1,0] op_sel_hi:[0,1,0]
	s_delay_alu instid0(VALU_DEP_3) | instskip(SKIP_1) | instid1(VALU_DEP_4)
	v_add_co_u32 v5, s3, s72, v0
	s_wait_alu 0xf1ff
	v_add_co_ci_u32_e64 v6, null, s73, v1, s3
	v_mov_b32_e32 v0, 0
	global_store_b64 v[5:6], v[3:4], off offset:256
.LBB14_165:                             ;   in Loop: Header=BB14_12 Depth=1
	s_wait_alu 0xfffe
	s_or_b32 exec_lo, exec_lo, s4
	s_mov_b32 s4, -1
	s_mov_b32 s41, exec_lo
	v_cmpx_gt_i32_e32 0x47, v0
; %bb.166:                              ;   in Loop: Header=BB14_12 Depth=1
	v_cmp_eq_u32_e64 s3, 0, v0
	s_or_not1_b32 s4, s3, exec_lo
; %bb.167:                              ;   in Loop: Header=BB14_12 Depth=1
	s_wait_alu 0xfffe
	s_or_b32 exec_lo, exec_lo, s41
	s_delay_alu instid0(SALU_CYCLE_1)
	s_and_b32 exec_lo, exec_lo, s4
	s_cbranch_execz .LBB14_195
; %bb.168:                              ;   in Loop: Header=BB14_12 Depth=1
	v_dual_mov_b32 v0, 0x47 :: v_dual_add_nc_u32 v1, s56, v149
	s_delay_alu instid0(VALU_DEP_1)
	v_cmp_gt_i32_e64 s3, s24, v1
	s_and_b32 s3, s3, vcc_lo
	s_wait_alu 0xfffe
	s_and_saveexec_b32 s4, s3
	s_cbranch_execz .LBB14_170
; %bb.169:                              ;   in Loop: Header=BB14_12 Depth=1
	v_add_nc_u32_e32 v0, 0, v150
	v_add_nc_u32_e32 v2, v161, v150
	s_delay_alu instid0(VALU_DEP_2) | instskip(NEXT) | instid1(VALU_DEP_2)
	v_add_nc_u32_e32 v3, 0xc0, v0
	v_add_nc_u32_e32 v4, 0x80, v2
	v_mad_co_u64_u32 v[0:1], null, v1, s25, v[75:76]
	ds_load_2addr_stride64_b32 v[1:2], v3 offset1:13
	ds_load_2addr_stride64_b32 v[3:4], v4 offset1:13
	v_mul_lo_u32 v0, v0, 48
	s_delay_alu instid0(VALU_DEP_1) | instskip(SKIP_4) | instid1(VALU_DEP_3)
	v_ashrrev_i32_e32 v6, 31, v0
	v_or_b32_e32 v5, v0, v102
	s_wait_dscnt 0x0
	v_fma_mix_f32 v7, v1, v3, 0 op_sel_hi:[0,1,0]
	v_fma_mix_f32 v8, v1, v3, 0 op_sel:[0,1,0] op_sel_hi:[0,1,0]
	v_lshlrev_b64_e32 v[0:1], 3, v[5:6]
	s_delay_alu instid0(VALU_DEP_3) | instskip(NEXT) | instid1(VALU_DEP_3)
	v_fma_mix_f32 v3, v2, v4, v7 op_sel_hi:[0,1,0]
	v_fma_mix_f32 v4, v2, v4, v8 op_sel:[0,1,0] op_sel_hi:[0,1,0]
	s_delay_alu instid0(VALU_DEP_3) | instskip(SKIP_1) | instid1(VALU_DEP_4)
	v_add_co_u32 v5, s3, s72, v0
	s_wait_alu 0xf1ff
	v_add_co_ci_u32_e64 v6, null, s73, v1, s3
	v_mov_b32_e32 v0, 0
	global_store_b64 v[5:6], v[3:4], off offset:256
.LBB14_170:                             ;   in Loop: Header=BB14_12 Depth=1
	s_wait_alu 0xfffe
	s_or_b32 exec_lo, exec_lo, s4
	s_mov_b32 s4, -1
	s_mov_b32 s41, exec_lo
	v_cmpx_gt_i32_e32 0x47, v0
; %bb.171:                              ;   in Loop: Header=BB14_12 Depth=1
	v_cmp_eq_u32_e64 s3, 0, v0
	s_or_not1_b32 s4, s3, exec_lo
; %bb.172:                              ;   in Loop: Header=BB14_12 Depth=1
	s_wait_alu 0xfffe
	s_or_b32 exec_lo, exec_lo, s41
	s_delay_alu instid0(SALU_CYCLE_1)
	s_and_b32 exec_lo, exec_lo, s4
	s_cbranch_execz .LBB14_195
; %bb.173:                              ;   in Loop: Header=BB14_12 Depth=1
	scratch_load_b32 v0, off, off           ; 4-byte Folded Reload
	s_wait_loadcnt 0x0
	v_dual_mov_b32 v0, 0x47 :: v_dual_add_nc_u32 v1, s56, v0
	s_delay_alu instid0(VALU_DEP_1)
	v_cmp_gt_i32_e64 s3, s24, v1
	s_and_b32 s3, s3, vcc_lo
	s_wait_alu 0xfffe
	s_and_saveexec_b32 s4, s3
	s_cbranch_execz .LBB14_175
; %bb.174:                              ;   in Loop: Header=BB14_12 Depth=1
	scratch_load_b32 v2, off, off offset:12 ; 4-byte Folded Reload
	s_wait_loadcnt 0x0
	v_add_nc_u32_e32 v0, 0, v2
	v_add_nc_u32_e32 v2, v161, v2
	s_delay_alu instid0(VALU_DEP_2) | instskip(NEXT) | instid1(VALU_DEP_2)
	v_add_nc_u32_e32 v3, 0xc0, v0
	v_add_nc_u32_e32 v4, 0x80, v2
	v_mad_co_u64_u32 v[0:1], null, v1, s25, v[75:76]
	ds_load_2addr_stride64_b32 v[1:2], v3 offset1:13
	ds_load_2addr_stride64_b32 v[3:4], v4 offset1:13
	v_mul_lo_u32 v0, v0, 48
	s_delay_alu instid0(VALU_DEP_1) | instskip(SKIP_4) | instid1(VALU_DEP_3)
	v_ashrrev_i32_e32 v6, 31, v0
	v_or_b32_e32 v5, v0, v102
	s_wait_dscnt 0x0
	v_fma_mix_f32 v7, v1, v3, 0 op_sel_hi:[0,1,0]
	v_fma_mix_f32 v8, v1, v3, 0 op_sel:[0,1,0] op_sel_hi:[0,1,0]
	v_lshlrev_b64_e32 v[0:1], 3, v[5:6]
	s_delay_alu instid0(VALU_DEP_3) | instskip(NEXT) | instid1(VALU_DEP_3)
	v_fma_mix_f32 v3, v2, v4, v7 op_sel_hi:[0,1,0]
	v_fma_mix_f32 v4, v2, v4, v8 op_sel:[0,1,0] op_sel_hi:[0,1,0]
	s_delay_alu instid0(VALU_DEP_3) | instskip(SKIP_1) | instid1(VALU_DEP_4)
	v_add_co_u32 v5, s3, s72, v0
	s_wait_alu 0xf1ff
	v_add_co_ci_u32_e64 v6, null, s73, v1, s3
	v_mov_b32_e32 v0, 0
	global_store_b64 v[5:6], v[3:4], off offset:256
.LBB14_175:                             ;   in Loop: Header=BB14_12 Depth=1
	s_wait_alu 0xfffe
	s_or_b32 exec_lo, exec_lo, s4
	s_mov_b32 s4, -1
	s_mov_b32 s41, exec_lo
	v_cmpx_gt_i32_e32 0x47, v0
; %bb.176:                              ;   in Loop: Header=BB14_12 Depth=1
	v_cmp_eq_u32_e64 s3, 0, v0
	s_or_not1_b32 s4, s3, exec_lo
; %bb.177:                              ;   in Loop: Header=BB14_12 Depth=1
	s_wait_alu 0xfffe
	s_or_b32 exec_lo, exec_lo, s41
	s_delay_alu instid0(SALU_CYCLE_1)
	s_and_b32 exec_lo, exec_lo, s4
	s_cbranch_execz .LBB14_195
; %bb.178:                              ;   in Loop: Header=BB14_12 Depth=1
	scratch_load_b32 v0, off, off offset:16 ; 4-byte Folded Reload
	s_wait_loadcnt 0x0
	v_dual_mov_b32 v0, 0x47 :: v_dual_add_nc_u32 v1, s56, v0
	s_delay_alu instid0(VALU_DEP_1)
	v_cmp_gt_i32_e64 s3, s24, v1
	s_and_b32 s3, s3, vcc_lo
	s_wait_alu 0xfffe
	s_and_saveexec_b32 s4, s3
	s_cbranch_execz .LBB14_180
; %bb.179:                              ;   in Loop: Header=BB14_12 Depth=1
	scratch_load_b32 v2, off, off offset:32 ; 4-byte Folded Reload
	s_wait_loadcnt 0x0
	v_add_nc_u32_e32 v0, 0, v2
	v_add_nc_u32_e32 v2, v161, v2
	s_delay_alu instid0(VALU_DEP_2) | instskip(NEXT) | instid1(VALU_DEP_2)
	v_add_nc_u32_e32 v3, 0xc0, v0
	v_add_nc_u32_e32 v4, 0x80, v2
	v_mad_co_u64_u32 v[0:1], null, v1, s25, v[75:76]
	ds_load_2addr_stride64_b32 v[1:2], v3 offset1:13
	ds_load_2addr_stride64_b32 v[3:4], v4 offset1:13
	v_mul_lo_u32 v0, v0, 48
	s_delay_alu instid0(VALU_DEP_1) | instskip(SKIP_4) | instid1(VALU_DEP_3)
	v_ashrrev_i32_e32 v6, 31, v0
	v_or_b32_e32 v5, v0, v102
	s_wait_dscnt 0x0
	v_fma_mix_f32 v7, v1, v3, 0 op_sel_hi:[0,1,0]
	v_fma_mix_f32 v8, v1, v3, 0 op_sel:[0,1,0] op_sel_hi:[0,1,0]
	v_lshlrev_b64_e32 v[0:1], 3, v[5:6]
	s_delay_alu instid0(VALU_DEP_3) | instskip(NEXT) | instid1(VALU_DEP_3)
	v_fma_mix_f32 v3, v2, v4, v7 op_sel_hi:[0,1,0]
	v_fma_mix_f32 v4, v2, v4, v8 op_sel:[0,1,0] op_sel_hi:[0,1,0]
	s_delay_alu instid0(VALU_DEP_3) | instskip(SKIP_1) | instid1(VALU_DEP_4)
	v_add_co_u32 v5, s3, s72, v0
	s_wait_alu 0xf1ff
	v_add_co_ci_u32_e64 v6, null, s73, v1, s3
	v_mov_b32_e32 v0, 0
	global_store_b64 v[5:6], v[3:4], off offset:256
.LBB14_180:                             ;   in Loop: Header=BB14_12 Depth=1
	s_wait_alu 0xfffe
	s_or_b32 exec_lo, exec_lo, s4
	s_mov_b32 s4, -1
	s_mov_b32 s41, exec_lo
	v_cmpx_gt_i32_e32 0x47, v0
; %bb.181:                              ;   in Loop: Header=BB14_12 Depth=1
	v_cmp_eq_u32_e64 s3, 0, v0
	s_or_not1_b32 s4, s3, exec_lo
; %bb.182:                              ;   in Loop: Header=BB14_12 Depth=1
	s_wait_alu 0xfffe
	s_or_b32 exec_lo, exec_lo, s41
	s_delay_alu instid0(SALU_CYCLE_1)
	s_and_b32 exec_lo, exec_lo, s4
	s_cbranch_execz .LBB14_195
; %bb.183:                              ;   in Loop: Header=BB14_12 Depth=1
	scratch_load_b32 v0, off, off offset:36 ; 4-byte Folded Reload
	;; [unrolled: 53-line block ×4, first 2 shown]
	s_wait_loadcnt 0x0
	v_add_nc_u32_e32 v0, s56, v0
	s_delay_alu instid0(VALU_DEP_1)
	v_cmp_gt_i32_e64 s3, s24, v0
	s_and_b32 s3, s3, vcc_lo
	s_wait_alu 0xfffe
	s_and_b32 exec_lo, exec_lo, s3
	s_cbranch_execz .LBB14_195
; %bb.194:                              ;   in Loop: Header=BB14_12 Depth=1
	scratch_load_b32 v2, off, off offset:92 ; 4-byte Folded Reload
	s_wait_loadcnt 0x0
	v_add_nc_u32_e32 v1, 0, v2
	v_add_nc_u32_e32 v2, v161, v2
	s_delay_alu instid0(VALU_DEP_2) | instskip(NEXT) | instid1(VALU_DEP_2)
	v_add_nc_u32_e32 v3, 0xc0, v1
	v_add_nc_u32_e32 v4, 0x80, v2
	v_mad_co_u64_u32 v[0:1], null, v0, s25, v[75:76]
	ds_load_2addr_stride64_b32 v[1:2], v3 offset1:13
	ds_load_2addr_stride64_b32 v[3:4], v4 offset1:13
	v_mul_lo_u32 v0, v0, 48
	s_delay_alu instid0(VALU_DEP_1) | instskip(SKIP_4) | instid1(VALU_DEP_3)
	v_ashrrev_i32_e32 v6, 31, v0
	v_or_b32_e32 v5, v0, v102
	s_wait_dscnt 0x0
	v_fma_mix_f32 v7, v1, v3, 0 op_sel_hi:[0,1,0]
	v_fma_mix_f32 v8, v1, v3, 0 op_sel:[0,1,0] op_sel_hi:[0,1,0]
	v_lshlrev_b64_e32 v[0:1], 3, v[5:6]
	s_delay_alu instid0(VALU_DEP_3) | instskip(NEXT) | instid1(VALU_DEP_3)
	v_fma_mix_f32 v3, v2, v4, v7 op_sel_hi:[0,1,0]
	v_fma_mix_f32 v4, v2, v4, v8 op_sel:[0,1,0] op_sel_hi:[0,1,0]
	s_delay_alu instid0(VALU_DEP_3) | instskip(SKIP_1) | instid1(VALU_DEP_4)
	v_add_co_u32 v0, vcc_lo, s72, v0
	s_wait_alu 0xfffd
	v_add_co_ci_u32_e64 v1, null, s73, v1, vcc_lo
	global_store_b64 v[0:1], v[3:4], off offset:256
.LBB14_195:                             ;   in Loop: Header=BB14_12 Depth=1
	s_wait_alu 0xfffe
	s_or_b32 exec_lo, exec_lo, s5
	s_wait_loadcnt 0x0
	s_wait_storecnt 0x0
	s_barrier_signal -1
	s_barrier_wait -1
	s_branch .LBB14_11
.LBB14_196:                             ;   in Loop: Header=BB14_12 Depth=1
	s_lshl_b32 s94, s34, 3
	v_cmp_le_i32_e64 s4, s33, v225
	s_wait_alu 0xfffe
	v_add_nc_u32_e32 v0, s94, v109
	v_cmp_gt_i32_e32 vcc_lo, s33, v225
	s_delay_alu instid0(VALU_DEP_2)
	v_cmp_le_i32_e64 s3, s24, v0
	s_or_b32 s3, s3, s4
	s_wait_alu 0xfffe
	s_and_saveexec_b32 s4, s3
	s_wait_alu 0xfffe
	s_xor_b32 s3, exec_lo, s4
; %bb.197:                              ;   in Loop: Header=BB14_12 Depth=1
	v_add_nc_u32_e32 v0, v103, v183
	ds_store_b32 v0, v175
                                        ; implicit-def: $vgpr0
; %bb.198:                              ;   in Loop: Header=BB14_12 Depth=1
	s_wait_alu 0xfffe
	s_and_not1_saveexec_b32 s4, s3
	s_cbranch_execz .LBB14_200
; %bb.199:                              ;   in Loop: Header=BB14_12 Depth=1
	v_mad_co_u64_u32 v[0:1], null, v0, s35, v[85:86]
	s_delay_alu instid0(VALU_DEP_1) | instskip(NEXT) | instid1(VALU_DEP_1)
	v_ashrrev_i32_e32 v1, 31, v0
	v_lshlrev_b64_e32 v[0:1], 3, v[0:1]
	s_delay_alu instid0(VALU_DEP_1) | instskip(SKIP_1) | instid1(VALU_DEP_2)
	v_add_co_u32 v0, s3, s92, v0
	s_wait_alu 0xf1ff
	v_add_co_ci_u32_e64 v1, null, s93, v1, s3
	global_load_b64 v[0:1], v[0:1], off
	s_wait_loadcnt 0x0
	v_cvt_f16_f32_e32 v0, v0
	v_cvt_f16_f32_e32 v1, v1
	s_delay_alu instid0(VALU_DEP_1) | instskip(SKIP_1) | instid1(VALU_DEP_2)
	v_pack_b32_f16 v0, v0, v1
	v_add_nc_u32_e32 v1, v103, v183
	v_pk_mul_f16 v0, v0, s102
	ds_store_b32 v1, v0
.LBB14_200:                             ;   in Loop: Header=BB14_12 Depth=1
	s_wait_alu 0xfffe
	s_or_b32 exec_lo, exec_lo, s4
	v_add_nc_u32_e32 v0, s94, v184
	s_xor_b32 s4, vcc_lo, -1
	s_delay_alu instid0(VALU_DEP_1)
	v_cmp_le_i32_e64 s3, s24, v0
	s_wait_alu 0xfffe
	s_or_b32 s3, s3, s4
	s_wait_alu 0xfffe
	s_and_saveexec_b32 s5, s3
	s_wait_alu 0xfffe
	s_xor_b32 s3, exec_lo, s5
; %bb.201:                              ;   in Loop: Header=BB14_12 Depth=1
	v_add_nc_u32_e32 v0, v103, v183
	ds_store_b32 v0, v175 offset:416
                                        ; implicit-def: $vgpr0
; %bb.202:                              ;   in Loop: Header=BB14_12 Depth=1
	s_wait_alu 0xfffe
	s_and_not1_saveexec_b32 s3, s3
	s_cbranch_execz .LBB14_204
; %bb.203:                              ;   in Loop: Header=BB14_12 Depth=1
	v_mad_co_u64_u32 v[0:1], null, v0, s35, v[85:86]
	s_delay_alu instid0(VALU_DEP_1) | instskip(NEXT) | instid1(VALU_DEP_1)
	v_ashrrev_i32_e32 v1, 31, v0
	v_lshlrev_b64_e32 v[0:1], 3, v[0:1]
	s_delay_alu instid0(VALU_DEP_1) | instskip(SKIP_1) | instid1(VALU_DEP_2)
	v_add_co_u32 v0, vcc_lo, s92, v0
	s_wait_alu 0xfffd
	v_add_co_ci_u32_e64 v1, null, s93, v1, vcc_lo
	global_load_b64 v[0:1], v[0:1], off
	s_wait_loadcnt 0x0
	v_cvt_f16_f32_e32 v0, v0
	v_cvt_f16_f32_e32 v1, v1
	s_delay_alu instid0(VALU_DEP_1) | instskip(SKIP_1) | instid1(VALU_DEP_2)
	v_pack_b32_f16 v0, v0, v1
	v_add_nc_u32_e32 v1, v103, v183
	v_pk_mul_f16 v0, v0, s102
	ds_store_b32 v1, v0 offset:416
.LBB14_204:                             ;   in Loop: Header=BB14_12 Depth=1
	s_wait_alu 0xfffe
	s_or_b32 exec_lo, exec_lo, s3
	v_add_nc_u32_e32 v0, s94, v185
	s_delay_alu instid0(VALU_DEP_1)
	v_cmp_le_i32_e32 vcc_lo, s24, v0
	s_or_b32 s3, vcc_lo, s4
	s_wait_alu 0xfffe
	s_and_saveexec_b32 s5, s3
	s_wait_alu 0xfffe
	s_xor_b32 s3, exec_lo, s5
; %bb.205:                              ;   in Loop: Header=BB14_12 Depth=1
	v_add_nc_u32_e32 v0, v103, v183
	ds_store_b32 v0, v175 offset:832
                                        ; implicit-def: $vgpr0
; %bb.206:                              ;   in Loop: Header=BB14_12 Depth=1
	s_wait_alu 0xfffe
	s_and_not1_saveexec_b32 s3, s3
	s_cbranch_execz .LBB14_208
; %bb.207:                              ;   in Loop: Header=BB14_12 Depth=1
	v_mad_co_u64_u32 v[0:1], null, v0, s35, v[85:86]
	s_delay_alu instid0(VALU_DEP_1) | instskip(NEXT) | instid1(VALU_DEP_1)
	v_ashrrev_i32_e32 v1, 31, v0
	v_lshlrev_b64_e32 v[0:1], 3, v[0:1]
	s_delay_alu instid0(VALU_DEP_1) | instskip(SKIP_1) | instid1(VALU_DEP_2)
	v_add_co_u32 v0, vcc_lo, s92, v0
	s_wait_alu 0xfffd
	v_add_co_ci_u32_e64 v1, null, s93, v1, vcc_lo
	global_load_b64 v[0:1], v[0:1], off
	s_wait_loadcnt 0x0
	v_cvt_f16_f32_e32 v0, v0
	v_cvt_f16_f32_e32 v1, v1
	s_delay_alu instid0(VALU_DEP_1) | instskip(SKIP_1) | instid1(VALU_DEP_2)
	v_pack_b32_f16 v0, v0, v1
	v_add_nc_u32_e32 v1, v103, v183
	v_pk_mul_f16 v0, v0, s102
	ds_store_b32 v1, v0 offset:832
.LBB14_208:                             ;   in Loop: Header=BB14_12 Depth=1
	s_wait_alu 0xfffe
	s_or_b32 exec_lo, exec_lo, s3
	v_add_nc_u32_e32 v0, s94, v186
	s_delay_alu instid0(VALU_DEP_1)
	v_cmp_le_i32_e32 vcc_lo, s24, v0
	s_or_b32 s3, vcc_lo, s4
	;; [unrolled: 37-line block ×6, first 2 shown]
	s_wait_alu 0xfffe
	s_and_saveexec_b32 s4, s3
	s_wait_alu 0xfffe
	s_xor_b32 s3, exec_lo, s4
; %bb.225:                              ;   in Loop: Header=BB14_12 Depth=1
	v_add_nc_u32_e32 v0, v103, v183
	ds_store_b32 v0, v175 offset:2912
                                        ; implicit-def: $vgpr0
; %bb.226:                              ;   in Loop: Header=BB14_12 Depth=1
	s_wait_alu 0xfffe
	s_and_not1_saveexec_b32 s3, s3
	s_cbranch_execz .LBB14_228
; %bb.227:                              ;   in Loop: Header=BB14_12 Depth=1
	v_mad_co_u64_u32 v[0:1], null, v0, s35, v[85:86]
	s_delay_alu instid0(VALU_DEP_1) | instskip(NEXT) | instid1(VALU_DEP_1)
	v_ashrrev_i32_e32 v1, 31, v0
	v_lshlrev_b64_e32 v[0:1], 3, v[0:1]
	s_delay_alu instid0(VALU_DEP_1) | instskip(SKIP_1) | instid1(VALU_DEP_2)
	v_add_co_u32 v0, vcc_lo, s92, v0
	s_wait_alu 0xfffd
	v_add_co_ci_u32_e64 v1, null, s93, v1, vcc_lo
	global_load_b64 v[0:1], v[0:1], off
	s_wait_loadcnt 0x0
	v_cvt_f16_f32_e32 v0, v0
	v_cvt_f16_f32_e32 v1, v1
	s_delay_alu instid0(VALU_DEP_1) | instskip(SKIP_1) | instid1(VALU_DEP_2)
	v_pack_b32_f16 v0, v0, v1
	v_add_nc_u32_e32 v1, v103, v183
	v_pk_mul_f16 v0, v0, s102
	ds_store_b32 v1, v0 offset:2912
.LBB14_228:                             ;   in Loop: Header=BB14_12 Depth=1
	s_wait_alu 0xfffe
	s_or_b32 exec_lo, exec_lo, s3
	v_add_nc_u32_e32 v0, s94, v117
	v_or_b32_e32 v1, s39, v182
	s_delay_alu instid0(VALU_DEP_2) | instskip(NEXT) | instid1(VALU_DEP_2)
	v_cmp_le_i32_e64 s3, s24, v0
	v_cmp_le_i32_e64 s4, s33, v1
	v_cmp_gt_i32_e32 vcc_lo, s33, v1
	s_or_b32 s3, s3, s4
	s_wait_alu 0xfffe
	s_and_saveexec_b32 s4, s3
	s_wait_alu 0xfffe
	s_xor_b32 s3, exec_lo, s4
; %bb.229:                              ;   in Loop: Header=BB14_12 Depth=1
	ds_store_b32 v190, v175 offset:128
                                        ; implicit-def: $vgpr0
; %bb.230:                              ;   in Loop: Header=BB14_12 Depth=1
	s_wait_alu 0xfffe
	s_and_not1_saveexec_b32 s4, s3
	s_cbranch_execz .LBB14_232
; %bb.231:                              ;   in Loop: Header=BB14_12 Depth=1
	v_mad_co_u64_u32 v[0:1], null, v0, s35, v[76:77]
	s_delay_alu instid0(VALU_DEP_1) | instskip(NEXT) | instid1(VALU_DEP_1)
	v_ashrrev_i32_e32 v1, 31, v0
	v_lshlrev_b64_e32 v[0:1], 3, v[0:1]
	s_delay_alu instid0(VALU_DEP_1) | instskip(SKIP_1) | instid1(VALU_DEP_2)
	v_add_co_u32 v0, s3, s92, v0
	s_wait_alu 0xf1ff
	v_add_co_ci_u32_e64 v1, null, s93, v1, s3
	global_load_b64 v[0:1], v[0:1], off
	s_wait_loadcnt 0x0
	v_cvt_f16_f32_e32 v0, v0
	v_cvt_f16_f32_e32 v1, v1
	s_delay_alu instid0(VALU_DEP_1) | instskip(SKIP_1) | instid1(VALU_DEP_2)
	v_pack_b32_f16 v0, v0, v1
	v_add_nc_u32_e32 v1, v161, v192
	v_pk_mul_f16 v0, v0, s102
	ds_store_b32 v1, v0 offset:128
.LBB14_232:                             ;   in Loop: Header=BB14_12 Depth=1
	s_wait_alu 0xfffe
	s_or_b32 exec_lo, exec_lo, s4
	v_add_nc_u32_e32 v0, s94, v193
	s_xor_b32 s4, vcc_lo, -1
	s_delay_alu instid0(VALU_DEP_1)
	v_cmp_le_i32_e64 s3, s24, v0
	s_wait_alu 0xfffe
	s_or_b32 s3, s3, s4
	s_wait_alu 0xfffe
	s_and_saveexec_b32 s5, s3
	s_wait_alu 0xfffe
	s_xor_b32 s3, exec_lo, s5
; %bb.233:                              ;   in Loop: Header=BB14_12 Depth=1
	ds_store_b32 v194, v175 offset:128
                                        ; implicit-def: $vgpr0
; %bb.234:                              ;   in Loop: Header=BB14_12 Depth=1
	s_wait_alu 0xfffe
	s_and_not1_saveexec_b32 s3, s3
	s_cbranch_execz .LBB14_236
; %bb.235:                              ;   in Loop: Header=BB14_12 Depth=1
	v_mad_co_u64_u32 v[0:1], null, v0, s35, v[76:77]
	s_delay_alu instid0(VALU_DEP_1) | instskip(NEXT) | instid1(VALU_DEP_1)
	v_ashrrev_i32_e32 v1, 31, v0
	v_lshlrev_b64_e32 v[0:1], 3, v[0:1]
	s_delay_alu instid0(VALU_DEP_1) | instskip(SKIP_1) | instid1(VALU_DEP_2)
	v_add_co_u32 v0, vcc_lo, s92, v0
	s_wait_alu 0xfffd
	v_add_co_ci_u32_e64 v1, null, s93, v1, vcc_lo
	global_load_b64 v[0:1], v[0:1], off
	s_wait_loadcnt 0x0
	v_cvt_f16_f32_e32 v0, v0
	v_cvt_f16_f32_e32 v1, v1
	s_delay_alu instid0(VALU_DEP_1) | instskip(SKIP_1) | instid1(VALU_DEP_2)
	v_pack_b32_f16 v0, v0, v1
	v_add_nc_u32_e32 v1, v161, v192
	v_pk_mul_f16 v0, v0, s102
	ds_store_b32 v1, v0 offset:960
.LBB14_236:                             ;   in Loop: Header=BB14_12 Depth=1
	s_wait_alu 0xfffe
	s_or_b32 exec_lo, exec_lo, s3
	v_add_nc_u32_e32 v0, s94, v118
	s_delay_alu instid0(VALU_DEP_1)
	v_cmp_le_i32_e32 vcc_lo, s24, v0
	s_or_b32 s3, vcc_lo, s4
	s_wait_alu 0xfffe
	s_and_saveexec_b32 s5, s3
	s_wait_alu 0xfffe
	s_xor_b32 s3, exec_lo, s5
; %bb.237:                              ;   in Loop: Header=BB14_12 Depth=1
	ds_store_b32 v195, v175 offset:128
                                        ; implicit-def: $vgpr0
; %bb.238:                              ;   in Loop: Header=BB14_12 Depth=1
	s_wait_alu 0xfffe
	s_and_not1_saveexec_b32 s3, s3
	s_cbranch_execz .LBB14_240
; %bb.239:                              ;   in Loop: Header=BB14_12 Depth=1
	v_mad_co_u64_u32 v[0:1], null, v0, s35, v[76:77]
	s_delay_alu instid0(VALU_DEP_1) | instskip(NEXT) | instid1(VALU_DEP_1)
	v_ashrrev_i32_e32 v1, 31, v0
	v_lshlrev_b64_e32 v[0:1], 3, v[0:1]
	s_delay_alu instid0(VALU_DEP_1) | instskip(SKIP_1) | instid1(VALU_DEP_2)
	v_add_co_u32 v0, vcc_lo, s92, v0
	s_wait_alu 0xfffd
	v_add_co_ci_u32_e64 v1, null, s93, v1, vcc_lo
	global_load_b64 v[0:1], v[0:1], off
	s_wait_loadcnt 0x0
	v_cvt_f16_f32_e32 v0, v0
	v_cvt_f16_f32_e32 v1, v1
	s_delay_alu instid0(VALU_DEP_1) | instskip(SKIP_1) | instid1(VALU_DEP_2)
	v_pack_b32_f16 v0, v0, v1
	v_add_nc_u32_e32 v1, v161, v192
	v_pk_mul_f16 v0, v0, s102
	ds_store_b32 v1, v0 offset:1792
.LBB14_240:                             ;   in Loop: Header=BB14_12 Depth=1
	s_wait_alu 0xfffe
	s_or_b32 exec_lo, exec_lo, s3
	v_add_nc_u32_e32 v0, s94, v119
	s_delay_alu instid0(VALU_DEP_1)
	v_cmp_le_i32_e32 vcc_lo, s24, v0
	s_or_b32 s3, vcc_lo, s4
	s_wait_alu 0xfffe
	s_and_saveexec_b32 s4, s3
	s_wait_alu 0xfffe
	s_xor_b32 s3, exec_lo, s4
; %bb.241:                              ;   in Loop: Header=BB14_12 Depth=1
	ds_store_b32 v196, v175 offset:128
                                        ; implicit-def: $vgpr0
; %bb.242:                              ;   in Loop: Header=BB14_12 Depth=1
	s_wait_alu 0xfffe
	s_and_not1_saveexec_b32 s3, s3
	s_cbranch_execz .LBB14_244
; %bb.243:                              ;   in Loop: Header=BB14_12 Depth=1
	v_mad_co_u64_u32 v[0:1], null, v0, s35, v[76:77]
	s_delay_alu instid0(VALU_DEP_1) | instskip(NEXT) | instid1(VALU_DEP_1)
	v_ashrrev_i32_e32 v1, 31, v0
	v_lshlrev_b64_e32 v[0:1], 3, v[0:1]
	s_delay_alu instid0(VALU_DEP_1) | instskip(SKIP_1) | instid1(VALU_DEP_2)
	v_add_co_u32 v0, vcc_lo, s92, v0
	s_wait_alu 0xfffd
	v_add_co_ci_u32_e64 v1, null, s93, v1, vcc_lo
	global_load_b64 v[0:1], v[0:1], off
	s_wait_loadcnt 0x0
	v_cvt_f16_f32_e32 v0, v0
	v_cvt_f16_f32_e32 v1, v1
	s_delay_alu instid0(VALU_DEP_1) | instskip(SKIP_1) | instid1(VALU_DEP_2)
	v_pack_b32_f16 v0, v0, v1
	v_add_nc_u32_e32 v1, v161, v192
	v_pk_mul_f16 v0, v0, s102
	ds_store_b32 v1, v0 offset:2624
.LBB14_244:                             ;   in Loop: Header=BB14_12 Depth=1
	s_wait_alu 0xfffe
	s_or_b32 exec_lo, exec_lo, s3
	s_wait_storecnt_dscnt 0x0
	s_barrier_signal -1
	s_barrier_wait -1
	global_inv scope:SCOPE_SE
	ds_load_b128 v[44:47], v104
	ds_load_b128 v[40:43], v104 offset:32
	ds_load_b128 v[32:35], v104 offset:64
	;; [unrolled: 1-line block ×5, first 2 shown]
	s_cmp_gt_i32 s40, 1
	s_mov_b32 s3, -1
	s_wait_loadcnt_dscnt 0x0
	s_barrier_signal -1
	s_barrier_wait -1
	global_inv scope:SCOPE_SE
                                        ; implicit-def: $vgpr89_vgpr90
                                        ; implicit-def: $vgpr87_vgpr88
                                        ; implicit-def: $vgpr226
                                        ; implicit-def: $vgpr227
	s_cbranch_scc1 .LBB14_246
; %bb.245:                              ;   in Loop: Header=BB14_12 Depth=1
	v_dual_mov_b32 v227, 32 :: v_dual_add_nc_u32 v0, s94, v116
	v_add_nc_u32_e32 v1, s94, v177
	v_xor_b32_e32 v226, 16, v224
	s_mov_b32 s3, 0
	s_delay_alu instid0(VALU_DEP_3) | instskip(NEXT) | instid1(VALU_DEP_3)
	v_mul_hi_u32 v2, s6, v0
	v_mul_hi_u32 v3, s6, v1
	s_delay_alu instid0(VALU_DEP_2) | instskip(NEXT) | instid1(VALU_DEP_2)
	v_add_nc_u32_e32 v2, v0, v2
	v_add_nc_u32_e32 v3, v1, v3
	s_delay_alu instid0(VALU_DEP_2) | instskip(NEXT) | instid1(VALU_DEP_2)
	v_lshrrev_b32_e32 v2, s7, v2
	v_lshrrev_b32_e32 v3, s7, v3
	s_delay_alu instid0(VALU_DEP_2) | instskip(NEXT) | instid1(VALU_DEP_2)
	v_mul_lo_u32 v2, v2, s24
	v_mul_lo_u32 v3, v3, s24
	s_delay_alu instid0(VALU_DEP_2) | instskip(NEXT) | instid1(VALU_DEP_2)
	v_sub_nc_u32_e32 v0, v0, v2
	v_sub_nc_u32_e32 v1, v1, v3
	s_delay_alu instid0(VALU_DEP_2) | instskip(NEXT) | instid1(VALU_DEP_2)
	v_mad_co_i64_i32 v[89:90], null, v0, s38, 0
	v_mad_co_i64_i32 v[87:88], null, v1, s38, 0
.LBB14_246:                             ;   in Loop: Header=BB14_12 Depth=1
	s_wait_alu 0xfffe
	s_and_not1_b32 vcc_lo, exec_lo, s3
	s_wait_alu 0xfffe
	s_cbranch_vccnz .LBB14_250
; %bb.247:                              ;   in Loop: Header=BB14_12 Depth=1
	s_add_nc_u64 s[4:5], s[88:89], s[90:91]
	v_xor_b32_e32 v226, 16, v224
	s_wait_alu 0xfffe
	v_add_co_u32 v229, vcc_lo, v163, s4
	v_dual_mov_b32 v225, 0 :: v_dual_add_nc_u32 v0, s94, v116
	s_wait_alu 0xfffd
	v_add_co_ci_u32_e64 v230, null, s5, v164, vcc_lo
	v_add_co_u32 v232, vcc_lo, v166, s4
	s_wait_alu 0xfffd
	v_add_co_ci_u32_e64 v234, null, s5, v167, vcc_lo
	v_cmp_gt_i32_e32 vcc_lo, 32, v226
	v_add_nc_u32_e32 v1, s94, v177
	v_mul_hi_u32 v2, s6, v0
	v_mov_b32_e32 v227, 32
	v_readlane_b32 s88, v255, 9
	s_wait_alu 0xfffd
	v_cndmask_b32_e32 v4, v224, v226, vcc_lo
	v_mul_hi_u32 v3, s6, v1
	v_mov_b32_e32 v8, 0
	v_add_co_u32 v235, vcc_lo, v208, s4
	v_add_nc_u32_e32 v2, v0, v2
	s_mov_b32 s34, s88
	s_wait_alu 0xfffd
	v_add_co_ci_u32_e64 v236, null, s5, v209, vcc_lo
	v_add_nc_u32_e32 v3, v1, v3
	v_lshrrev_b32_e32 v2, s7, v2
	v_dual_mov_b32 v228, 0xfeffffff :: v_dual_lshlrev_b32 v237, 2, v4
	v_dual_mov_b32 v12, 0 :: v_dual_mov_b32 v13, v225
	s_delay_alu instid0(VALU_DEP_4) | instskip(NEXT) | instid1(VALU_DEP_4)
	v_lshrrev_b32_e32 v3, s7, v3
	v_mul_lo_u32 v2, v2, s24
	v_dual_mov_b32 v14, v225 :: v_dual_mov_b32 v15, v225
	v_dual_mov_b32 v9, v8 :: v_dual_mov_b32 v10, v8
	s_delay_alu instid0(VALU_DEP_4)
	v_mul_lo_u32 v3, v3, s24
	v_dual_mov_b32 v11, v8 :: v_dual_mov_b32 v16, 0
	v_sub_nc_u32_e32 v233, v0, v2
	v_dual_mov_b32 v17, v225 :: v_dual_mov_b32 v18, v225
	v_dual_mov_b32 v19, v225 :: v_dual_mov_b32 v20, v8
	v_sub_nc_u32_e32 v231, v1, v3
	s_wait_alu 0xfffe
	v_mad_co_i64_i32 v[0:1], null, s34, v233, s[86:87]
	v_dual_mov_b32 v21, v8 :: v_dual_mov_b32 v22, v8
	s_delay_alu instid0(VALU_DEP_3) | instskip(SKIP_1) | instid1(VALU_DEP_4)
	v_mad_co_i64_i32 v[2:3], null, s34, v231, s[86:87]
	v_dual_mov_b32 v23, v8 :: v_dual_mov_b32 v4, v8
	v_add_co_u32 v87, vcc_lo, v206, v0
	s_wait_alu 0xfffd
	v_add_co_ci_u32_e64 v88, null, v207, v1, vcc_lo
	s_delay_alu instid0(VALU_DEP_4)
	v_add_co_u32 v89, vcc_lo, v206, v2
	s_wait_alu 0xfffd
	v_add_co_ci_u32_e64 v90, null, v207, v3, vcc_lo
	v_add_co_u32 v238, vcc_lo, v210, s4
	s_wait_alu 0xfffd
	v_add_co_ci_u32_e64 v239, null, s5, v211, vcc_lo
	;; [unrolled: 3-line block ×4, first 2 shown]
	s_add_nc_u64 s[4:5], s[84:85], s[82:83]
	v_dual_mov_b32 v5, v8 :: v_dual_mov_b32 v6, v8
	s_wait_alu 0xfffe
	v_add_co_u32 v244, vcc_lo, v169, s4
	s_wait_alu 0xfffd
	v_add_co_ci_u32_e64 v245, null, s5, v170, vcc_lo
	v_add_co_u32 v246, vcc_lo, v171, s4
	s_wait_alu 0xfffd
	v_add_co_ci_u32_e64 v247, null, s5, v172, vcc_lo
	;; [unrolled: 3-line block ×6, first 2 shown]
	v_dual_mov_b32 v7, v8 :: v_dual_mov_b32 v0, 0
	v_dual_mov_b32 v1, v225 :: v_dual_mov_b32 v2, v225
	v_mov_b32_e32 v3, v225
	s_add_co_i32 s34, s40, -1
	v_readlane_b32 s89, v255, 10
	s_wait_alu 0xfffe
	s_mov_b32 s40, s34
.LBB14_248:                             ;   Parent Loop BB14_12 Depth=1
                                        ; =>  This Inner Loop Header: Depth=2
	global_load_b32 v82, v[87:88], off
	global_load_b32 v83, v[89:90], off
	v_add_nc_u32_e32 v81, v178, v176
	s_wait_alu 0xfffe
	s_add_co_i32 s40, s40, -1
	s_wait_alu 0xfffe
	s_cmp_lg_u32 s40, 0
	v_add_nc_u32_e32 v81, 0x1800, v81
	s_wait_loadcnt 0x0
	ds_store_2addr_b32 v81, v82, v83 offset0:128 offset1:208
	v_add_co_u32 v81, vcc_lo, v244, v162
	s_wait_alu 0xfffd
	v_add_co_ci_u32_e64 v82, null, 0, v245, vcc_lo
	v_add_co_u32 v83, vcc_lo, v246, v162
	s_wait_alu 0xfffd
	v_add_co_ci_u32_e64 v84, null, 0, v247, vcc_lo
	global_load_b128 v[136:139], v[81:82], off
	global_load_b128 v[140:143], v[83:84], off
	v_add_co_u32 v81, vcc_lo, v248, v168
	s_wait_alu 0xfffd
	v_add_co_ci_u32_e64 v82, null, 0, v249, vcc_lo
	v_add_co_u32 v83, vcc_lo, v250, v168
	s_wait_alu 0xfffd
	v_add_co_ci_u32_e64 v84, null, 0, v251, vcc_lo
	s_wait_loadcnt 0x1
	ds_store_b128 v114, v[136:139]
	s_wait_loadcnt 0x0
	ds_store_b128 v115, v[140:143]
	global_load_b128 v[136:139], v[81:82], off
	global_load_b128 v[140:143], v[83:84], off
	v_add_co_u32 v81, vcc_lo, v252, v168
	s_wait_alu 0xfffd
	v_add_co_ci_u32_e64 v82, null, 0, v253, vcc_lo
	v_add_co_u32 v83, vcc_lo, v254, v168
	s_wait_alu 0xfffd
	v_add_co_ci_u32_e64 v84, null, 0, v144, vcc_lo
	s_wait_loadcnt 0x1
	ds_store_b128 v106, v[136:139]
	s_wait_loadcnt 0x0
	ds_store_b128 v179, v[140:143]
	global_load_b128 v[136:139], v[81:82], off
	global_load_b128 v[140:143], v[83:84], off
	s_wait_loadcnt 0x1
	ds_store_b128 v180, v[136:139]
	s_wait_loadcnt 0x0
	ds_store_b128 v181, v[140:143]
	s_wait_dscnt 0x0
	s_barrier_signal -1
	s_barrier_wait -1
	global_inv scope:SCOPE_SE
	ds_load_b128 v[202:205], v107
	ds_load_b128 v[81:84], v107 offset:32
	s_wait_dscnt 0x1
	v_wmma_f32_16x16x16_f16 v[136:143], v[202:205], v[44:47], 0
	s_wait_dscnt 0x0
	s_delay_alu instid0(VALU_DEP_1)
	v_wmma_f32_16x16x16_f16 v[136:143], v[81:84], v[40:43], v[136:143]
	ds_load_b128 v[81:84], v107 offset:64
	ds_load_b128 v[202:205], v107 offset:96
	s_wait_dscnt 0x1
	v_wmma_f32_16x16x16_f16 v[136:143], v[81:84], v[32:35], v[136:143]
	s_wait_dscnt 0x0
	s_delay_alu instid0(VALU_DEP_1)
	v_wmma_f32_16x16x16_f16 v[136:143], v[202:205], v[36:39], v[136:143]
	ds_load_b128 v[81:84], v107 offset:128
	ds_load_b128 v[202:205], v107 offset:160
	s_wait_loadcnt_dscnt 0x0
	s_barrier_signal -1
	s_barrier_wait -1
	global_inv scope:SCOPE_SE
	v_wmma_f32_16x16x16_f16 v[136:143], v[81:84], v[28:31], v[136:143]
	s_delay_alu instid0(VALU_DEP_1)
	v_wmma_f32_16x16x16_f16 v[136:143], v[202:205], v[24:27], v[136:143]
	v_add_nc_u32_e32 v81, 0x1a00, v108
	v_add_nc_u32_e32 v83, 0x1a08, v108
	ds_load_2addr_b32 v[81:82], v81 offset1:1
	ds_load_2addr_b32 v[83:84], v83 offset1:1
	s_wait_dscnt 0x1
	v_cvt_f32_f16_e32 v127, v81
	v_lshrrev_b32_e32 v81, 16, v81
	v_cvt_f32_f16_e64 v128, v82
	v_lshrrev_b32_e32 v82, 16, v82
	s_wait_dscnt 0x0
	v_cvt_f32_f16_e64 v129, v83
	v_lshrrev_b32_e32 v83, 16, v83
	v_cvt_f32_f16_e32 v81, v81
	v_add_f32_e32 v160, v136, v127
	v_cvt_f32_f16_e32 v82, v82
	v_lshrrev_b32_e32 v130, 16, v84
	v_cvt_f32_f16_e32 v84, v84
	v_add_f32_e32 v80, v137, v81
	v_add_co_u32 v81, vcc_lo, v229, v162
	v_add_f32_e32 v79, v139, v82
	s_wait_alu 0xfffd
	v_add_co_ci_u32_e64 v82, null, 0, v230, vcc_lo
	v_add_co_u32 v127, vcc_lo, v232, v162
	v_cvt_f32_f16_e32 v83, v83
	v_add_f32_e32 v200, v138, v128
	s_wait_alu 0xfffd
	v_add_co_ci_u32_e64 v128, null, 0, v234, vcc_lo
	v_add_f32_e32 v131, v140, v129
	v_add_f32_e32 v201, v141, v83
	;; [unrolled: 1-line block ×3, first 2 shown]
	global_load_b128 v[81:84], v[81:82], off
	global_load_b128 v[136:139], v[127:128], off
	v_cvt_f32_f16_e64 v130, v130
	s_wait_loadcnt 0x1
	ds_store_b128 v114, v[81:84]
	s_wait_loadcnt 0x0
	ds_store_b128 v115, v[136:139]
	v_add_co_u32 v81, vcc_lo, v235, v168
	s_wait_alu 0xfffd
	v_add_co_ci_u32_e64 v82, null, 0, v236, vcc_lo
	v_add_co_u32 v127, vcc_lo, v238, v168
	s_wait_alu 0xfffd
	v_add_co_ci_u32_e64 v128, null, 0, v239, vcc_lo
	global_load_b128 v[81:84], v[81:82], off
	global_load_b128 v[136:139], v[127:128], off
	v_add_f32_e32 v154, v143, v130
	s_wait_loadcnt 0x1
	ds_store_b128 v106, v[81:84]
	s_wait_loadcnt 0x0
	ds_store_b128 v179, v[136:139]
	v_add_co_u32 v81, vcc_lo, v240, v168
	s_wait_alu 0xfffd
	v_add_co_ci_u32_e64 v82, null, 0, v241, vcc_lo
	v_add_co_u32 v127, vcc_lo, v242, v168
	s_wait_alu 0xfffd
	v_add_co_ci_u32_e64 v128, null, 0, v243, vcc_lo
	global_load_b128 v[81:84], v[81:82], off
	global_load_b128 v[136:139], v[127:128], off
	s_wait_loadcnt 0x1
	ds_store_b128 v180, v[81:84]
	s_wait_loadcnt 0x0
	ds_store_b128 v181, v[136:139]
	v_add_nc_u32_e32 v81, 0x200, v110
	s_wait_dscnt 0x0
	s_barrier_signal -1
	s_barrier_wait -1
	global_inv scope:SCOPE_SE
	ds_load_2addr_b32 v[81:82], v81 offset0:112 offset1:132
	ds_load_2addr_b32 v[127:128], v110 offset0:208 offset1:224
	ds_load_2addr_b32 v[129:130], v111 offset1:16
	ds_load_2addr_b32 v[132:133], v112 offset1:16
	s_wait_dscnt 0x2
	v_perm_b32 v83, v82, v127, 0x7060302
	v_perm_b32 v138, v82, v127, 0x5040100
	v_add_nc_u32_e32 v82, 0x400, v110
	s_wait_dscnt 0x0
	v_perm_b32 v84, v132, v129, 0x7060302
	v_perm_b32 v139, v132, v129, 0x5040100
	;; [unrolled: 1-line block ×4, first 2 shown]
	ds_load_2addr_b32 v[134:135], v82 offset0:20 offset1:36
	s_wait_dscnt 0x0
	v_perm_b32 v142, v134, v128, 0x7060302
	v_perm_b32 v204, v134, v128, 0x5040100
	ds_load_2addr_b32 v[127:128], v110 offset0:104 offset1:120
	ds_load_2addr_b32 v[129:130], v110 offset0:136 offset1:156
	;; [unrolled: 1-line block ×3, first 2 shown]
	v_perm_b32 v134, v135, v81, 0x7060302
	v_perm_b32 v159, v135, v81, 0x5040100
	v_mov_b32_e32 v135, v228
	s_wait_dscnt 0x1
	v_perm_b32 v82, v130, v127, 0x7060302
	v_perm_b32 v137, v130, v127, 0x5040100
	s_wait_dscnt 0x0
	v_perm_b32 v141, v157, v128, 0x7060302
	v_perm_b32 v203, v157, v128, 0x5040100
	;; [unrolled: 1-line block ×4, first 2 shown]
	ds_load_2addr_b32 v[127:128], v110 offset1:16
	ds_load_2addr_b32 v[129:130], v110 offset0:32 offset1:52
	ds_load_2addr_b32 v[155:156], v110 offset0:68 offset1:84
	s_wait_dscnt 0x1
	v_perm_b32 v81, v130, v127, 0x7060302
	v_perm_b32 v136, v130, v127, 0x5040100
	s_wait_dscnt 0x0
	v_perm_b32 v140, v155, v128, 0x7060302
	v_perm_b32 v202, v155, v128, 0x5040100
	v_add_f32_e32 v127, 0x40051340, v160
	v_add_f32_e32 v128, 0x40051340, v80
	v_perm_b32 v132, v156, v129, 0x7060302
	v_perm_b32 v157, v156, v129, 0x5040100
	v_add_f32_e32 v129, 0x40051340, v79
	s_delay_alu instid0(VALU_DEP_4) | instskip(SKIP_1) | instid1(VALU_DEP_1)
	v_max3_num_f32 v127, v135, v127, v128
	v_add_f32_e32 v128, 0x40051340, v200
	v_max3_num_f32 v127, v127, v128, v129
	v_dual_add_f32 v128, 0x40051340, v131 :: v_dual_add_f32 v129, 0x40051340, v201
	s_delay_alu instid0(VALU_DEP_1) | instskip(SKIP_1) | instid1(VALU_DEP_1)
	v_max3_num_f32 v127, v127, v128, v129
	v_dual_add_f32 v128, 0x40051340, v153 :: v_dual_add_f32 v129, 0x40051340, v154
	v_max3_num_f32 v127, v127, v128, v129
	ds_bpermute_b32 v128, v237, v127
	s_wait_dscnt 0x0
	v_max_num_f32_e32 v128, v128, v128
	s_delay_alu instid0(VALU_DEP_1) | instskip(NEXT) | instid1(VALU_DEP_1)
	v_max_num_f32_e32 v228, v127, v128
	v_sub_f32_e32 v127, v131, v228
	v_sub_f32_e32 v153, v153, v228
	v_sub_f32_e32 v79, v79, v228
	v_sub_f32_e32 v80, v80, v228
	v_sub_f32_e32 v154, v154, v228
	v_mul_f32_e32 v128, 0x3fb8aa3b, v127
	v_cmp_ngt_f32_e64 s3, 0xc2ce8ed0, v153
	v_sub_f32_e32 v135, v135, v228
	s_delay_alu instid0(VALU_DEP_4) | instskip(NEXT) | instid1(VALU_DEP_4)
	v_cmp_ngt_f32_e64 s4, 0xc2ce8ed0, v154
	v_fma_f32 v129, 0x3fb8aa3b, v127, -v128
	v_rndne_f32_e32 v130, v128
	s_delay_alu instid0(VALU_DEP_1) | instskip(SKIP_1) | instid1(VALU_DEP_2)
	v_dual_fmac_f32 v129, 0x32a5705f, v127 :: v_dual_sub_f32 v128, v128, v130
	v_cvt_i32_f32_e32 v130, v130
	v_dual_add_f32 v128, v128, v129 :: v_dual_sub_f32 v129, v201, v228
	v_cmp_ngt_f32_e64 s5, 0xc2ce8ed0, v127
	s_delay_alu instid0(VALU_DEP_2) | instskip(NEXT) | instid1(VALU_DEP_2)
	v_exp_f32_e32 v128, v128
	v_mul_f32_e32 v131, 0x3fb8aa3b, v129
	v_cmp_ngt_f32_e32 vcc_lo, 0xc2ce8ed0, v129
	s_delay_alu instid0(VALU_DEP_2) | instskip(SKIP_1) | instid1(TRANS32_DEP_1)
	v_fma_f32 v155, 0x3fb8aa3b, v129, -v131
	v_rndne_f32_e32 v156, v131
	v_ldexp_f32 v128, v128, v130
	s_delay_alu instid0(VALU_DEP_3) | instskip(NEXT) | instid1(VALU_DEP_3)
	v_fmac_f32_e32 v155, 0x32a5705f, v129
	v_sub_f32_e32 v131, v131, v156
	s_wait_alu 0xf1ff
	s_delay_alu instid0(VALU_DEP_3) | instskip(SKIP_1) | instid1(VALU_DEP_3)
	v_cndmask_b32_e64 v128, 0, v128, s5
	v_cmp_nlt_f32_e64 s5, 0x42b17218, v127
	v_add_f32_e32 v131, v131, v155
	v_mul_f32_e32 v155, 0x3fb8aa3b, v153
	s_delay_alu instid0(VALU_DEP_2) | instskip(NEXT) | instid1(VALU_DEP_1)
	v_exp_f32_e32 v131, v131
	v_fma_f32 v201, 0x3fb8aa3b, v153, -v155
	v_rndne_f32_e32 v126, v155
	s_delay_alu instid0(VALU_DEP_2) | instskip(NEXT) | instid1(VALU_DEP_2)
	v_fmac_f32_e32 v201, 0x32a5705f, v153
	v_sub_f32_e32 v155, v155, v126
	v_cvt_i32_f32_e32 v126, v126
	s_delay_alu instid0(VALU_DEP_2) | instskip(SKIP_1) | instid1(VALU_DEP_2)
	v_add_f32_e32 v155, v155, v201
	v_mul_f32_e32 v201, 0x3fb8aa3b, v154
	v_exp_f32_e32 v130, v155
	s_delay_alu instid0(VALU_DEP_1) | instskip(SKIP_1) | instid1(VALU_DEP_2)
	v_fma_f32 v151, 0x3fb8aa3b, v154, -v201
	v_rndne_f32_e32 v152, v201
	v_fmac_f32_e32 v151, 0x32a5705f, v154
	s_delay_alu instid0(VALU_DEP_2) | instskip(NEXT) | instid1(TRANS32_DEP_1)
	v_sub_f32_e32 v201, v201, v152
	v_ldexp_f32 v126, v130, v126
	v_cvt_i32_f32_e32 v130, v156
	s_delay_alu instid0(VALU_DEP_3) | instskip(NEXT) | instid1(VALU_DEP_3)
	v_add_f32_e32 v151, v201, v151
	v_cndmask_b32_e64 v126, 0, v126, s3
	s_delay_alu instid0(VALU_DEP_3) | instskip(NEXT) | instid1(VALU_DEP_3)
	v_ldexp_f32 v130, v131, v130
	v_exp_f32_e32 v151, v151
	v_cvt_i32_f32_e32 v131, v152
	v_cmp_nlt_f32_e64 s3, 0x42b17218, v153
	s_wait_alu 0xfffd
	v_cndmask_b32_e32 v130, 0, v130, vcc_lo
	v_cmp_nlt_f32_e32 vcc_lo, 0x42b17218, v129
	s_wait_alu 0xf1ff
	v_cndmask_b32_e64 v126, 0x7f800000, v126, s3
	s_delay_alu instid0(TRANS32_DEP_1) | instskip(SKIP_3) | instid1(VALU_DEP_3)
	v_ldexp_f32 v131, v151, v131
	s_wait_alu 0xfffd
	v_cndmask_b32_e32 v152, 0x7f800000, v130, vcc_lo
	v_cmp_ngt_f32_e32 vcc_lo, 0xc2ce8ed0, v79
	v_cndmask_b32_e64 v129, 0, v131, s4
	v_cmp_nlt_f32_e64 s4, 0x42b17218, v154
	v_cndmask_b32_e64 v131, 0x7f800000, v128, s5
	v_cvt_f16_f32_e64 v128, v126
	v_cvt_f16_f32_e64 v153, v152
	s_wait_alu 0xf1ff
	v_cndmask_b32_e64 v151, 0x7f800000, v129, s4
	v_cvt_f16_f32_e64 v127, v131
	s_delay_alu instid0(VALU_DEP_2) | instskip(NEXT) | instid1(VALU_DEP_1)
	v_cvt_f16_f32_e64 v129, v151
	v_perm_b32 v130, v129, v128, 0x5040100
	s_delay_alu instid0(VALU_DEP_3) | instskip(SKIP_1) | instid1(VALU_DEP_1)
	v_perm_b32 v129, v153, v127, 0x5040100
	v_mul_f32_e32 v127, 0x3fb8aa3b, v79
	v_fma_f32 v128, 0x3fb8aa3b, v79, -v127
	v_rndne_f32_e32 v153, v127
	s_delay_alu instid0(VALU_DEP_1) | instskip(SKIP_1) | instid1(VALU_DEP_2)
	v_dual_fmac_f32 v128, 0x32a5705f, v79 :: v_dual_sub_f32 v127, v127, v153
	v_cvt_i32_f32_e32 v153, v153
	v_add_f32_e32 v127, v127, v128
	v_sub_f32_e32 v128, v200, v228
	s_delay_alu instid0(VALU_DEP_2) | instskip(NEXT) | instid1(VALU_DEP_1)
	v_exp_f32_e32 v127, v127
	v_mul_f32_e32 v154, 0x3fb8aa3b, v128
	v_cmp_ngt_f32_e64 s3, 0xc2ce8ed0, v128
	s_delay_alu instid0(VALU_DEP_2) | instskip(SKIP_1) | instid1(TRANS32_DEP_1)
	v_fma_f32 v155, 0x3fb8aa3b, v128, -v154
	v_rndne_f32_e32 v156, v154
	v_ldexp_f32 v127, v127, v153
	s_delay_alu instid0(VALU_DEP_3) | instskip(NEXT) | instid1(VALU_DEP_3)
	v_fmac_f32_e32 v155, 0x32a5705f, v128
	v_sub_f32_e32 v154, v154, v156
	v_cvt_i32_f32_e32 v153, v156
	s_wait_alu 0xfffd
	v_cndmask_b32_e32 v127, 0, v127, vcc_lo
	v_cmp_nlt_f32_e32 vcc_lo, 0x42b17218, v79
	v_add_f32_e32 v154, v154, v155
	s_delay_alu instid0(VALU_DEP_1) | instskip(NEXT) | instid1(TRANS32_DEP_1)
	v_exp_f32_e32 v154, v154
	v_ldexp_f32 v153, v154, v153
	s_wait_alu 0xf1ff
	s_delay_alu instid0(VALU_DEP_1)
	v_cndmask_b32_e64 v79, 0, v153, s3
	v_cmp_nlt_f32_e64 s3, 0x42b17218, v128
	s_wait_alu 0xfffd
	v_cndmask_b32_e32 v153, 0x7f800000, v127, vcc_lo
	v_cmp_ngt_f32_e32 vcc_lo, 0xc2ce8ed0, v80
	s_wait_alu 0xf1ff
	v_cndmask_b32_e64 v79, 0x7f800000, v79, s3
	s_delay_alu instid0(VALU_DEP_3) | instskip(NEXT) | instid1(VALU_DEP_2)
	v_cvt_f16_f32_e64 v128, v153
	v_cvt_f16_f32_e32 v127, v79
	s_delay_alu instid0(VALU_DEP_1) | instskip(SKIP_1) | instid1(VALU_DEP_1)
	v_perm_b32 v128, v128, v127, 0x5040100
	v_mul_f32_e32 v127, 0x3fb8aa3b, v80
	v_fma_f32 v154, 0x3fb8aa3b, v80, -v127
	v_rndne_f32_e32 v155, v127
	s_delay_alu instid0(VALU_DEP_1) | instskip(SKIP_1) | instid1(VALU_DEP_2)
	v_dual_fmac_f32 v154, 0x32a5705f, v80 :: v_dual_sub_f32 v127, v127, v155
	v_cvt_i32_f32_e32 v155, v155
	v_dual_add_f32 v127, v127, v154 :: v_dual_sub_f32 v154, v160, v228
	s_delay_alu instid0(VALU_DEP_1) | instskip(NEXT) | instid1(VALU_DEP_1)
	v_exp_f32_e32 v127, v127
	v_mul_f32_e32 v156, 0x3fb8aa3b, v154
	v_cmp_ngt_f32_e64 s3, 0xc2ce8ed0, v154
	s_delay_alu instid0(VALU_DEP_2) | instskip(SKIP_1) | instid1(TRANS32_DEP_1)
	v_fma_f32 v160, 0x3fb8aa3b, v154, -v156
	v_rndne_f32_e32 v200, v156
	v_ldexp_f32 v127, v127, v155
	s_delay_alu instid0(VALU_DEP_3) | instskip(NEXT) | instid1(VALU_DEP_3)
	v_fmac_f32_e32 v160, 0x32a5705f, v154
	v_sub_f32_e32 v156, v156, v200
	v_cvt_i32_f32_e32 v155, v200
	s_wait_alu 0xfffd
	v_cndmask_b32_e32 v127, 0, v127, vcc_lo
	v_cmp_nlt_f32_e32 vcc_lo, 0x42b17218, v80
	v_add_f32_e32 v156, v156, v160
	s_delay_alu instid0(VALU_DEP_1) | instskip(NEXT) | instid1(TRANS32_DEP_1)
	v_exp_f32_e32 v156, v156
	v_ldexp_f32 v155, v156, v155
	s_wait_alu 0xf1ff
	s_delay_alu instid0(VALU_DEP_1)
	v_cndmask_b32_e64 v80, 0, v155, s3
	v_cmp_nlt_f32_e64 s3, 0x42b17218, v154
	s_wait_alu 0xfffd
	v_cndmask_b32_e32 v154, 0x7f800000, v127, vcc_lo
	v_cmp_ngt_f32_e32 vcc_lo, 0xc2ce8ed0, v135
	s_wait_alu 0xf1ff
	v_cndmask_b32_e64 v80, 0x7f800000, v80, s3
	s_delay_alu instid0(VALU_DEP_3) | instskip(NEXT) | instid1(VALU_DEP_2)
	v_cvt_f16_f32_e64 v155, v154
	v_cvt_f16_f32_e32 v127, v80
	v_add_f32_e32 v80, v80, v154
	s_delay_alu instid0(VALU_DEP_2) | instskip(SKIP_1) | instid1(VALU_DEP_3)
	v_perm_b32 v127, v155, v127, 0x5040100
	v_mul_f32_e32 v155, 0x3fb8aa3b, v135
	v_dual_add_f32 v79, v79, v80 :: v_dual_mov_b32 v80, v225
	s_delay_alu instid0(VALU_DEP_2) | instskip(SKIP_1) | instid1(VALU_DEP_3)
	v_fma_f32 v156, 0x3fb8aa3b, v135, -v155
	v_rndne_f32_e32 v160, v155
	v_add_f32_e32 v79, v153, v79
	s_delay_alu instid0(VALU_DEP_2) | instskip(NEXT) | instid1(VALU_DEP_2)
	v_dual_fmac_f32 v156, 0x32a5705f, v135 :: v_dual_sub_f32 v155, v155, v160
	v_add_f32_e32 v79, v131, v79
	s_delay_alu instid0(VALU_DEP_2) | instskip(SKIP_1) | instid1(VALU_DEP_3)
	v_add_f32_e32 v155, v155, v156
	v_cvt_i32_f32_e32 v156, v160
	v_add_f32_e32 v79, v152, v79
	s_delay_alu instid0(VALU_DEP_3) | instskip(NEXT) | instid1(VALU_DEP_1)
	v_exp_f32_e32 v155, v155
	v_add_f32_e32 v79, v126, v79
	s_delay_alu instid0(VALU_DEP_1) | instskip(NEXT) | instid1(TRANS32_DEP_1)
	v_add_f32_e32 v225, v151, v79
	v_ldexp_f32 v155, v155, v156
	s_wait_alu 0xfffd
	s_delay_alu instid0(VALU_DEP_1) | instskip(SKIP_2) | instid1(VALU_DEP_2)
	v_cndmask_b32_e32 v155, 0, v155, vcc_lo
	v_cmp_nlt_f32_e32 vcc_lo, 0x42b17218, v135
	s_wait_alu 0xfffd
	v_cndmask_b32_e32 v155, 0x7f800000, v155, vcc_lo
	v_cmp_le_f32_e32 vcc_lo, 0xc1a00000, v135
	s_wait_alu 0xfffd
	s_delay_alu instid0(VALU_DEP_2) | instskip(SKIP_3) | instid1(VALU_DEP_3)
	v_cndmask_b32_e32 v155, 0, v155, vcc_lo
	v_add_co_u32 v87, vcc_lo, v87, 64
	s_wait_alu 0xfffd
	v_add_co_ci_u32_e64 v88, null, 0, v88, vcc_lo
	v_cvt_f16_f32_e64 v135, v155
	v_add_co_u32 v89, vcc_lo, v89, 64
	s_wait_alu 0xfffd
	v_add_co_ci_u32_e64 v90, null, 0, v90, vcc_lo
	s_delay_alu instid0(VALU_DEP_3) | instskip(SKIP_3) | instid1(VALU_DEP_3)
	v_and_b32_e32 v135, 0xffff, v135
	v_add_co_u32 v229, vcc_lo, v229, s68
	s_wait_alu 0xfffd
	v_add_co_ci_u32_e64 v230, null, s69, v230, vcc_lo
	v_mul_u32_u24_e32 v156, 0x10001, v135
	v_add_co_u32 v232, vcc_lo, v232, s68
	s_wait_alu 0xfffd
	v_add_co_ci_u32_e64 v234, null, s69, v234, vcc_lo
	s_delay_alu instid0(VALU_DEP_3)
	v_pk_mul_f16 v16, v16, v156
	v_pk_mul_f16 v17, v17, v156
	;; [unrolled: 1-line block ×4, first 2 shown]
	v_add_co_u32 v235, vcc_lo, v235, s68
	s_wait_alu 0xfffd
	v_add_co_ci_u32_e64 v236, null, s69, v236, vcc_lo
	s_delay_alu instid0(VALU_DEP_3)
	v_wmma_f16_16x16x16_f16 v[16:19], v[81:84], v[127:130], v[16:19]
	ds_load_b32 v81, v111 offset:128
	ds_load_b32 v82, v112 offset:128
	v_add_co_u32 v238, vcc_lo, v238, s68
	s_wait_alu 0xfffd
	v_add_co_ci_u32_e64 v239, null, s69, v239, vcc_lo
	v_add_co_u32 v240, vcc_lo, v240, s68
	s_wait_alu 0xfffd
	v_add_co_ci_u32_e64 v241, null, s69, v241, vcc_lo
	;; [unrolled: 3-line block ×6, first 2 shown]
	v_add_co_u32 v250, vcc_lo, v250, s70
	v_pk_mul_f16 v20, v20, v156
	v_pk_mul_f16 v21, v21, v156
	v_pk_mul_f16 v22, v22, v156
	v_pk_mul_f16 v23, v23, v156
	v_pk_mul_f16 v8, v8, v156
	v_pk_mul_f16 v9, v9, v156
	v_pk_mul_f16 v10, v10, v156
	v_pk_mul_f16 v11, v11, v156
	v_pk_mul_f16 v12, v12, v156
	v_pk_mul_f16 v13, v13, v156
	v_pk_mul_f16 v14, v14, v156
	v_pk_mul_f16 v15, v15, v156
	v_pk_mul_f16 v4, v4, v156
	v_pk_mul_f16 v5, v5, v156
	v_pk_mul_f16 v6, v6, v156
	v_pk_mul_f16 v7, v7, v156
	s_wait_dscnt 0x0
	v_perm_b32 v160, v82, v81, 0x5040100
	v_perm_b32 v135, v82, v81, 0x7060302
	v_pk_mul_f16 v0, v0, v156
	v_pk_mul_f16 v1, v1, v156
	;; [unrolled: 1-line block ×4, first 2 shown]
	s_wait_alu 0xfffd
	v_add_co_ci_u32_e64 v251, null, s71, v251, vcc_lo
	v_add_co_u32 v252, vcc_lo, v252, s70
	s_wait_alu 0xfffd
	v_add_co_ci_u32_e64 v253, null, s71, v253, vcc_lo
	v_add_co_u32 v254, vcc_lo, v254, s70
	v_wmma_f16_16x16x16_f16 v[20:23], v[136:139], v[127:130], v[20:23]
	v_wmma_f16_16x16x16_f16 v[8:11], v[202:205], v[127:130], v[8:11]
	;; [unrolled: 1-line block ×5, first 2 shown]
	v_fmac_f32_e32 v225, v80, v155
	s_wait_alu 0xfffd
	v_add_co_ci_u32_e64 v144, null, s71, v144, vcc_lo
	s_wait_loadcnt 0x0
	s_barrier_signal -1
	s_barrier_wait -1
	global_inv scope:SCOPE_SE
	s_cbranch_scc1 .LBB14_248
; %bb.249:                              ;   in Loop: Header=BB14_12 Depth=1
	v_mad_co_i64_i32 v[89:90], null, v233, s38, 0
	v_mad_co_i64_i32 v[87:88], null, v231, s38, 0
	s_lshl_b32 s56, s34, 5
	s_wait_alu 0xfffe
	s_mov_b64 s[4:5], s[56:57]
	s_branch .LBB14_251
.LBB14_250:                             ;   in Loop: Header=BB14_12 Depth=1
	v_dual_mov_b32 v3, 0 :: v_dual_mov_b32 v228, 0xfeffffff
	v_mov_b32_e32 v7, 0
	v_mov_b32_e32 v225, 0
	s_mov_b64 s[4:5], 0
	s_delay_alu instid0(VALU_DEP_3) | instskip(NEXT) | instid1(VALU_DEP_3)
	v_dual_mov_b32 v2, v3 :: v_dual_mov_b32 v1, v3
	v_mov_b32_e32 v6, v7
	v_dual_mov_b32 v0, v3 :: v_dual_mov_b32 v5, v7
	v_dual_mov_b32 v4, v7 :: v_dual_mov_b32 v23, v7
	;; [unrolled: 1-line block ×9, first 2 shown]
	v_mov_b32_e32 v12, v3
.LBB14_251:                             ;   in Loop: Header=BB14_12 Depth=1
	v_lshlrev_b32_e32 v79, 1, v105
	s_wait_alu 0xfffe
	s_lshl_b64 s[40:41], s[4:5], 1
	v_lshlrev_b64_e32 v[81:82], 1, v[89:90]
	s_wait_alu 0xfffe
	s_add_nc_u64 s[40:41], s[80:81], s[40:41]
	v_lshlrev_b64_e32 v[83:84], 1, v[87:88]
	s_wait_alu 0xfffe
	v_add_co_u32 v79, s3, s40, v79
	s_wait_alu 0xf1ff
	v_add_co_ci_u32_e64 v80, null, s41, 0, s3
	s_mul_u64 s[40:41], s[4:5], s[26:27]
	v_add_co_u32 v81, vcc_lo, v79, v81
	s_wait_alu 0xfffd
	v_add_co_ci_u32_e64 v82, null, v80, v82, vcc_lo
	v_add_co_u32 v83, vcc_lo, v79, v83
	s_wait_alu 0xfffd
	v_add_co_ci_u32_e64 v84, null, v80, v84, vcc_lo
	s_clause 0x1
	global_load_b32 v79, v[81:82], off
	global_load_b32 v80, v[83:84], off
	v_add_nc_u32_e32 v81, v178, v176
	s_wait_alu 0xfffe
	s_lshl_b64 s[40:41], s[40:41], 2
	s_mul_u64 s[4:5], s[4:5], s[36:37]
	s_wait_alu 0xfffe
	s_add_nc_u64 s[40:41], s[78:79], s[40:41]
	s_lshl_b64 s[4:5], s[4:5], 2
	v_add_nc_u32_e32 v81, 0x1800, v81
	s_wait_alu 0xfffe
	s_add_nc_u64 s[4:5], s[76:77], s[4:5]
	s_cmp_eq_u64 s[74:75], 0
	s_wait_loadcnt 0x0
	ds_store_2addr_b32 v81, v79, v80 offset0:128 offset1:208
	v_add_co_u32 v79, vcc_lo, s40, v57
	s_wait_alu 0xfffd
	v_add_co_ci_u32_e64 v80, null, s41, v58, vcc_lo
	s_delay_alu instid0(VALU_DEP_2) | instskip(SKIP_1) | instid1(VALU_DEP_2)
	v_add_co_u32 v81, vcc_lo, v79, v173
	s_wait_alu 0xfffd
	v_add_co_ci_u32_e64 v82, null, 0, v80, vcc_lo
	v_add_co_u32 v79, vcc_lo, s40, v65
	s_wait_alu 0xfffd
	v_add_co_ci_u32_e64 v80, null, s41, v66, vcc_lo
	s_delay_alu instid0(VALU_DEP_2) | instskip(SKIP_1) | instid1(VALU_DEP_2)
	v_add_co_u32 v87, vcc_lo, v79, v173
	s_wait_alu 0xfffd
	v_add_co_ci_u32_e64 v88, null, 0, v80, vcc_lo
	s_clause 0x1
	global_load_b128 v[81:84], v[81:82], off offset:128
	global_load_b128 v[87:90], v[87:88], off offset:128
	v_add_co_u32 v79, vcc_lo, s40, v67
	s_wait_alu 0xfffd
	v_add_co_ci_u32_e64 v80, null, s41, v68, vcc_lo
	s_wait_loadcnt 0x1
	ds_store_b128 v114, v[81:84]
	s_wait_loadcnt 0x0
	ds_store_b128 v115, v[87:90]
	v_add_co_u32 v81, vcc_lo, v79, v174
	s_wait_alu 0xfffd
	v_add_co_ci_u32_e64 v82, null, 0, v80, vcc_lo
	v_add_co_u32 v79, vcc_lo, s40, v69
	s_wait_alu 0xfffd
	v_add_co_ci_u32_e64 v80, null, s41, v70, vcc_lo
	s_delay_alu instid0(VALU_DEP_2) | instskip(SKIP_1) | instid1(VALU_DEP_2)
	v_add_co_u32 v87, vcc_lo, v79, v174
	s_wait_alu 0xfffd
	v_add_co_ci_u32_e64 v88, null, 0, v80, vcc_lo
	s_clause 0x1
	global_load_b128 v[81:84], v[81:82], off
	global_load_b128 v[87:90], v[87:88], off
	v_add_co_u32 v79, vcc_lo, s40, v71
	s_wait_alu 0xfffd
	v_add_co_ci_u32_e64 v80, null, s41, v72, vcc_lo
	s_wait_loadcnt 0x1
	ds_store_b128 v106, v[81:84]
	s_wait_loadcnt 0x0
	ds_store_b128 v179, v[87:90]
	v_add_co_u32 v81, vcc_lo, v79, v174
	s_wait_alu 0xfffd
	v_add_co_ci_u32_e64 v82, null, 0, v80, vcc_lo
	v_add_co_u32 v79, vcc_lo, s40, v73
	s_wait_alu 0xfffd
	v_add_co_ci_u32_e64 v80, null, s41, v74, vcc_lo
	s_delay_alu instid0(VALU_DEP_2) | instskip(SKIP_1) | instid1(VALU_DEP_2)
	v_add_co_u32 v87, vcc_lo, v79, v174
	s_wait_alu 0xfffd
	v_add_co_ci_u32_e64 v88, null, 0, v80, vcc_lo
	s_clause 0x1
	global_load_b128 v[81:84], v[81:82], off
	global_load_b128 v[87:90], v[87:88], off
	v_cmp_lt_i32_e32 vcc_lo, v226, v227
	s_wait_loadcnt 0x1
	ds_store_b128 v180, v[81:84]
	s_wait_loadcnt 0x0
	ds_store_b128 v181, v[87:90]
	s_wait_dscnt 0x0
	s_barrier_signal -1
	s_barrier_wait -1
	global_inv scope:SCOPE_SE
	ds_load_b128 v[81:84], v107
	ds_load_b128 v[87:90], v107 offset:32
	s_wait_dscnt 0x1
	v_wmma_f32_16x16x16_f16 v[136:143], v[81:84], v[44:47], 0
	s_wait_dscnt 0x0
	s_delay_alu instid0(VALU_DEP_1)
	v_wmma_f32_16x16x16_f16 v[136:143], v[87:90], v[40:43], v[136:143]
	ds_load_b128 v[40:43], v107 offset:64
	ds_load_b128 v[44:47], v107 offset:96
	s_wait_dscnt 0x1
	v_wmma_f32_16x16x16_f16 v[136:143], v[40:43], v[32:35], v[136:143]
	s_wait_dscnt 0x0
	s_delay_alu instid0(VALU_DEP_1)
	v_wmma_f32_16x16x16_f16 v[136:143], v[44:47], v[36:39], v[136:143]
	ds_load_b128 v[32:35], v107 offset:128
	ds_load_b128 v[36:39], v107 offset:160
	s_wait_loadcnt_dscnt 0x0
	s_barrier_signal -1
	s_barrier_wait -1
	global_inv scope:SCOPE_SE
	v_wmma_f32_16x16x16_f16 v[136:143], v[32:35], v[28:31], v[136:143]
	s_delay_alu instid0(VALU_DEP_1)
	v_wmma_f32_16x16x16_f16 v[136:143], v[36:39], v[24:27], v[136:143]
	v_add_nc_u32_e32 v24, 0x1a00, v108
	v_add_nc_u32_e32 v26, 0x1a08, v108
	ds_load_2addr_b32 v[24:25], v24 offset1:1
	ds_load_2addr_b32 v[26:27], v26 offset1:1
	s_wait_dscnt 0x1
	v_cvt_f32_f16_e32 v28, v24
	v_lshrrev_b32_e32 v24, 16, v24
	v_cvt_f32_f16_e32 v29, v25
	v_lshrrev_b32_e32 v25, 16, v25
	s_wait_dscnt 0x0
	v_cvt_f32_f16_e32 v30, v26
	v_lshrrev_b32_e32 v26, 16, v26
	v_cvt_f32_f16_e32 v24, v24
	v_lshrrev_b32_e32 v31, 16, v27
	v_cvt_f32_f16_e32 v32, v27
	v_cvt_f32_f16_e32 v25, v25
	;; [unrolled: 1-line block ×3, first 2 shown]
	v_add_f32_e32 v26, v136, v28
	v_dual_add_f32 v27, v137, v24 :: v_dual_add_f32 v28, v138, v29
	v_cvt_f32_f16_e32 v31, v31
	s_delay_alu instid0(VALU_DEP_3) | instskip(NEXT) | instid1(VALU_DEP_3)
	v_dual_add_f32 v29, v139, v25 :: v_dual_add_f32 v24, 0x40051340, v26
	v_add_f32_e32 v25, 0x40051340, v27
	v_dual_add_f32 v79, v140, v30 :: v_dual_add_f32 v80, v141, v33
	s_delay_alu instid0(VALU_DEP_4) | instskip(NEXT) | instid1(VALU_DEP_4)
	v_add_f32_e32 v126, v143, v31
	v_add_f32_e32 v30, 0x40051340, v29
	s_delay_alu instid0(VALU_DEP_4) | instskip(SKIP_2) | instid1(VALU_DEP_2)
	v_max3_num_f32 v24, v228, v24, v25
	v_add_f32_e32 v25, 0x40051340, v28
	v_add_f32_e32 v90, v142, v32
	v_max3_num_f32 v24, v24, v25, v30
	v_dual_add_f32 v25, 0x40051340, v79 :: v_dual_add_f32 v30, 0x40051340, v80
	s_delay_alu instid0(VALU_DEP_1) | instskip(NEXT) | instid1(VALU_DEP_4)
	v_max3_num_f32 v24, v24, v25, v30
	v_add_f32_e32 v25, 0x40051340, v90
	v_add_f32_e32 v30, 0x40051340, v126
	s_delay_alu instid0(VALU_DEP_1) | instskip(SKIP_2) | instid1(VALU_DEP_1)
	v_max3_num_f32 v25, v24, v25, v30
	s_wait_alu 0xfffd
	v_cndmask_b32_e32 v24, v224, v226, vcc_lo
	v_lshlrev_b32_e32 v24, 2, v24
	ds_bpermute_b32 v30, v24, v25
	s_wait_dscnt 0x0
	v_max_num_f32_e32 v30, v30, v30
	s_delay_alu instid0(VALU_DEP_1) | instskip(NEXT) | instid1(VALU_DEP_1)
	v_max_num_f32_e32 v25, v25, v30
	v_sub_f32_e32 v30, v228, v25
	v_sub_f32_e32 v126, v126, v25
	;; [unrolled: 1-line block ×4, first 2 shown]
	s_delay_alu instid0(VALU_DEP_4) | instskip(SKIP_3) | instid1(VALU_DEP_4)
	v_dual_sub_f32 v26, v26, v25 :: v_dual_mul_f32 v31, 0x3fb8aa3b, v30
	v_cmp_ngt_f32_e32 vcc_lo, 0xc2ce8ed0, v30
	v_sub_f32_e32 v90, v90, v25
	v_sub_f32_e32 v27, v27, v25
	v_fma_f32 v32, 0x3fb8aa3b, v30, -v31
	v_rndne_f32_e32 v33, v31
	s_delay_alu instid0(VALU_DEP_4) | instskip(NEXT) | instid1(VALU_DEP_2)
	v_cmp_ngt_f32_e64 s3, 0xc2ce8ed0, v90
	v_dual_fmac_f32 v32, 0x32a5705f, v30 :: v_dual_sub_f32 v31, v31, v33
	s_delay_alu instid0(VALU_DEP_1) | instskip(SKIP_1) | instid1(VALU_DEP_2)
	v_add_f32_e32 v31, v31, v32
	v_cvt_i32_f32_e32 v32, v33
	v_exp_f32_e32 v31, v31
	s_delay_alu instid0(TRANS32_DEP_1) | instskip(SKIP_1) | instid1(VALU_DEP_1)
	v_ldexp_f32 v31, v31, v32
	s_wait_alu 0xfffd
	v_cndmask_b32_e32 v31, 0, v31, vcc_lo
	v_cmp_nlt_f32_e32 vcc_lo, 0x42b17218, v30
	s_wait_alu 0xfffd
	s_delay_alu instid0(VALU_DEP_2) | instskip(SKIP_2) | instid1(VALU_DEP_2)
	v_cndmask_b32_e32 v31, 0x7f800000, v31, vcc_lo
	v_cmp_le_f32_e32 vcc_lo, 0xc1a00000, v30
	s_wait_alu 0xfffd
	v_cndmask_b32_e32 v131, 0, v31, vcc_lo
	s_delay_alu instid0(VALU_DEP_1) | instskip(NEXT) | instid1(VALU_DEP_1)
	v_cvt_f16_f32_e64 v30, v131
	v_and_b32_e32 v30, 0xffff, v30
	s_delay_alu instid0(VALU_DEP_1) | instskip(NEXT) | instid1(VALU_DEP_1)
	v_mul_u32_u24_e32 v30, 0x10001, v30
	v_pk_mul_f16 v20, v20, v30
	v_pk_mul_f16 v21, v21, v30
	;; [unrolled: 1-line block ×24, first 2 shown]
	s_wait_alu 0xfffe
	v_add_co_u32 v30, vcc_lo, s4, v50
	s_wait_alu 0xfffd
	v_add_co_ci_u32_e64 v31, null, s5, v51, vcc_lo
	s_delay_alu instid0(VALU_DEP_2) | instskip(SKIP_1) | instid1(VALU_DEP_2)
	v_add_co_u32 v30, vcc_lo, v30, v173
	s_wait_alu 0xfffd
	v_add_co_ci_u32_e64 v31, null, 0, v31, vcc_lo
	v_add_co_u32 v32, vcc_lo, s4, v53
	s_wait_alu 0xfffd
	v_add_co_ci_u32_e64 v33, null, s5, v54, vcc_lo
	s_delay_alu instid0(VALU_DEP_2) | instskip(SKIP_1) | instid1(VALU_DEP_2)
	v_add_co_u32 v34, vcc_lo, v32, v173
	s_wait_alu 0xfffd
	v_add_co_ci_u32_e64 v35, null, 0, v33, vcc_lo
	s_clause 0x1
	global_load_b128 v[30:33], v[30:31], off offset:128
	global_load_b128 v[34:37], v[34:35], off offset:128
	s_wait_loadcnt 0x1
	ds_store_b128 v114, v[30:33]
	s_wait_loadcnt 0x0
	ds_store_b128 v115, v[34:37]
	v_add_co_u32 v30, vcc_lo, s4, v55
	s_wait_alu 0xfffd
	v_add_co_ci_u32_e64 v31, null, s5, v56, vcc_lo
	s_delay_alu instid0(VALU_DEP_2) | instskip(SKIP_1) | instid1(VALU_DEP_2)
	v_add_co_u32 v30, vcc_lo, v30, v174
	s_wait_alu 0xfffd
	v_add_co_ci_u32_e64 v31, null, 0, v31, vcc_lo
	v_add_co_u32 v32, vcc_lo, s4, v59
	s_wait_alu 0xfffd
	v_add_co_ci_u32_e64 v33, null, s5, v60, vcc_lo
	s_delay_alu instid0(VALU_DEP_2) | instskip(SKIP_1) | instid1(VALU_DEP_2)
	v_add_co_u32 v34, vcc_lo, v32, v174
	s_wait_alu 0xfffd
	v_add_co_ci_u32_e64 v35, null, 0, v33, vcc_lo
	s_clause 0x1
	global_load_b128 v[30:33], v[30:31], off
	global_load_b128 v[34:37], v[34:35], off
	s_wait_loadcnt 0x1
	ds_store_b128 v106, v[30:33]
	s_wait_loadcnt 0x0
	ds_store_b128 v179, v[34:37]
	v_add_co_u32 v30, vcc_lo, s4, v61
	s_wait_alu 0xfffd
	v_add_co_ci_u32_e64 v31, null, s5, v62, vcc_lo
	s_delay_alu instid0(VALU_DEP_2) | instskip(SKIP_1) | instid1(VALU_DEP_2)
	v_add_co_u32 v30, vcc_lo, v30, v174
	s_wait_alu 0xfffd
	v_add_co_ci_u32_e64 v31, null, 0, v31, vcc_lo
	v_add_co_u32 v32, vcc_lo, s4, v63
	s_wait_alu 0xfffd
	v_add_co_ci_u32_e64 v33, null, s5, v64, vcc_lo
	s_delay_alu instid0(VALU_DEP_2) | instskip(SKIP_1) | instid1(VALU_DEP_2)
	v_add_co_u32 v34, vcc_lo, v32, v174
	s_wait_alu 0xfffd
	v_add_co_ci_u32_e64 v35, null, 0, v33, vcc_lo
	s_clause 0x1
	global_load_b128 v[30:33], v[30:31], off
	global_load_b128 v[34:37], v[34:35], off
	s_wait_loadcnt 0x1
	ds_store_b128 v180, v[30:33]
	s_wait_loadcnt 0x0
	ds_store_b128 v181, v[34:37]
	v_add_nc_u32_e32 v30, 0x200, v110
	s_wait_dscnt 0x0
	s_barrier_signal -1
	s_barrier_wait -1
	global_inv scope:SCOPE_SE
	ds_load_2addr_b32 v[30:31], v30 offset0:112 offset1:132
	ds_load_2addr_b32 v[34:35], v110 offset0:208 offset1:224
	ds_load_2addr_b32 v[37:38], v111 offset1:16
	ds_load_2addr_b32 v[41:42], v112 offset1:16
	s_wait_dscnt 0x2
	v_perm_b32 v32, v31, v34, 0x7060302
	v_perm_b32 v36, v31, v34, 0x5040100
	v_add_nc_u32_e32 v31, 0x400, v110
	s_wait_dscnt 0x0
	v_perm_b32 v33, v41, v37, 0x7060302
	v_perm_b32 v37, v41, v37, 0x5040100
	;; [unrolled: 1-line block ×4, first 2 shown]
	ds_load_2addr_b32 v[46:47], v31 offset0:20 offset1:36
	s_wait_dscnt 0x0
	v_perm_b32 v40, v46, v35, 0x7060302
	v_perm_b32 v44, v46, v35, 0x5040100
	ds_load_2addr_b32 v[42:43], v110 offset0:104 offset1:120
	ds_load_2addr_b32 v[34:35], v110 offset0:136 offset1:156
	;; [unrolled: 1-line block ×3, first 2 shown]
	v_perm_b32 v89, v47, v30, 0x5040100
	s_wait_dscnt 0x1
	v_perm_b32 v31, v35, v42, 0x7060302
	s_wait_dscnt 0x0
	v_perm_b32 v39, v83, v43, 0x7060302
	v_perm_b32 v43, v83, v43, 0x5040100
	;; [unrolled: 1-line block ×3, first 2 shown]
	ds_load_2addr_b32 v[46:47], v110 offset1:16
	ds_load_2addr_b32 v[127:128], v110 offset0:32 offset1:52
	v_perm_b32 v82, v84, v34, 0x7060302
	v_perm_b32 v88, v84, v34, 0x5040100
	;; [unrolled: 1-line block ×3, first 2 shown]
	s_wait_dscnt 0x0
	v_perm_b32 v30, v128, v46, 0x7060302
	v_perm_b32 v34, v128, v46, 0x5040100
	ds_load_2addr_b32 v[128:129], v110 offset0:68 offset1:84
	v_sub_f32_e32 v46, v79, v25
	s_delay_alu instid0(VALU_DEP_1)
	v_cmp_ngt_f32_e64 s5, 0xc2ce8ed0, v46
	s_wait_dscnt 0x0
	v_perm_b32 v38, v128, v47, 0x7060302
	v_perm_b32 v42, v128, v47, 0x5040100
	v_mul_f32_e32 v47, 0x3fb8aa3b, v46
	v_perm_b32 v81, v129, v127, 0x7060302
	v_perm_b32 v87, v129, v127, 0x5040100
	s_delay_alu instid0(VALU_DEP_3) | instskip(SKIP_1) | instid1(VALU_DEP_2)
	v_fma_f32 v79, 0x3fb8aa3b, v46, -v47
	v_rndne_f32_e32 v84, v47
	v_fmac_f32_e32 v79, 0x32a5705f, v46
	s_delay_alu instid0(VALU_DEP_2) | instskip(SKIP_1) | instid1(VALU_DEP_2)
	v_sub_f32_e32 v47, v47, v84
	v_cvt_i32_f32_e32 v84, v84
	v_add_f32_e32 v47, v47, v79
	v_sub_f32_e32 v79, v80, v25
	s_delay_alu instid0(VALU_DEP_2) | instskip(NEXT) | instid1(VALU_DEP_1)
	v_exp_f32_e32 v47, v47
	v_mul_f32_e32 v80, 0x3fb8aa3b, v79
	s_delay_alu instid0(VALU_DEP_1) | instskip(SKIP_1) | instid1(TRANS32_DEP_1)
	v_fma_f32 v127, 0x3fb8aa3b, v79, -v80
	v_rndne_f32_e32 v128, v80
	v_ldexp_f32 v47, v47, v84
	s_delay_alu instid0(VALU_DEP_2) | instskip(SKIP_2) | instid1(VALU_DEP_3)
	v_dual_fmac_f32 v127, 0x32a5705f, v79 :: v_dual_sub_f32 v80, v80, v128
	v_cvt_i32_f32_e32 v84, v128
	s_wait_alu 0xf1ff
	v_cndmask_b32_e64 v47, 0, v47, s5
	v_cmp_nlt_f32_e64 s5, 0x42b17218, v46
	v_add_f32_e32 v80, v80, v127
	s_wait_alu 0xf1ff
	s_delay_alu instid0(VALU_DEP_2) | instskip(NEXT) | instid1(VALU_DEP_2)
	v_cndmask_b32_e64 v46, 0x7f800000, v47, s5
	v_exp_f32_e32 v80, v80
	s_delay_alu instid0(TRANS32_DEP_1) | instskip(SKIP_1) | instid1(VALU_DEP_1)
	v_ldexp_f32 v80, v80, v84
	v_mul_f32_e32 v127, 0x3fb8aa3b, v90
	v_fma_f32 v129, 0x3fb8aa3b, v90, -v127
	v_rndne_f32_e32 v130, v127
	s_delay_alu instid0(VALU_DEP_2) | instskip(NEXT) | instid1(VALU_DEP_2)
	v_fmac_f32_e32 v129, 0x32a5705f, v90
	v_sub_f32_e32 v127, v127, v130
	s_delay_alu instid0(VALU_DEP_1) | instskip(SKIP_1) | instid1(VALU_DEP_2)
	v_add_f32_e32 v127, v127, v129
	v_mul_f32_e32 v129, 0x3fb8aa3b, v126
	v_exp_f32_e32 v84, v127
	s_delay_alu instid0(VALU_DEP_1) | instskip(SKIP_2) | instid1(VALU_DEP_2)
	v_fma_f32 v132, 0x3fb8aa3b, v126, -v129
	v_rndne_f32_e32 v133, v129
	v_cvt_i32_f32_e32 v127, v130
	v_dual_fmac_f32 v132, 0x32a5705f, v126 :: v_dual_sub_f32 v129, v129, v133
	v_cvt_i32_f32_e32 v128, v133
	v_cmp_ngt_f32_e32 vcc_lo, 0xc2ce8ed0, v79
	s_delay_alu instid0(TRANS32_DEP_1) | instid1(VALU_DEP_4)
	v_ldexp_f32 v84, v84, v127
	s_delay_alu instid0(VALU_DEP_4)
	v_add_f32_e32 v129, v129, v132
	v_cmp_ngt_f32_e64 s4, 0xc2ce8ed0, v126
	s_wait_alu 0xfffd
	v_cndmask_b32_e32 v80, 0, v80, vcc_lo
	v_cmp_nlt_f32_e32 vcc_lo, 0x42b17218, v79
	v_cndmask_b32_e64 v79, 0, v84, s3
	v_exp_f32_e32 v127, v129
	v_cmp_nlt_f32_e64 s3, 0x42b17218, v90
	s_wait_alu 0xfffd
	v_cndmask_b32_e32 v80, 0x7f800000, v80, vcc_lo
	s_wait_alu 0xf1ff
	s_delay_alu instid0(VALU_DEP_2) | instskip(SKIP_1) | instid1(TRANS32_DEP_1)
	v_cndmask_b32_e64 v47, 0x7f800000, v79, s3
	v_cmp_ngt_f32_e64 s3, 0xc2ce8ed0, v28
	v_ldexp_f32 v127, v127, v128
	s_delay_alu instid0(VALU_DEP_3) | instskip(NEXT) | instid1(VALU_DEP_2)
	v_cvt_f16_f32_e32 v90, v47
	v_cndmask_b32_e64 v84, 0, v127, s4
	v_cmp_nlt_f32_e64 s4, 0x42b17218, v126
	v_cvt_f16_f32_e32 v127, v80
	s_wait_alu 0xf1ff
	s_delay_alu instid0(VALU_DEP_2) | instskip(SKIP_1) | instid1(VALU_DEP_2)
	v_cndmask_b32_e64 v79, 0x7f800000, v84, s4
	v_cvt_f16_f32_e32 v84, v46
	v_cvt_f16_f32_e32 v126, v79
	s_delay_alu instid0(VALU_DEP_2) | instskip(SKIP_1) | instid1(VALU_DEP_3)
	v_perm_b32 v129, v127, v84, 0x5040100
	v_mul_f32_e32 v84, 0x3fb8aa3b, v29
	v_perm_b32 v130, v126, v90, 0x5040100
	s_delay_alu instid0(VALU_DEP_2) | instskip(SKIP_1) | instid1(VALU_DEP_2)
	v_fma_f32 v90, 0x3fb8aa3b, v29, -v84
	v_rndne_f32_e32 v126, v84
	v_fmac_f32_e32 v90, 0x32a5705f, v29
	s_delay_alu instid0(VALU_DEP_2) | instskip(SKIP_1) | instid1(VALU_DEP_2)
	v_sub_f32_e32 v84, v84, v126
	v_cvt_i32_f32_e32 v126, v126
	v_add_f32_e32 v84, v84, v90
	v_mul_f32_e32 v90, 0x3fb8aa3b, v28
	v_cmp_ngt_f32_e32 vcc_lo, 0xc2ce8ed0, v29
	s_delay_alu instid0(VALU_DEP_3) | instskip(NEXT) | instid1(VALU_DEP_2)
	v_exp_f32_e32 v84, v84
	v_fma_f32 v127, 0x3fb8aa3b, v28, -v90
	v_rndne_f32_e32 v128, v90
	s_delay_alu instid0(VALU_DEP_2) | instskip(NEXT) | instid1(VALU_DEP_2)
	v_fmac_f32_e32 v127, 0x32a5705f, v28
	v_sub_f32_e32 v90, v90, v128
	s_delay_alu instid0(TRANS32_DEP_1) | instskip(SKIP_1) | instid1(VALU_DEP_3)
	v_ldexp_f32 v84, v84, v126
	v_cvt_i32_f32_e32 v126, v128
	v_add_f32_e32 v90, v90, v127
	s_wait_alu 0xfffd
	s_delay_alu instid0(VALU_DEP_3) | instskip(SKIP_1) | instid1(VALU_DEP_3)
	v_cndmask_b32_e32 v84, 0, v84, vcc_lo
	v_cmp_nlt_f32_e32 vcc_lo, 0x42b17218, v29
	v_exp_f32_e32 v90, v90
	s_delay_alu instid0(TRANS32_DEP_1) | instskip(NEXT) | instid1(VALU_DEP_1)
	v_ldexp_f32 v90, v90, v126
	v_cndmask_b32_e64 v29, 0, v90, s3
	v_cmp_nlt_f32_e64 s3, 0x42b17218, v28
	s_wait_alu 0xf1ff
	s_delay_alu instid0(VALU_DEP_1)
	v_cndmask_b32_e64 v28, 0x7f800000, v29, s3
	s_wait_alu 0xfffd
	v_cndmask_b32_e32 v29, 0x7f800000, v84, vcc_lo
	v_cmp_ngt_f32_e32 vcc_lo, 0xc2ce8ed0, v27
	v_cmp_ngt_f32_e64 s3, 0xc2ce8ed0, v26
	v_cvt_f16_f32_e32 v84, v28
	s_delay_alu instid0(VALU_DEP_4) | instskip(NEXT) | instid1(VALU_DEP_1)
	v_cvt_f16_f32_e32 v90, v29
	v_perm_b32 v128, v90, v84, 0x5040100
	v_mul_f32_e32 v84, 0x3fb8aa3b, v27
	s_delay_alu instid0(VALU_DEP_1) | instskip(SKIP_1) | instid1(VALU_DEP_2)
	v_fma_f32 v90, 0x3fb8aa3b, v27, -v84
	v_rndne_f32_e32 v126, v84
	v_fmac_f32_e32 v90, 0x32a5705f, v27
	s_delay_alu instid0(VALU_DEP_2) | instskip(SKIP_1) | instid1(VALU_DEP_2)
	v_sub_f32_e32 v84, v84, v126
	v_cvt_i32_f32_e32 v126, v126
	v_add_f32_e32 v84, v84, v90
	v_mul_f32_e32 v90, 0x3fb8aa3b, v26
	s_delay_alu instid0(VALU_DEP_2) | instskip(NEXT) | instid1(VALU_DEP_1)
	v_exp_f32_e32 v84, v84
	v_fma_f32 v127, 0x3fb8aa3b, v26, -v90
	v_rndne_f32_e32 v132, v90
	s_delay_alu instid0(VALU_DEP_1) | instskip(NEXT) | instid1(TRANS32_DEP_1)
	v_dual_fmac_f32 v127, 0x32a5705f, v26 :: v_dual_sub_f32 v90, v90, v132
	v_ldexp_f32 v84, v84, v126
	v_cvt_i32_f32_e32 v126, v132
	s_delay_alu instid0(VALU_DEP_3) | instskip(SKIP_1) | instid1(VALU_DEP_3)
	v_add_f32_e32 v90, v90, v127
	s_wait_alu 0xfffd
	v_cndmask_b32_e32 v84, 0, v84, vcc_lo
	v_cmp_nlt_f32_e32 vcc_lo, 0x42b17218, v27
	s_delay_alu instid0(VALU_DEP_3) | instskip(NEXT) | instid1(TRANS32_DEP_1)
	v_exp_f32_e32 v90, v90
	v_ldexp_f32 v90, v90, v126
	s_wait_alu 0xf1ff
	s_delay_alu instid0(VALU_DEP_1) | instskip(SKIP_2) | instid1(VALU_DEP_1)
	v_cndmask_b32_e64 v27, 0, v90, s3
	v_cmp_nlt_f32_e64 s3, 0x42b17218, v26
	s_wait_alu 0xf1ff
	v_cndmask_b32_e64 v26, 0x7f800000, v27, s3
	s_wait_alu 0xfffd
	v_cndmask_b32_e32 v27, 0x7f800000, v84, vcc_lo
	s_cselect_b32 s3, -1, 0
	s_xor_b32 s4, s0, -1
	v_cvt_f16_f32_e32 v84, v26
	s_delay_alu instid0(VALU_DEP_2) | instskip(SKIP_3) | instid1(VALU_DEP_2)
	v_cvt_f16_f32_e32 v90, v27
	v_add_f32_e32 v26, v26, v27
	s_wait_alu 0xfffe
	s_or_b32 s3, s4, s3
	v_perm_b32 v127, v90, v84, 0x5040100
	s_delay_alu instid0(VALU_DEP_2) | instskip(NEXT) | instid1(VALU_DEP_2)
	v_add_f32_e32 v26, v28, v26
	v_wmma_f16_16x16x16_f16 v[16:19], v[30:33], v[127:130], v[16:19]
	ds_load_b32 v30, v111 offset:128
	ds_load_b32 v31, v112 offset:128
	v_add_f32_e32 v26, v29, v26
	v_wmma_f16_16x16x16_f16 v[20:23], v[34:37], v[127:130], v[20:23]
	v_wmma_f16_16x16x16_f16 v[8:11], v[42:45], v[127:130], v[8:11]
	v_wmma_f16_16x16x16_f16 v[12:15], v[38:41], v[127:130], v[12:15]
	s_wait_loadcnt_dscnt 0x0
	v_add_f32_e32 v26, v46, v26
	s_barrier_signal -1
	s_barrier_wait -1
	global_inv scope:SCOPE_SE
	v_add_f32_e32 v26, v80, v26
	s_delay_alu instid0(VALU_DEP_1) | instskip(SKIP_2) | instid1(VALU_DEP_3)
	v_add_f32_e32 v26, v47, v26
	v_perm_b32 v90, v31, v30, 0x5040100
	v_perm_b32 v84, v31, v30, 0x7060302
	v_add_f32_e32 v26, v79, v26
	s_delay_alu instid0(VALU_DEP_3) | instskip(NEXT) | instid1(VALU_DEP_3)
	v_wmma_f16_16x16x16_f16 v[4:7], v[87:90], v[127:130], v[4:7]
	v_wmma_f16_16x16x16_f16 v[0:3], v[81:84], v[127:130], v[0:3]
	s_delay_alu instid0(VALU_DEP_3)
	v_fmac_f32_e32 v26, v225, v131
	ds_bpermute_b32 v27, v24, v26
	s_wait_alu 0xfffe
	s_and_saveexec_b32 s4, s3
	s_wait_alu 0xfffe
	s_xor_b32 s3, exec_lo, s4
	s_wait_alu 0xfffe
	s_or_saveexec_b32 s3, s3
	s_wait_dscnt 0x0
	v_add_f32_e32 v26, v26, v27
	s_wait_alu 0xfffe
	s_xor_b32 exec_lo, exec_lo, s3
	s_cbranch_execz .LBB14_253
; %bb.252:                              ;   in Loop: Header=BB14_12 Depth=1
	v_lshlrev_b32_e32 v27, 2, v165
	global_load_b32 v27, v27, s[74:75]
	s_wait_loadcnt 0x0
	v_dual_max_num_f32 v28, v25, v25 :: v_dual_max_num_f32 v29, v27, v27
	s_delay_alu instid0(VALU_DEP_1) | instskip(NEXT) | instid1(VALU_DEP_1)
	v_max_num_f32_e32 v28, v28, v29
	v_sub_f32_e32 v25, v25, v28
	s_delay_alu instid0(VALU_DEP_1) | instskip(NEXT) | instid1(VALU_DEP_1)
	v_mul_f32_e32 v29, 0x3fb8aa3b, v25
	v_fma_f32 v30, 0x3fb8aa3b, v25, -v29
	v_rndne_f32_e32 v31, v29
	s_delay_alu instid0(VALU_DEP_1) | instskip(SKIP_2) | instid1(VALU_DEP_2)
	v_dual_sub_f32 v29, v29, v31 :: v_dual_fmac_f32 v30, 0x32a5705f, v25
	v_sub_f32_e32 v27, v27, v28
	v_cvt_i32_f32_e32 v31, v31
	v_dual_add_f32 v29, v29, v30 :: v_dual_mul_f32 v30, 0x3fb8aa3b, v27
	v_cmp_ngt_f32_e32 vcc_lo, 0xc2ce8ed0, v25
	s_delay_alu instid0(VALU_DEP_2) | instskip(SKIP_1) | instid1(VALU_DEP_2)
	v_fma_f32 v32, 0x3fb8aa3b, v27, -v30
	v_rndne_f32_e32 v33, v30
	v_fmac_f32_e32 v32, 0x32a5705f, v27
	v_exp_f32_e32 v29, v29
	s_delay_alu instid0(VALU_DEP_2) | instskip(NEXT) | instid1(VALU_DEP_1)
	v_sub_f32_e32 v30, v30, v33
	v_add_f32_e32 v30, v30, v32
	s_delay_alu instid0(TRANS32_DEP_1) | instskip(NEXT) | instid1(VALU_DEP_2)
	v_ldexp_f32 v29, v29, v31
	v_exp_f32_e32 v30, v30
	v_cvt_i32_f32_e32 v31, v33
	s_wait_alu 0xfffd
	s_delay_alu instid0(VALU_DEP_2) | instskip(SKIP_2) | instid1(VALU_DEP_2)
	v_cndmask_b32_e32 v29, 0, v29, vcc_lo
	v_cmp_nlt_f32_e32 vcc_lo, 0x42b17218, v25
	s_wait_alu 0xfffd
	v_cndmask_b32_e32 v29, 0x7f800000, v29, vcc_lo
	v_cmp_le_f32_e32 vcc_lo, 0xc1a00000, v25
	s_delay_alu instid0(TRANS32_DEP_1) | instskip(SKIP_1) | instid1(VALU_DEP_3)
	v_ldexp_f32 v25, v30, v31
	s_wait_alu 0xfffd
	v_cndmask_b32_e32 v29, 0, v29, vcc_lo
	v_cmp_ngt_f32_e32 vcc_lo, 0xc2ce8ed0, v27
	s_delay_alu instid0(VALU_DEP_2) | instskip(SKIP_3) | instid1(VALU_DEP_3)
	v_cvt_f16_f32_e32 v30, v29
	s_wait_alu 0xfffd
	v_cndmask_b32_e32 v25, 0, v25, vcc_lo
	v_cmp_nlt_f32_e32 vcc_lo, 0x42b17218, v27
	v_and_b32_e32 v30, 0xffff, v30
	s_wait_alu 0xfffd
	s_delay_alu instid0(VALU_DEP_3) | instskip(SKIP_1) | instid1(VALU_DEP_3)
	v_cndmask_b32_e32 v27, 0x7f800000, v25, vcc_lo
	v_mov_b32_e32 v25, v28
	v_mul_u32_u24_e32 v30, 0x10001, v30
	s_delay_alu instid0(VALU_DEP_3) | instskip(NEXT) | instid1(VALU_DEP_2)
	v_fmac_f32_e32 v27, v26, v29
	v_pk_mul_f16 v20, v20, v30
	v_pk_mul_f16 v21, v21, v30
	v_pk_mul_f16 v22, v22, v30
	v_pk_mul_f16 v23, v23, v30
	v_pk_mul_f16 v16, v16, v30
	v_pk_mul_f16 v17, v17, v30
	v_pk_mul_f16 v18, v18, v30
	v_pk_mul_f16 v19, v19, v30
	v_pk_mul_f16 v8, v8, v30
	v_pk_mul_f16 v9, v9, v30
	v_pk_mul_f16 v10, v10, v30
	v_pk_mul_f16 v11, v11, v30
	v_pk_mul_f16 v12, v12, v30
	v_pk_mul_f16 v13, v13, v30
	v_pk_mul_f16 v14, v14, v30
	v_pk_mul_f16 v15, v15, v30
	v_pk_mul_f16 v4, v4, v30
	v_pk_mul_f16 v5, v5, v30
	v_pk_mul_f16 v6, v6, v30
	v_pk_mul_f16 v7, v7, v30
	v_pk_mul_f16 v0, v0, v30
	v_pk_mul_f16 v1, v1, v30
	v_pk_mul_f16 v2, v2, v30
	v_pk_mul_f16 v3, v3, v30
	v_mov_b32_e32 v26, v27
.LBB14_253:                             ;   in Loop: Header=BB14_12 Depth=1
	s_or_b32 exec_lo, exec_lo, s3
	s_and_saveexec_b32 s3, s2
; %bb.254:                              ;   in Loop: Header=BB14_12 Depth=1
	v_add_nc_u32_e32 v27, 0, v120
	ds_store_2addr_b32 v27, v25, v26 offset0:48 offset1:49
; %bb.255:                              ;   in Loop: Header=BB14_12 Depth=1
	s_wait_alu 0xfffe
	s_or_b32 exec_lo, exec_lo, s3
	s_wait_loadcnt_dscnt 0x0
	s_barrier_signal -1
	s_barrier_wait -1
	global_inv scope:SCOPE_SE
	s_and_saveexec_b32 s3, s1
	s_wait_alu 0xfffe
	s_xor_b32 s3, exec_lo, s3
	s_cbranch_execz .LBB14_257
; %bb.256:                              ;   in Loop: Header=BB14_12 Depth=1
	s_wait_loadcnt 0x0
	s_barrier_signal -1
	s_barrier_wait -1
	global_inv scope:SCOPE_SE
                                        ; implicit-def: $vgpr24
.LBB14_257:                             ;   in Loop: Header=BB14_12 Depth=1
	s_wait_alu 0xfffe
	s_and_not1_saveexec_b32 s3, s3
	s_cbranch_execz .LBB14_259
; %bb.258:                              ;   in Loop: Header=BB14_12 Depth=1
	v_add_nc_u32_e32 v29, 0, v121
	ds_load_b64 v[25:26], v29 offset:192
	s_wait_loadcnt_dscnt 0x0
	s_barrier_signal -1
	s_barrier_wait -1
	global_inv scope:SCOPE_SE
	ds_bpermute_b32 v27, v24, v25
	s_wait_dscnt 0x0
	v_dual_max_num_f32 v28, v25, v25 :: v_dual_max_num_f32 v27, v27, v27
	s_delay_alu instid0(VALU_DEP_1) | instskip(NEXT) | instid1(VALU_DEP_1)
	v_max_num_f32_e32 v27, v28, v27
	v_sub_f32_e32 v25, v25, v27
	s_delay_alu instid0(VALU_DEP_1) | instskip(SKIP_1) | instid1(VALU_DEP_2)
	v_mul_f32_e32 v27, 0x3fb8aa3b, v25
	v_cmp_ngt_f32_e32 vcc_lo, 0xc2ce8ed0, v25
	v_fma_f32 v28, 0x3fb8aa3b, v25, -v27
	v_rndne_f32_e32 v30, v27
	s_delay_alu instid0(VALU_DEP_1) | instskip(NEXT) | instid1(VALU_DEP_1)
	v_dual_fmac_f32 v28, 0x32a5705f, v25 :: v_dual_sub_f32 v27, v27, v30
	v_add_f32_e32 v27, v27, v28
	v_cvt_i32_f32_e32 v28, v30
	s_delay_alu instid0(VALU_DEP_2) | instskip(NEXT) | instid1(TRANS32_DEP_1)
	v_exp_f32_e32 v27, v27
	v_ldexp_f32 v27, v27, v28
	s_wait_alu 0xfffd
	s_delay_alu instid0(VALU_DEP_1) | instskip(SKIP_2) | instid1(VALU_DEP_2)
	v_cndmask_b32_e32 v27, 0, v27, vcc_lo
	v_cmp_nlt_f32_e32 vcc_lo, 0x42b17218, v25
	s_wait_alu 0xfffd
	v_cndmask_b32_e32 v27, 0x7f800000, v27, vcc_lo
	s_delay_alu instid0(VALU_DEP_1)
	v_mul_f32_e32 v25, v26, v27
	ds_bpermute_b32 v28, v24, v25
	s_wait_dscnt 0x0
	v_fmac_f32_e32 v28, v26, v27
	ds_store_b64 v29, v[27:28] offset:192
.LBB14_259:                             ;   in Loop: Header=BB14_12 Depth=1
	s_wait_alu 0xfffe
	s_or_b32 exec_lo, exec_lo, s3
	v_perm_b32 v24, v16, v20, 0x5040100
	v_perm_b32 v16, v16, v20, 0x7060302
	v_perm_b32 v20, v17, v21, 0x5040100
	v_perm_b32 v17, v17, v21, 0x7060302
	v_perm_b32 v21, v18, v22, 0x5040100
	v_perm_b32 v18, v18, v22, 0x7060302
	v_perm_b32 v22, v19, v23, 0x5040100
	v_perm_b32 v19, v19, v23, 0x7060302
	ds_store_2addr_b32 v113, v24, v16 offset1:1
	ds_store_2addr_b32 v113, v20, v17 offset0:2 offset1:3
	ds_store_2addr_b32 v113, v21, v18 offset0:4 offset1:5
	;; [unrolled: 1-line block ×3, first 2 shown]
	v_perm_b32 v16, v12, v8, 0x5040100
	v_perm_b32 v8, v12, v8, 0x7060302
	;; [unrolled: 1-line block ×16, first 2 shown]
	ds_store_2addr_b32 v113, v16, v8 offset0:16 offset1:17
	ds_store_2addr_b32 v113, v12, v9 offset0:18 offset1:19
	;; [unrolled: 1-line block ×8, first 2 shown]
	s_wait_loadcnt_dscnt 0x0
	s_barrier_signal -1
	s_barrier_wait -1
	global_inv scope:SCOPE_SE
	s_and_saveexec_b32 s5, s0
	s_cbranch_execz .LBB14_10
; %bb.260:                              ;   in Loop: Header=BB14_12 Depth=1
	v_add_nc_u32_e32 v0, s94, v197
	v_or_b32_e32 v1, s39, v86
	s_delay_alu instid0(VALU_DEP_1) | instskip(SKIP_1) | instid1(VALU_DEP_4)
	v_cmp_gt_i32_e64 s3, s33, v1
	v_mov_b32_e32 v1, 0x47
	v_cmp_gt_i32_e32 vcc_lo, s24, v0
	s_and_b32 s4, vcc_lo, s3
	s_wait_alu 0xfffe
	s_and_saveexec_b32 s34, s4
	s_cbranch_execz .LBB14_262
; %bb.261:                              ;   in Loop: Header=BB14_12 Depth=1
	v_add_nc_u32_e32 v1, v103, v122
	v_add_nc_u32_e32 v5, 0, v122
	ds_load_2addr_stride64_b32 v[1:2], v1 offset1:13
	ds_load_2addr_b32 v[3:4], v5 offset0:48 offset1:49
	ds_load_b32 v5, v5 offset:3520
	s_wait_dscnt 0x1
	v_fma_mix_f32 v6, v3, v1, 0 op_sel_hi:[0,1,0]
	v_fma_mix_f32 v1, v3, v1, 0 op_sel:[0,1,0] op_sel_hi:[0,1,0]
	s_wait_dscnt 0x0
	s_delay_alu instid0(VALU_DEP_2) | instskip(NEXT) | instid1(VALU_DEP_2)
	v_fma_mix_f32 v3, v5, v2, v6 op_sel_hi:[0,1,0]
	v_fma_mix_f32 v5, v5, v2, v1 op_sel:[0,1,0] op_sel_hi:[0,1,0]
	s_delay_alu instid0(VALU_DEP_2) | instskip(NEXT) | instid1(VALU_DEP_2)
	v_div_scale_f32 v2, null, v4, v4, v3
	v_div_scale_f32 v6, null, v4, v4, v5
	v_div_scale_f32 v11, s4, v5, v4, v5
	s_delay_alu instid0(VALU_DEP_3) | instskip(NEXT) | instid1(VALU_DEP_2)
	v_rcp_f32_e32 v7, v2
	v_rcp_f32_e32 v8, v6
	v_div_scale_f32 v10, vcc_lo, v3, v4, v3
	s_delay_alu instid0(TRANS32_DEP_2) | instskip(NEXT) | instid1(TRANS32_DEP_1)
	v_fma_f32 v1, -v2, v7, 1.0
	v_fma_f32 v9, -v6, v8, 1.0
	s_delay_alu instid0(VALU_DEP_1) | instskip(NEXT) | instid1(VALU_DEP_1)
	v_fmac_f32_e32 v8, v9, v8
	v_mul_f32_e32 v12, v11, v8
	s_delay_alu instid0(VALU_DEP_1) | instskip(SKIP_2) | instid1(VALU_DEP_3)
	v_fma_f32 v14, -v6, v12, v11
	v_fmac_f32_e32 v7, v1, v7
	v_mad_co_u64_u32 v[0:1], null, v0, s25, v[86:87]
	v_fmac_f32_e32 v12, v14, v8
	s_delay_alu instid0(VALU_DEP_3) | instskip(NEXT) | instid1(VALU_DEP_3)
	v_mul_f32_e32 v9, v10, v7
	v_mad_co_u64_u32 v[0:1], null, v0, 48, v[52:53]
	s_delay_alu instid0(VALU_DEP_2) | instskip(NEXT) | instid1(VALU_DEP_4)
	v_fma_f32 v13, -v2, v9, v10
	v_fma_f32 v6, -v6, v12, v11
	s_delay_alu instid0(VALU_DEP_2) | instskip(NEXT) | instid1(VALU_DEP_4)
	v_fmac_f32_e32 v9, v13, v7
	v_ashrrev_i32_e32 v1, 31, v0
	s_delay_alu instid0(VALU_DEP_2) | instskip(NEXT) | instid1(VALU_DEP_2)
	v_fma_f32 v2, -v2, v9, v10
	v_lshlrev_b64_e32 v[0:1], 3, v[0:1]
	s_wait_alu 0xfffd
	s_delay_alu instid0(VALU_DEP_2) | instskip(SKIP_3) | instid1(VALU_DEP_2)
	v_div_fmas_f32 v2, v2, v7, v9
	s_mov_b32 vcc_lo, s4
	s_wait_alu 0xfffe
	v_div_fmas_f32 v6, v6, v8, v12
	v_div_fixup_f32 v2, v2, v4, v3
	s_delay_alu instid0(VALU_DEP_2)
	v_div_fixup_f32 v3, v6, v4, v5
	v_add_co_u32 v4, vcc_lo, s72, v0
	s_wait_alu 0xfffd
	v_add_co_ci_u32_e64 v5, null, s73, v1, vcc_lo
	v_mov_b32_e32 v1, 0
	global_store_b64 v[4:5], v[2:3], off
.LBB14_262:                             ;   in Loop: Header=BB14_12 Depth=1
	s_wait_alu 0xfffe
	s_or_b32 exec_lo, exec_lo, s34
	s_mov_b32 s4, -1
	s_mov_b32 s34, exec_lo
	v_cmpx_gt_i32_e32 0x47, v1
; %bb.263:                              ;   in Loop: Header=BB14_12 Depth=1
	v_cmp_eq_u32_e32 vcc_lo, 0, v1
	s_or_not1_b32 s4, vcc_lo, exec_lo
; %bb.264:                              ;   in Loop: Header=BB14_12 Depth=1
	s_wait_alu 0xfffe
	s_or_b32 exec_lo, exec_lo, s34
	s_and_saveexec_b32 s34, s4
	s_cbranch_execz .LBB14_337
; %bb.265:                              ;   in Loop: Header=BB14_12 Depth=1
	v_add_nc_u32_e32 v0, s94, v198
	v_or_b32_e32 v1, s39, v77
	s_delay_alu instid0(VALU_DEP_1) | instskip(SKIP_1) | instid1(VALU_DEP_4)
	v_cmp_gt_i32_e64 s4, s33, v1
	v_mov_b32_e32 v1, 0x47
	v_cmp_gt_i32_e32 vcc_lo, s24, v0
	s_and_b32 s4, vcc_lo, s4
	s_wait_alu 0xfffe
	s_and_saveexec_b32 s40, s4
	s_cbranch_execz .LBB14_267
; %bb.266:                              ;   in Loop: Header=BB14_12 Depth=1
	v_add_nc_u32_e32 v1, v103, v123
	v_add_nc_u32_e32 v5, 0, v123
	ds_load_2addr_stride64_b32 v[1:2], v1 offset1:13
	ds_load_2addr_b32 v[3:4], v5 offset0:48 offset1:49
	ds_load_b32 v5, v5 offset:3520
	s_wait_dscnt 0x1
	v_fma_mix_f32 v6, v3, v1, 0 op_sel_hi:[0,1,0]
	v_fma_mix_f32 v1, v3, v1, 0 op_sel:[0,1,0] op_sel_hi:[0,1,0]
	s_wait_dscnt 0x0
	s_delay_alu instid0(VALU_DEP_2) | instskip(NEXT) | instid1(VALU_DEP_2)
	v_fma_mix_f32 v3, v5, v2, v6 op_sel_hi:[0,1,0]
	v_fma_mix_f32 v5, v5, v2, v1 op_sel:[0,1,0] op_sel_hi:[0,1,0]
	s_delay_alu instid0(VALU_DEP_2) | instskip(NEXT) | instid1(VALU_DEP_2)
	v_div_scale_f32 v2, null, v4, v4, v3
	v_div_scale_f32 v6, null, v4, v4, v5
	v_div_scale_f32 v11, s4, v5, v4, v5
	s_delay_alu instid0(VALU_DEP_3) | instskip(NEXT) | instid1(VALU_DEP_2)
	v_rcp_f32_e32 v7, v2
	v_rcp_f32_e32 v8, v6
	v_div_scale_f32 v10, vcc_lo, v3, v4, v3
	s_delay_alu instid0(TRANS32_DEP_2) | instskip(NEXT) | instid1(TRANS32_DEP_1)
	v_fma_f32 v1, -v2, v7, 1.0
	v_fma_f32 v9, -v6, v8, 1.0
	s_delay_alu instid0(VALU_DEP_1) | instskip(NEXT) | instid1(VALU_DEP_1)
	v_fmac_f32_e32 v8, v9, v8
	v_mul_f32_e32 v12, v11, v8
	s_delay_alu instid0(VALU_DEP_1) | instskip(SKIP_2) | instid1(VALU_DEP_3)
	v_fma_f32 v14, -v6, v12, v11
	v_fmac_f32_e32 v7, v1, v7
	v_mad_co_u64_u32 v[0:1], null, v0, s25, v[77:78]
	v_fmac_f32_e32 v12, v14, v8
	s_delay_alu instid0(VALU_DEP_3) | instskip(NEXT) | instid1(VALU_DEP_3)
	v_mul_f32_e32 v9, v10, v7
	v_mad_co_u64_u32 v[0:1], null, v0, 48, v[52:53]
	s_delay_alu instid0(VALU_DEP_2) | instskip(NEXT) | instid1(VALU_DEP_4)
	v_fma_f32 v13, -v2, v9, v10
	v_fma_f32 v6, -v6, v12, v11
	s_delay_alu instid0(VALU_DEP_2) | instskip(NEXT) | instid1(VALU_DEP_4)
	v_fmac_f32_e32 v9, v13, v7
	v_ashrrev_i32_e32 v1, 31, v0
	s_delay_alu instid0(VALU_DEP_2) | instskip(NEXT) | instid1(VALU_DEP_2)
	v_fma_f32 v2, -v2, v9, v10
	v_lshlrev_b64_e32 v[0:1], 3, v[0:1]
	s_wait_alu 0xfffd
	s_delay_alu instid0(VALU_DEP_2) | instskip(SKIP_3) | instid1(VALU_DEP_2)
	v_div_fmas_f32 v2, v2, v7, v9
	s_mov_b32 vcc_lo, s4
	s_wait_alu 0xfffe
	v_div_fmas_f32 v6, v6, v8, v12
	v_div_fixup_f32 v2, v2, v4, v3
	s_delay_alu instid0(VALU_DEP_2)
	v_div_fixup_f32 v3, v6, v4, v5
	v_add_co_u32 v4, vcc_lo, s72, v0
	s_wait_alu 0xfffd
	v_add_co_ci_u32_e64 v5, null, s73, v1, vcc_lo
	v_mov_b32_e32 v1, 0
	global_store_b64 v[4:5], v[2:3], off
.LBB14_267:                             ;   in Loop: Header=BB14_12 Depth=1
	s_wait_alu 0xfffe
	s_or_b32 exec_lo, exec_lo, s40
	s_mov_b32 s4, -1
	s_mov_b32 s40, exec_lo
	v_cmpx_gt_i32_e32 0x47, v1
; %bb.268:                              ;   in Loop: Header=BB14_12 Depth=1
	v_cmp_eq_u32_e32 vcc_lo, 0, v1
	s_or_not1_b32 s4, vcc_lo, exec_lo
; %bb.269:                              ;   in Loop: Header=BB14_12 Depth=1
	s_wait_alu 0xfffe
	s_or_b32 exec_lo, exec_lo, s40
	s_delay_alu instid0(SALU_CYCLE_1)
	s_and_b32 exec_lo, exec_lo, s4
	s_cbranch_execz .LBB14_337
; %bb.270:                              ;   in Loop: Header=BB14_12 Depth=1
	v_dual_mov_b32 v1, 0x47 :: v_dual_add_nc_u32 v0, s94, v124
	s_delay_alu instid0(VALU_DEP_1)
	v_cmp_gt_i32_e32 vcc_lo, s24, v0
	s_and_b32 s4, vcc_lo, s3
	s_wait_alu 0xfffe
	s_and_saveexec_b32 s40, s4
	s_cbranch_execz .LBB14_272
; %bb.271:                              ;   in Loop: Header=BB14_12 Depth=1
	v_add_nc_u32_e32 v1, v103, v125
	v_add_nc_u32_e32 v5, 0, v125
	ds_load_2addr_stride64_b32 v[1:2], v1 offset1:13
	ds_load_2addr_b32 v[3:4], v5 offset0:48 offset1:49
	ds_load_b32 v5, v5 offset:3520
	s_wait_dscnt 0x1
	v_fma_mix_f32 v6, v3, v1, 0 op_sel_hi:[0,1,0]
	v_fma_mix_f32 v1, v3, v1, 0 op_sel:[0,1,0] op_sel_hi:[0,1,0]
	s_wait_dscnt 0x0
	s_delay_alu instid0(VALU_DEP_2) | instskip(NEXT) | instid1(VALU_DEP_2)
	v_fma_mix_f32 v3, v5, v2, v6 op_sel_hi:[0,1,0]
	v_fma_mix_f32 v5, v5, v2, v1 op_sel:[0,1,0] op_sel_hi:[0,1,0]
	s_delay_alu instid0(VALU_DEP_2) | instskip(NEXT) | instid1(VALU_DEP_2)
	v_div_scale_f32 v2, null, v4, v4, v3
	v_div_scale_f32 v6, null, v4, v4, v5
	v_div_scale_f32 v11, s4, v5, v4, v5
	s_delay_alu instid0(VALU_DEP_3) | instskip(NEXT) | instid1(VALU_DEP_2)
	v_rcp_f32_e32 v7, v2
	v_rcp_f32_e32 v8, v6
	v_div_scale_f32 v10, vcc_lo, v3, v4, v3
	s_delay_alu instid0(TRANS32_DEP_2) | instskip(NEXT) | instid1(TRANS32_DEP_1)
	v_fma_f32 v1, -v2, v7, 1.0
	v_fma_f32 v9, -v6, v8, 1.0
	s_delay_alu instid0(VALU_DEP_1) | instskip(NEXT) | instid1(VALU_DEP_1)
	v_fmac_f32_e32 v8, v9, v8
	v_mul_f32_e32 v12, v11, v8
	s_delay_alu instid0(VALU_DEP_1) | instskip(SKIP_2) | instid1(VALU_DEP_3)
	v_fma_f32 v14, -v6, v12, v11
	v_fmac_f32_e32 v7, v1, v7
	v_mad_co_u64_u32 v[0:1], null, v0, s25, v[86:87]
	v_fmac_f32_e32 v12, v14, v8
	s_delay_alu instid0(VALU_DEP_3) | instskip(NEXT) | instid1(VALU_DEP_3)
	v_mul_f32_e32 v9, v10, v7
	v_mad_co_u64_u32 v[0:1], null, v0, 48, v[52:53]
	s_delay_alu instid0(VALU_DEP_2) | instskip(NEXT) | instid1(VALU_DEP_4)
	v_fma_f32 v13, -v2, v9, v10
	v_fma_f32 v6, -v6, v12, v11
	s_delay_alu instid0(VALU_DEP_2) | instskip(NEXT) | instid1(VALU_DEP_4)
	v_fmac_f32_e32 v9, v13, v7
	v_ashrrev_i32_e32 v1, 31, v0
	s_delay_alu instid0(VALU_DEP_2) | instskip(NEXT) | instid1(VALU_DEP_2)
	v_fma_f32 v2, -v2, v9, v10
	v_lshlrev_b64_e32 v[0:1], 3, v[0:1]
	s_wait_alu 0xfffd
	s_delay_alu instid0(VALU_DEP_2) | instskip(SKIP_3) | instid1(VALU_DEP_2)
	v_div_fmas_f32 v2, v2, v7, v9
	s_mov_b32 vcc_lo, s4
	s_wait_alu 0xfffe
	v_div_fmas_f32 v6, v6, v8, v12
	v_div_fixup_f32 v2, v2, v4, v3
	s_delay_alu instid0(VALU_DEP_2)
	v_div_fixup_f32 v3, v6, v4, v5
	v_add_co_u32 v4, vcc_lo, s72, v0
	s_wait_alu 0xfffd
	v_add_co_ci_u32_e64 v5, null, s73, v1, vcc_lo
	v_mov_b32_e32 v1, 0
	global_store_b64 v[4:5], v[2:3], off
.LBB14_272:                             ;   in Loop: Header=BB14_12 Depth=1
	s_wait_alu 0xfffe
	s_or_b32 exec_lo, exec_lo, s40
	s_mov_b32 s4, -1
	s_mov_b32 s40, exec_lo
	v_cmpx_gt_i32_e32 0x47, v1
; %bb.273:                              ;   in Loop: Header=BB14_12 Depth=1
	v_cmp_eq_u32_e32 vcc_lo, 0, v1
	s_or_not1_b32 s4, vcc_lo, exec_lo
; %bb.274:                              ;   in Loop: Header=BB14_12 Depth=1
	s_wait_alu 0xfffe
	s_or_b32 exec_lo, exec_lo, s40
	s_delay_alu instid0(SALU_CYCLE_1)
	s_and_b32 exec_lo, exec_lo, s4
	s_cbranch_execz .LBB14_337
; %bb.275:                              ;   in Loop: Header=BB14_12 Depth=1
	v_add_nc_u32_e32 v0, s94, v199
	v_or_b32_e32 v1, s39, v78
	s_delay_alu instid0(VALU_DEP_1) | instskip(SKIP_1) | instid1(VALU_DEP_4)
	v_cmp_gt_i32_e64 s4, s33, v1
	v_mov_b32_e32 v1, 0x47
	v_cmp_gt_i32_e32 vcc_lo, s24, v0
	s_and_b32 s4, vcc_lo, s4
	s_wait_alu 0xfffe
	s_and_saveexec_b32 s40, s4
	s_cbranch_execz .LBB14_277
; %bb.276:                              ;   in Loop: Header=BB14_12 Depth=1
	scratch_load_b32 v2, off, off offset:4  ; 4-byte Folded Reload
	s_wait_loadcnt 0x0
	v_add_nc_u32_e32 v1, v103, v2
	v_add_nc_u32_e32 v5, 0, v2
	ds_load_2addr_stride64_b32 v[1:2], v1 offset1:13
	ds_load_2addr_b32 v[3:4], v5 offset0:48 offset1:49
	ds_load_b32 v5, v5 offset:3520
	s_wait_dscnt 0x1
	v_fma_mix_f32 v6, v3, v1, 0 op_sel_hi:[0,1,0]
	v_fma_mix_f32 v1, v3, v1, 0 op_sel:[0,1,0] op_sel_hi:[0,1,0]
	s_wait_dscnt 0x0
	s_delay_alu instid0(VALU_DEP_2) | instskip(NEXT) | instid1(VALU_DEP_2)
	v_fma_mix_f32 v3, v5, v2, v6 op_sel_hi:[0,1,0]
	v_fma_mix_f32 v5, v5, v2, v1 op_sel:[0,1,0] op_sel_hi:[0,1,0]
	s_delay_alu instid0(VALU_DEP_2) | instskip(NEXT) | instid1(VALU_DEP_2)
	v_div_scale_f32 v2, null, v4, v4, v3
	v_div_scale_f32 v6, null, v4, v4, v5
	v_div_scale_f32 v11, s4, v5, v4, v5
	s_delay_alu instid0(VALU_DEP_3) | instskip(NEXT) | instid1(VALU_DEP_2)
	v_rcp_f32_e32 v7, v2
	v_rcp_f32_e32 v8, v6
	v_div_scale_f32 v10, vcc_lo, v3, v4, v3
	s_delay_alu instid0(TRANS32_DEP_2) | instskip(NEXT) | instid1(TRANS32_DEP_1)
	v_fma_f32 v1, -v2, v7, 1.0
	v_fma_f32 v9, -v6, v8, 1.0
	s_delay_alu instid0(VALU_DEP_1) | instskip(NEXT) | instid1(VALU_DEP_1)
	v_fmac_f32_e32 v8, v9, v8
	v_mul_f32_e32 v12, v11, v8
	s_delay_alu instid0(VALU_DEP_1) | instskip(SKIP_2) | instid1(VALU_DEP_3)
	v_fma_f32 v14, -v6, v12, v11
	v_fmac_f32_e32 v7, v1, v7
	v_mad_co_u64_u32 v[0:1], null, v0, s25, v[78:79]
	v_fmac_f32_e32 v12, v14, v8
	s_delay_alu instid0(VALU_DEP_3) | instskip(NEXT) | instid1(VALU_DEP_3)
	v_mul_f32_e32 v9, v10, v7
	v_mad_co_u64_u32 v[0:1], null, v0, 48, v[52:53]
	s_delay_alu instid0(VALU_DEP_2) | instskip(NEXT) | instid1(VALU_DEP_4)
	v_fma_f32 v13, -v2, v9, v10
	v_fma_f32 v6, -v6, v12, v11
	s_delay_alu instid0(VALU_DEP_2) | instskip(NEXT) | instid1(VALU_DEP_4)
	v_fmac_f32_e32 v9, v13, v7
	v_ashrrev_i32_e32 v1, 31, v0
	s_delay_alu instid0(VALU_DEP_2) | instskip(NEXT) | instid1(VALU_DEP_2)
	v_fma_f32 v2, -v2, v9, v10
	v_lshlrev_b64_e32 v[0:1], 3, v[0:1]
	s_wait_alu 0xfffd
	s_delay_alu instid0(VALU_DEP_2) | instskip(SKIP_3) | instid1(VALU_DEP_2)
	v_div_fmas_f32 v2, v2, v7, v9
	s_mov_b32 vcc_lo, s4
	s_wait_alu 0xfffe
	v_div_fmas_f32 v6, v6, v8, v12
	v_div_fixup_f32 v2, v2, v4, v3
	s_delay_alu instid0(VALU_DEP_2)
	v_div_fixup_f32 v3, v6, v4, v5
	v_add_co_u32 v4, vcc_lo, s72, v0
	s_wait_alu 0xfffd
	v_add_co_ci_u32_e64 v5, null, s73, v1, vcc_lo
	v_mov_b32_e32 v1, 0
	global_store_b64 v[4:5], v[2:3], off
.LBB14_277:                             ;   in Loop: Header=BB14_12 Depth=1
	s_wait_alu 0xfffe
	s_or_b32 exec_lo, exec_lo, s40
	s_mov_b32 s4, -1
	s_mov_b32 s40, exec_lo
	v_cmpx_gt_i32_e32 0x47, v1
; %bb.278:                              ;   in Loop: Header=BB14_12 Depth=1
	v_cmp_eq_u32_e32 vcc_lo, 0, v1
	s_or_not1_b32 s4, vcc_lo, exec_lo
; %bb.279:                              ;   in Loop: Header=BB14_12 Depth=1
	s_wait_alu 0xfffe
	s_or_b32 exec_lo, exec_lo, s40
	s_delay_alu instid0(SALU_CYCLE_1)
	s_and_b32 exec_lo, exec_lo, s4
	s_cbranch_execz .LBB14_337
; %bb.280:                              ;   in Loop: Header=BB14_12 Depth=1
	scratch_load_b32 v0, off, off offset:8  ; 4-byte Folded Reload
	s_wait_loadcnt 0x0
	v_dual_mov_b32 v1, 0x47 :: v_dual_add_nc_u32 v0, s94, v0
	s_delay_alu instid0(VALU_DEP_1)
	v_cmp_gt_i32_e32 vcc_lo, s24, v0
	s_and_b32 s4, vcc_lo, s3
	s_wait_alu 0xfffe
	s_and_saveexec_b32 s40, s4
	s_cbranch_execz .LBB14_282
; %bb.281:                              ;   in Loop: Header=BB14_12 Depth=1
	scratch_load_b32 v2, off, off offset:28 ; 4-byte Folded Reload
	s_wait_loadcnt 0x0
	v_add_nc_u32_e32 v1, v103, v2
	v_add_nc_u32_e32 v5, 0, v2
	ds_load_2addr_stride64_b32 v[1:2], v1 offset1:13
	ds_load_2addr_b32 v[3:4], v5 offset0:48 offset1:49
	ds_load_b32 v5, v5 offset:3520
	s_wait_dscnt 0x1
	v_fma_mix_f32 v6, v3, v1, 0 op_sel_hi:[0,1,0]
	v_fma_mix_f32 v1, v3, v1, 0 op_sel:[0,1,0] op_sel_hi:[0,1,0]
	s_wait_dscnt 0x0
	s_delay_alu instid0(VALU_DEP_2) | instskip(NEXT) | instid1(VALU_DEP_2)
	v_fma_mix_f32 v3, v5, v2, v6 op_sel_hi:[0,1,0]
	v_fma_mix_f32 v5, v5, v2, v1 op_sel:[0,1,0] op_sel_hi:[0,1,0]
	s_delay_alu instid0(VALU_DEP_2) | instskip(NEXT) | instid1(VALU_DEP_2)
	v_div_scale_f32 v2, null, v4, v4, v3
	v_div_scale_f32 v6, null, v4, v4, v5
	v_div_scale_f32 v11, s4, v5, v4, v5
	s_delay_alu instid0(VALU_DEP_3) | instskip(NEXT) | instid1(VALU_DEP_2)
	v_rcp_f32_e32 v7, v2
	v_rcp_f32_e32 v8, v6
	v_div_scale_f32 v10, vcc_lo, v3, v4, v3
	s_delay_alu instid0(TRANS32_DEP_2) | instskip(NEXT) | instid1(TRANS32_DEP_1)
	v_fma_f32 v1, -v2, v7, 1.0
	v_fma_f32 v9, -v6, v8, 1.0
	s_delay_alu instid0(VALU_DEP_1) | instskip(NEXT) | instid1(VALU_DEP_1)
	v_fmac_f32_e32 v8, v9, v8
	v_mul_f32_e32 v12, v11, v8
	s_delay_alu instid0(VALU_DEP_1) | instskip(SKIP_2) | instid1(VALU_DEP_3)
	v_fma_f32 v14, -v6, v12, v11
	v_fmac_f32_e32 v7, v1, v7
	v_mad_co_u64_u32 v[0:1], null, v0, s25, v[86:87]
	v_fmac_f32_e32 v12, v14, v8
	s_delay_alu instid0(VALU_DEP_3) | instskip(NEXT) | instid1(VALU_DEP_3)
	v_mul_f32_e32 v9, v10, v7
	v_mad_co_u64_u32 v[0:1], null, v0, 48, v[52:53]
	s_delay_alu instid0(VALU_DEP_2) | instskip(NEXT) | instid1(VALU_DEP_4)
	v_fma_f32 v13, -v2, v9, v10
	v_fma_f32 v6, -v6, v12, v11
	s_delay_alu instid0(VALU_DEP_2) | instskip(NEXT) | instid1(VALU_DEP_4)
	v_fmac_f32_e32 v9, v13, v7
	v_ashrrev_i32_e32 v1, 31, v0
	s_delay_alu instid0(VALU_DEP_2) | instskip(NEXT) | instid1(VALU_DEP_2)
	v_fma_f32 v2, -v2, v9, v10
	v_lshlrev_b64_e32 v[0:1], 3, v[0:1]
	s_wait_alu 0xfffd
	s_delay_alu instid0(VALU_DEP_2) | instskip(SKIP_3) | instid1(VALU_DEP_2)
	v_div_fmas_f32 v2, v2, v7, v9
	s_mov_b32 vcc_lo, s4
	s_wait_alu 0xfffe
	v_div_fmas_f32 v6, v6, v8, v12
	v_div_fixup_f32 v2, v2, v4, v3
	s_delay_alu instid0(VALU_DEP_2)
	v_div_fixup_f32 v3, v6, v4, v5
	v_add_co_u32 v4, vcc_lo, s72, v0
	s_wait_alu 0xfffd
	v_add_co_ci_u32_e64 v5, null, s73, v1, vcc_lo
	v_mov_b32_e32 v1, 0
	global_store_b64 v[4:5], v[2:3], off
.LBB14_282:                             ;   in Loop: Header=BB14_12 Depth=1
	s_wait_alu 0xfffe
	s_or_b32 exec_lo, exec_lo, s40
	s_mov_b32 s4, -1
	s_mov_b32 s40, exec_lo
	v_cmpx_gt_i32_e32 0x47, v1
; %bb.283:                              ;   in Loop: Header=BB14_12 Depth=1
	v_cmp_eq_u32_e32 vcc_lo, 0, v1
	s_or_not1_b32 s4, vcc_lo, exec_lo
; %bb.284:                              ;   in Loop: Header=BB14_12 Depth=1
	s_wait_alu 0xfffe
	s_or_b32 exec_lo, exec_lo, s40
	s_delay_alu instid0(SALU_CYCLE_1)
	s_and_b32 exec_lo, exec_lo, s4
	s_cbranch_execz .LBB14_337
; %bb.285:                              ;   in Loop: Header=BB14_12 Depth=1
	s_clause 0x1
	scratch_load_b32 v0, off, off offset:40
	scratch_load_b64 v[1:2], off, off offset:20
	s_wait_loadcnt 0x1
	v_add_nc_u32_e32 v0, s94, v0
	s_wait_loadcnt 0x0
	v_or_b32_e32 v1, s39, v1
	s_delay_alu instid0(VALU_DEP_1)
	v_cmp_gt_i32_e64 s4, s33, v1
	v_mov_b32_e32 v1, 0x47
	v_cmp_gt_i32_e32 vcc_lo, s24, v0
	s_and_b32 s4, vcc_lo, s4
	s_wait_alu 0xfffe
	s_and_saveexec_b32 s40, s4
	s_cbranch_execz .LBB14_287
; %bb.286:                              ;   in Loop: Header=BB14_12 Depth=1
	scratch_load_b32 v2, off, off offset:44 ; 4-byte Folded Reload
	s_wait_loadcnt 0x0
	v_add_nc_u32_e32 v1, v103, v2
	v_add_nc_u32_e32 v5, 0, v2
	ds_load_2addr_stride64_b32 v[1:2], v1 offset1:13
	ds_load_2addr_b32 v[3:4], v5 offset0:48 offset1:49
	ds_load_b32 v5, v5 offset:3520
	scratch_load_b64 v[12:13], off, off offset:20 ; 8-byte Folded Reload
	s_wait_dscnt 0x1
	v_fma_mix_f32 v6, v3, v1, 0 op_sel_hi:[0,1,0]
	v_fma_mix_f32 v1, v3, v1, 0 op_sel:[0,1,0] op_sel_hi:[0,1,0]
	s_wait_dscnt 0x0
	s_delay_alu instid0(VALU_DEP_2) | instskip(NEXT) | instid1(VALU_DEP_2)
	v_fma_mix_f32 v3, v5, v2, v6 op_sel_hi:[0,1,0]
	v_fma_mix_f32 v5, v5, v2, v1 op_sel:[0,1,0] op_sel_hi:[0,1,0]
	s_delay_alu instid0(VALU_DEP_2) | instskip(NEXT) | instid1(VALU_DEP_2)
	v_div_scale_f32 v2, null, v4, v4, v3
	v_div_scale_f32 v6, null, v4, v4, v5
	v_div_scale_f32 v11, s4, v5, v4, v5
	s_delay_alu instid0(VALU_DEP_3) | instskip(NEXT) | instid1(VALU_DEP_2)
	v_rcp_f32_e32 v7, v2
	v_rcp_f32_e32 v8, v6
	v_div_scale_f32 v10, vcc_lo, v3, v4, v3
	s_delay_alu instid0(TRANS32_DEP_2) | instskip(NEXT) | instid1(TRANS32_DEP_1)
	v_fma_f32 v1, -v2, v7, 1.0
	v_fma_f32 v9, -v6, v8, 1.0
	s_delay_alu instid0(VALU_DEP_1) | instskip(NEXT) | instid1(VALU_DEP_3)
	v_fmac_f32_e32 v8, v9, v8
	v_fmac_f32_e32 v7, v1, v7
	s_wait_loadcnt 0x0
	v_mad_co_u64_u32 v[0:1], null, v0, s25, v[12:13]
	s_delay_alu instid0(VALU_DEP_3) | instskip(NEXT) | instid1(VALU_DEP_1)
	v_mul_f32_e32 v12, v11, v8
	v_fma_f32 v14, -v6, v12, v11
	s_delay_alu instid0(VALU_DEP_3) | instskip(NEXT) | instid1(VALU_DEP_2)
	v_mad_co_u64_u32 v[0:1], null, v0, 48, v[52:53]
	v_fmac_f32_e32 v12, v14, v8
	v_mul_f32_e32 v9, v10, v7
	s_delay_alu instid0(VALU_DEP_3) | instskip(NEXT) | instid1(VALU_DEP_3)
	v_ashrrev_i32_e32 v1, 31, v0
	v_fma_f32 v6, -v6, v12, v11
	s_delay_alu instid0(VALU_DEP_3) | instskip(NEXT) | instid1(VALU_DEP_3)
	v_fma_f32 v13, -v2, v9, v10
	v_lshlrev_b64_e32 v[0:1], 3, v[0:1]
	s_delay_alu instid0(VALU_DEP_2) | instskip(NEXT) | instid1(VALU_DEP_1)
	v_fmac_f32_e32 v9, v13, v7
	v_fma_f32 v2, -v2, v9, v10
	s_wait_alu 0xfffd
	s_delay_alu instid0(VALU_DEP_1) | instskip(SKIP_3) | instid1(VALU_DEP_2)
	v_div_fmas_f32 v2, v2, v7, v9
	s_mov_b32 vcc_lo, s4
	s_wait_alu 0xfffe
	v_div_fmas_f32 v6, v6, v8, v12
	v_div_fixup_f32 v2, v2, v4, v3
	s_delay_alu instid0(VALU_DEP_2)
	v_div_fixup_f32 v3, v6, v4, v5
	v_add_co_u32 v4, vcc_lo, s72, v0
	s_wait_alu 0xfffd
	v_add_co_ci_u32_e64 v5, null, s73, v1, vcc_lo
	v_mov_b32_e32 v1, 0
	global_store_b64 v[4:5], v[2:3], off
.LBB14_287:                             ;   in Loop: Header=BB14_12 Depth=1
	s_wait_alu 0xfffe
	s_or_b32 exec_lo, exec_lo, s40
	s_mov_b32 s4, -1
	s_mov_b32 s40, exec_lo
	v_cmpx_gt_i32_e32 0x47, v1
; %bb.288:                              ;   in Loop: Header=BB14_12 Depth=1
	v_cmp_eq_u32_e32 vcc_lo, 0, v1
	s_or_not1_b32 s4, vcc_lo, exec_lo
; %bb.289:                              ;   in Loop: Header=BB14_12 Depth=1
	s_wait_alu 0xfffe
	s_or_b32 exec_lo, exec_lo, s40
	s_delay_alu instid0(SALU_CYCLE_1)
	s_and_b32 exec_lo, exec_lo, s4
	s_cbranch_execz .LBB14_337
; %bb.290:                              ;   in Loop: Header=BB14_12 Depth=1
	scratch_load_b32 v0, off, off offset:48 ; 4-byte Folded Reload
	s_wait_loadcnt 0x0
	v_dual_mov_b32 v1, 0x47 :: v_dual_add_nc_u32 v0, s94, v0
	s_delay_alu instid0(VALU_DEP_1)
	v_cmp_gt_i32_e32 vcc_lo, s24, v0
	s_and_b32 s4, vcc_lo, s3
	s_wait_alu 0xfffe
	s_and_saveexec_b32 s40, s4
	s_cbranch_execz .LBB14_292
; %bb.291:                              ;   in Loop: Header=BB14_12 Depth=1
	scratch_load_b32 v2, off, off offset:68 ; 4-byte Folded Reload
	s_wait_loadcnt 0x0
	v_add_nc_u32_e32 v1, v103, v2
	v_add_nc_u32_e32 v5, 0, v2
	ds_load_2addr_stride64_b32 v[1:2], v1 offset1:13
	ds_load_2addr_b32 v[3:4], v5 offset0:48 offset1:49
	ds_load_b32 v5, v5 offset:3520
	s_wait_dscnt 0x1
	v_fma_mix_f32 v6, v3, v1, 0 op_sel_hi:[0,1,0]
	v_fma_mix_f32 v1, v3, v1, 0 op_sel:[0,1,0] op_sel_hi:[0,1,0]
	s_wait_dscnt 0x0
	s_delay_alu instid0(VALU_DEP_2) | instskip(NEXT) | instid1(VALU_DEP_2)
	v_fma_mix_f32 v3, v5, v2, v6 op_sel_hi:[0,1,0]
	v_fma_mix_f32 v5, v5, v2, v1 op_sel:[0,1,0] op_sel_hi:[0,1,0]
	s_delay_alu instid0(VALU_DEP_2) | instskip(NEXT) | instid1(VALU_DEP_2)
	v_div_scale_f32 v2, null, v4, v4, v3
	v_div_scale_f32 v6, null, v4, v4, v5
	v_div_scale_f32 v11, s4, v5, v4, v5
	s_delay_alu instid0(VALU_DEP_3) | instskip(NEXT) | instid1(VALU_DEP_2)
	v_rcp_f32_e32 v7, v2
	v_rcp_f32_e32 v8, v6
	v_div_scale_f32 v10, vcc_lo, v3, v4, v3
	s_delay_alu instid0(TRANS32_DEP_2) | instskip(NEXT) | instid1(TRANS32_DEP_1)
	v_fma_f32 v1, -v2, v7, 1.0
	v_fma_f32 v9, -v6, v8, 1.0
	s_delay_alu instid0(VALU_DEP_1) | instskip(NEXT) | instid1(VALU_DEP_1)
	v_fmac_f32_e32 v8, v9, v8
	v_mul_f32_e32 v12, v11, v8
	s_delay_alu instid0(VALU_DEP_1) | instskip(SKIP_2) | instid1(VALU_DEP_3)
	v_fma_f32 v14, -v6, v12, v11
	v_fmac_f32_e32 v7, v1, v7
	v_mad_co_u64_u32 v[0:1], null, v0, s25, v[86:87]
	v_fmac_f32_e32 v12, v14, v8
	s_delay_alu instid0(VALU_DEP_3) | instskip(NEXT) | instid1(VALU_DEP_3)
	v_mul_f32_e32 v9, v10, v7
	v_mad_co_u64_u32 v[0:1], null, v0, 48, v[52:53]
	s_delay_alu instid0(VALU_DEP_2) | instskip(NEXT) | instid1(VALU_DEP_4)
	v_fma_f32 v13, -v2, v9, v10
	v_fma_f32 v6, -v6, v12, v11
	s_delay_alu instid0(VALU_DEP_2) | instskip(NEXT) | instid1(VALU_DEP_4)
	v_fmac_f32_e32 v9, v13, v7
	v_ashrrev_i32_e32 v1, 31, v0
	s_delay_alu instid0(VALU_DEP_2) | instskip(NEXT) | instid1(VALU_DEP_2)
	v_fma_f32 v2, -v2, v9, v10
	v_lshlrev_b64_e32 v[0:1], 3, v[0:1]
	s_wait_alu 0xfffd
	s_delay_alu instid0(VALU_DEP_2) | instskip(SKIP_3) | instid1(VALU_DEP_2)
	v_div_fmas_f32 v2, v2, v7, v9
	s_mov_b32 vcc_lo, s4
	s_wait_alu 0xfffe
	v_div_fmas_f32 v6, v6, v8, v12
	v_div_fixup_f32 v2, v2, v4, v3
	s_delay_alu instid0(VALU_DEP_2)
	v_div_fixup_f32 v3, v6, v4, v5
	v_add_co_u32 v4, vcc_lo, s72, v0
	s_wait_alu 0xfffd
	v_add_co_ci_u32_e64 v5, null, s73, v1, vcc_lo
	v_mov_b32_e32 v1, 0
	global_store_b64 v[4:5], v[2:3], off
.LBB14_292:                             ;   in Loop: Header=BB14_12 Depth=1
	s_wait_alu 0xfffe
	s_or_b32 exec_lo, exec_lo, s40
	s_mov_b32 s4, -1
	s_mov_b32 s40, exec_lo
	v_cmpx_gt_i32_e32 0x47, v1
; %bb.293:                              ;   in Loop: Header=BB14_12 Depth=1
	v_cmp_eq_u32_e32 vcc_lo, 0, v1
	s_or_not1_b32 s4, vcc_lo, exec_lo
; %bb.294:                              ;   in Loop: Header=BB14_12 Depth=1
	s_wait_alu 0xfffe
	s_or_b32 exec_lo, exec_lo, s40
	s_delay_alu instid0(SALU_CYCLE_1)
	s_and_b32 exec_lo, exec_lo, s4
	s_cbranch_execz .LBB14_337
; %bb.295:                              ;   in Loop: Header=BB14_12 Depth=1
	s_clause 0x1
	scratch_load_b32 v0, off, off offset:80
	scratch_load_b64 v[1:2], off, off offset:60
	s_wait_loadcnt 0x1
	v_add_nc_u32_e32 v0, s94, v0
	s_wait_loadcnt 0x0
	v_or_b32_e32 v1, s39, v1
	s_delay_alu instid0(VALU_DEP_1)
	v_cmp_gt_i32_e64 s4, s33, v1
	v_mov_b32_e32 v1, 0x47
	v_cmp_gt_i32_e32 vcc_lo, s24, v0
	s_and_b32 s4, vcc_lo, s4
	s_wait_alu 0xfffe
	s_and_saveexec_b32 s40, s4
	s_cbranch_execz .LBB14_297
; %bb.296:                              ;   in Loop: Header=BB14_12 Depth=1
	scratch_load_b32 v2, off, off offset:84 ; 4-byte Folded Reload
	s_wait_loadcnt 0x0
	v_add_nc_u32_e32 v1, v103, v2
	v_add_nc_u32_e32 v5, 0, v2
	ds_load_2addr_stride64_b32 v[1:2], v1 offset1:13
	ds_load_2addr_b32 v[3:4], v5 offset0:48 offset1:49
	ds_load_b32 v5, v5 offset:3520
	scratch_load_b64 v[12:13], off, off offset:60 ; 8-byte Folded Reload
	s_wait_dscnt 0x1
	v_fma_mix_f32 v6, v3, v1, 0 op_sel_hi:[0,1,0]
	v_fma_mix_f32 v1, v3, v1, 0 op_sel:[0,1,0] op_sel_hi:[0,1,0]
	s_wait_dscnt 0x0
	s_delay_alu instid0(VALU_DEP_2) | instskip(NEXT) | instid1(VALU_DEP_2)
	v_fma_mix_f32 v3, v5, v2, v6 op_sel_hi:[0,1,0]
	v_fma_mix_f32 v5, v5, v2, v1 op_sel:[0,1,0] op_sel_hi:[0,1,0]
	s_delay_alu instid0(VALU_DEP_2) | instskip(NEXT) | instid1(VALU_DEP_2)
	v_div_scale_f32 v2, null, v4, v4, v3
	v_div_scale_f32 v6, null, v4, v4, v5
	v_div_scale_f32 v11, s4, v5, v4, v5
	s_delay_alu instid0(VALU_DEP_3) | instskip(NEXT) | instid1(VALU_DEP_2)
	v_rcp_f32_e32 v7, v2
	v_rcp_f32_e32 v8, v6
	v_div_scale_f32 v10, vcc_lo, v3, v4, v3
	s_delay_alu instid0(TRANS32_DEP_2) | instskip(NEXT) | instid1(TRANS32_DEP_1)
	v_fma_f32 v1, -v2, v7, 1.0
	v_fma_f32 v9, -v6, v8, 1.0
	s_delay_alu instid0(VALU_DEP_1) | instskip(NEXT) | instid1(VALU_DEP_3)
	v_fmac_f32_e32 v8, v9, v8
	v_fmac_f32_e32 v7, v1, v7
	s_wait_loadcnt 0x0
	v_mad_co_u64_u32 v[0:1], null, v0, s25, v[12:13]
	s_delay_alu instid0(VALU_DEP_3) | instskip(NEXT) | instid1(VALU_DEP_1)
	v_mul_f32_e32 v12, v11, v8
	v_fma_f32 v14, -v6, v12, v11
	s_delay_alu instid0(VALU_DEP_3) | instskip(NEXT) | instid1(VALU_DEP_2)
	v_mad_co_u64_u32 v[0:1], null, v0, 48, v[52:53]
	v_fmac_f32_e32 v12, v14, v8
	v_mul_f32_e32 v9, v10, v7
	s_delay_alu instid0(VALU_DEP_3) | instskip(NEXT) | instid1(VALU_DEP_3)
	v_ashrrev_i32_e32 v1, 31, v0
	v_fma_f32 v6, -v6, v12, v11
	s_delay_alu instid0(VALU_DEP_3) | instskip(NEXT) | instid1(VALU_DEP_3)
	v_fma_f32 v13, -v2, v9, v10
	v_lshlrev_b64_e32 v[0:1], 3, v[0:1]
	s_delay_alu instid0(VALU_DEP_2) | instskip(NEXT) | instid1(VALU_DEP_1)
	v_fmac_f32_e32 v9, v13, v7
	v_fma_f32 v2, -v2, v9, v10
	s_wait_alu 0xfffd
	s_delay_alu instid0(VALU_DEP_1) | instskip(SKIP_3) | instid1(VALU_DEP_2)
	v_div_fmas_f32 v2, v2, v7, v9
	s_mov_b32 vcc_lo, s4
	s_wait_alu 0xfffe
	v_div_fmas_f32 v6, v6, v8, v12
	v_div_fixup_f32 v2, v2, v4, v3
	s_delay_alu instid0(VALU_DEP_2)
	v_div_fixup_f32 v3, v6, v4, v5
	v_add_co_u32 v4, vcc_lo, s72, v0
	s_wait_alu 0xfffd
	v_add_co_ci_u32_e64 v5, null, s73, v1, vcc_lo
	v_mov_b32_e32 v1, 0
	global_store_b64 v[4:5], v[2:3], off
.LBB14_297:                             ;   in Loop: Header=BB14_12 Depth=1
	s_wait_alu 0xfffe
	s_or_b32 exec_lo, exec_lo, s40
	s_mov_b32 s4, -1
	s_mov_b32 s40, exec_lo
	v_cmpx_gt_i32_e32 0x47, v1
; %bb.298:                              ;   in Loop: Header=BB14_12 Depth=1
	v_cmp_eq_u32_e32 vcc_lo, 0, v1
	s_or_not1_b32 s4, vcc_lo, exec_lo
; %bb.299:                              ;   in Loop: Header=BB14_12 Depth=1
	s_wait_alu 0xfffe
	s_or_b32 exec_lo, exec_lo, s40
	s_delay_alu instid0(SALU_CYCLE_1)
	s_and_b32 exec_lo, exec_lo, s4
	s_cbranch_execz .LBB14_337
; %bb.300:                              ;   in Loop: Header=BB14_12 Depth=1
	scratch_load_b32 v0, off, off offset:88 ; 4-byte Folded Reload
	s_wait_loadcnt 0x0
	v_dual_mov_b32 v1, 0x47 :: v_dual_add_nc_u32 v0, s94, v0
	s_delay_alu instid0(VALU_DEP_1)
	v_cmp_gt_i32_e32 vcc_lo, s24, v0
	s_and_b32 s4, vcc_lo, s3
	s_wait_alu 0xfffe
	s_and_saveexec_b32 s40, s4
	s_cbranch_execz .LBB14_302
; %bb.301:                              ;   in Loop: Header=BB14_12 Depth=1
	scratch_load_b32 v2, off, off offset:104 ; 4-byte Folded Reload
	s_wait_loadcnt 0x0
	v_add_nc_u32_e32 v1, v103, v2
	v_add_nc_u32_e32 v5, 0, v2
	ds_load_2addr_stride64_b32 v[1:2], v1 offset1:13
	ds_load_2addr_b32 v[3:4], v5 offset0:48 offset1:49
	ds_load_b32 v5, v5 offset:3520
	s_wait_dscnt 0x1
	v_fma_mix_f32 v6, v3, v1, 0 op_sel_hi:[0,1,0]
	v_fma_mix_f32 v1, v3, v1, 0 op_sel:[0,1,0] op_sel_hi:[0,1,0]
	s_wait_dscnt 0x0
	s_delay_alu instid0(VALU_DEP_2) | instskip(NEXT) | instid1(VALU_DEP_2)
	v_fma_mix_f32 v3, v5, v2, v6 op_sel_hi:[0,1,0]
	v_fma_mix_f32 v5, v5, v2, v1 op_sel:[0,1,0] op_sel_hi:[0,1,0]
	s_delay_alu instid0(VALU_DEP_2) | instskip(NEXT) | instid1(VALU_DEP_2)
	v_div_scale_f32 v2, null, v4, v4, v3
	v_div_scale_f32 v6, null, v4, v4, v5
	v_div_scale_f32 v11, s4, v5, v4, v5
	s_delay_alu instid0(VALU_DEP_3) | instskip(NEXT) | instid1(VALU_DEP_2)
	v_rcp_f32_e32 v7, v2
	v_rcp_f32_e32 v8, v6
	v_div_scale_f32 v10, vcc_lo, v3, v4, v3
	s_delay_alu instid0(TRANS32_DEP_2) | instskip(NEXT) | instid1(TRANS32_DEP_1)
	v_fma_f32 v1, -v2, v7, 1.0
	v_fma_f32 v9, -v6, v8, 1.0
	s_delay_alu instid0(VALU_DEP_1) | instskip(NEXT) | instid1(VALU_DEP_1)
	v_fmac_f32_e32 v8, v9, v8
	v_mul_f32_e32 v12, v11, v8
	s_delay_alu instid0(VALU_DEP_1) | instskip(SKIP_2) | instid1(VALU_DEP_3)
	v_fma_f32 v14, -v6, v12, v11
	v_fmac_f32_e32 v7, v1, v7
	v_mad_co_u64_u32 v[0:1], null, v0, s25, v[86:87]
	v_fmac_f32_e32 v12, v14, v8
	s_delay_alu instid0(VALU_DEP_3) | instskip(NEXT) | instid1(VALU_DEP_3)
	v_mul_f32_e32 v9, v10, v7
	v_mad_co_u64_u32 v[0:1], null, v0, 48, v[52:53]
	s_delay_alu instid0(VALU_DEP_2) | instskip(NEXT) | instid1(VALU_DEP_4)
	v_fma_f32 v13, -v2, v9, v10
	v_fma_f32 v6, -v6, v12, v11
	s_delay_alu instid0(VALU_DEP_2) | instskip(NEXT) | instid1(VALU_DEP_4)
	v_fmac_f32_e32 v9, v13, v7
	v_ashrrev_i32_e32 v1, 31, v0
	s_delay_alu instid0(VALU_DEP_2) | instskip(NEXT) | instid1(VALU_DEP_2)
	v_fma_f32 v2, -v2, v9, v10
	v_lshlrev_b64_e32 v[0:1], 3, v[0:1]
	s_wait_alu 0xfffd
	s_delay_alu instid0(VALU_DEP_2) | instskip(SKIP_3) | instid1(VALU_DEP_2)
	v_div_fmas_f32 v2, v2, v7, v9
	s_mov_b32 vcc_lo, s4
	s_wait_alu 0xfffe
	v_div_fmas_f32 v6, v6, v8, v12
	v_div_fixup_f32 v2, v2, v4, v3
	s_delay_alu instid0(VALU_DEP_2)
	v_div_fixup_f32 v3, v6, v4, v5
	v_add_co_u32 v4, vcc_lo, s72, v0
	s_wait_alu 0xfffd
	v_add_co_ci_u32_e64 v5, null, s73, v1, vcc_lo
	v_mov_b32_e32 v1, 0
	global_store_b64 v[4:5], v[2:3], off
.LBB14_302:                             ;   in Loop: Header=BB14_12 Depth=1
	s_wait_alu 0xfffe
	s_or_b32 exec_lo, exec_lo, s40
	s_mov_b32 s4, -1
	s_mov_b32 s40, exec_lo
	v_cmpx_gt_i32_e32 0x47, v1
; %bb.303:                              ;   in Loop: Header=BB14_12 Depth=1
	v_cmp_eq_u32_e32 vcc_lo, 0, v1
	s_or_not1_b32 s4, vcc_lo, exec_lo
; %bb.304:                              ;   in Loop: Header=BB14_12 Depth=1
	s_wait_alu 0xfffe
	s_or_b32 exec_lo, exec_lo, s40
	s_delay_alu instid0(SALU_CYCLE_1)
	s_and_b32 exec_lo, exec_lo, s4
	s_cbranch_execz .LBB14_337
; %bb.305:                              ;   in Loop: Header=BB14_12 Depth=1
	s_clause 0x1
	scratch_load_b32 v0, off, off offset:108
	scratch_load_b64 v[1:2], off, off offset:96
	s_wait_loadcnt 0x1
	v_add_nc_u32_e32 v0, s94, v0
	s_wait_loadcnt 0x0
	v_or_b32_e32 v1, s39, v1
	s_delay_alu instid0(VALU_DEP_1)
	v_cmp_gt_i32_e64 s4, s33, v1
	v_mov_b32_e32 v1, 0x47
	v_cmp_gt_i32_e32 vcc_lo, s24, v0
	s_and_b32 s4, vcc_lo, s4
	s_wait_alu 0xfffe
	s_and_saveexec_b32 s40, s4
	s_cbranch_execz .LBB14_307
; %bb.306:                              ;   in Loop: Header=BB14_12 Depth=1
	scratch_load_b32 v2, off, off offset:112 ; 4-byte Folded Reload
	s_wait_loadcnt 0x0
	v_add_nc_u32_e32 v1, v103, v2
	v_add_nc_u32_e32 v5, 0, v2
	ds_load_2addr_stride64_b32 v[1:2], v1 offset1:13
	ds_load_2addr_b32 v[3:4], v5 offset0:48 offset1:49
	ds_load_b32 v5, v5 offset:3520
	scratch_load_b64 v[12:13], off, off offset:96 ; 8-byte Folded Reload
	s_wait_dscnt 0x1
	v_fma_mix_f32 v6, v3, v1, 0 op_sel_hi:[0,1,0]
	v_fma_mix_f32 v1, v3, v1, 0 op_sel:[0,1,0] op_sel_hi:[0,1,0]
	s_wait_dscnt 0x0
	s_delay_alu instid0(VALU_DEP_2) | instskip(NEXT) | instid1(VALU_DEP_2)
	v_fma_mix_f32 v3, v5, v2, v6 op_sel_hi:[0,1,0]
	v_fma_mix_f32 v5, v5, v2, v1 op_sel:[0,1,0] op_sel_hi:[0,1,0]
	s_delay_alu instid0(VALU_DEP_2) | instskip(NEXT) | instid1(VALU_DEP_2)
	v_div_scale_f32 v2, null, v4, v4, v3
	v_div_scale_f32 v6, null, v4, v4, v5
	v_div_scale_f32 v11, s4, v5, v4, v5
	s_delay_alu instid0(VALU_DEP_3) | instskip(NEXT) | instid1(VALU_DEP_2)
	v_rcp_f32_e32 v7, v2
	v_rcp_f32_e32 v8, v6
	v_div_scale_f32 v10, vcc_lo, v3, v4, v3
	s_delay_alu instid0(TRANS32_DEP_2) | instskip(NEXT) | instid1(TRANS32_DEP_1)
	v_fma_f32 v1, -v2, v7, 1.0
	v_fma_f32 v9, -v6, v8, 1.0
	s_delay_alu instid0(VALU_DEP_1) | instskip(NEXT) | instid1(VALU_DEP_3)
	v_fmac_f32_e32 v8, v9, v8
	v_fmac_f32_e32 v7, v1, v7
	s_wait_loadcnt 0x0
	v_mad_co_u64_u32 v[0:1], null, v0, s25, v[12:13]
	s_delay_alu instid0(VALU_DEP_3) | instskip(NEXT) | instid1(VALU_DEP_1)
	v_mul_f32_e32 v12, v11, v8
	v_fma_f32 v14, -v6, v12, v11
	s_delay_alu instid0(VALU_DEP_3) | instskip(NEXT) | instid1(VALU_DEP_2)
	v_mad_co_u64_u32 v[0:1], null, v0, 48, v[52:53]
	v_fmac_f32_e32 v12, v14, v8
	v_mul_f32_e32 v9, v10, v7
	s_delay_alu instid0(VALU_DEP_3) | instskip(NEXT) | instid1(VALU_DEP_3)
	v_ashrrev_i32_e32 v1, 31, v0
	v_fma_f32 v6, -v6, v12, v11
	s_delay_alu instid0(VALU_DEP_3) | instskip(NEXT) | instid1(VALU_DEP_3)
	v_fma_f32 v13, -v2, v9, v10
	v_lshlrev_b64_e32 v[0:1], 3, v[0:1]
	s_delay_alu instid0(VALU_DEP_2) | instskip(NEXT) | instid1(VALU_DEP_1)
	v_fmac_f32_e32 v9, v13, v7
	v_fma_f32 v2, -v2, v9, v10
	s_wait_alu 0xfffd
	s_delay_alu instid0(VALU_DEP_1) | instskip(SKIP_3) | instid1(VALU_DEP_2)
	v_div_fmas_f32 v2, v2, v7, v9
	s_mov_b32 vcc_lo, s4
	s_wait_alu 0xfffe
	v_div_fmas_f32 v6, v6, v8, v12
	v_div_fixup_f32 v2, v2, v4, v3
	s_delay_alu instid0(VALU_DEP_2)
	v_div_fixup_f32 v3, v6, v4, v5
	v_add_co_u32 v4, vcc_lo, s72, v0
	s_wait_alu 0xfffd
	v_add_co_ci_u32_e64 v5, null, s73, v1, vcc_lo
	v_mov_b32_e32 v1, 0
	global_store_b64 v[4:5], v[2:3], off
.LBB14_307:                             ;   in Loop: Header=BB14_12 Depth=1
	s_wait_alu 0xfffe
	s_or_b32 exec_lo, exec_lo, s40
	s_mov_b32 s4, -1
	s_mov_b32 s40, exec_lo
	v_cmpx_gt_i32_e32 0x47, v1
; %bb.308:                              ;   in Loop: Header=BB14_12 Depth=1
	v_cmp_eq_u32_e32 vcc_lo, 0, v1
	s_or_not1_b32 s4, vcc_lo, exec_lo
; %bb.309:                              ;   in Loop: Header=BB14_12 Depth=1
	s_wait_alu 0xfffe
	s_or_b32 exec_lo, exec_lo, s40
	s_delay_alu instid0(SALU_CYCLE_1)
	s_and_b32 exec_lo, exec_lo, s4
	s_cbranch_execz .LBB14_337
; %bb.310:                              ;   in Loop: Header=BB14_12 Depth=1
	scratch_load_b32 v0, off, off offset:116 ; 4-byte Folded Reload
	s_wait_loadcnt 0x0
	v_dual_mov_b32 v1, 0x47 :: v_dual_add_nc_u32 v0, s94, v0
	s_delay_alu instid0(VALU_DEP_1)
	v_cmp_gt_i32_e32 vcc_lo, s24, v0
	s_and_b32 s4, vcc_lo, s3
	s_wait_alu 0xfffe
	s_and_saveexec_b32 s40, s4
	s_cbranch_execz .LBB14_312
; %bb.311:                              ;   in Loop: Header=BB14_12 Depth=1
	scratch_load_b32 v2, off, off offset:128 ; 4-byte Folded Reload
	s_wait_loadcnt 0x0
	v_add_nc_u32_e32 v1, v103, v2
	v_add_nc_u32_e32 v5, 0, v2
	ds_load_2addr_stride64_b32 v[1:2], v1 offset1:13
	ds_load_2addr_b32 v[3:4], v5 offset0:48 offset1:49
	ds_load_b32 v5, v5 offset:3520
	s_wait_dscnt 0x1
	v_fma_mix_f32 v6, v3, v1, 0 op_sel_hi:[0,1,0]
	v_fma_mix_f32 v1, v3, v1, 0 op_sel:[0,1,0] op_sel_hi:[0,1,0]
	s_wait_dscnt 0x0
	s_delay_alu instid0(VALU_DEP_2) | instskip(NEXT) | instid1(VALU_DEP_2)
	v_fma_mix_f32 v3, v5, v2, v6 op_sel_hi:[0,1,0]
	v_fma_mix_f32 v5, v5, v2, v1 op_sel:[0,1,0] op_sel_hi:[0,1,0]
	s_delay_alu instid0(VALU_DEP_2) | instskip(NEXT) | instid1(VALU_DEP_2)
	v_div_scale_f32 v2, null, v4, v4, v3
	v_div_scale_f32 v6, null, v4, v4, v5
	v_div_scale_f32 v11, s4, v5, v4, v5
	s_delay_alu instid0(VALU_DEP_3) | instskip(NEXT) | instid1(VALU_DEP_2)
	v_rcp_f32_e32 v7, v2
	v_rcp_f32_e32 v8, v6
	v_div_scale_f32 v10, vcc_lo, v3, v4, v3
	s_delay_alu instid0(TRANS32_DEP_2) | instskip(NEXT) | instid1(TRANS32_DEP_1)
	v_fma_f32 v1, -v2, v7, 1.0
	v_fma_f32 v9, -v6, v8, 1.0
	s_delay_alu instid0(VALU_DEP_1) | instskip(NEXT) | instid1(VALU_DEP_1)
	v_fmac_f32_e32 v8, v9, v8
	v_mul_f32_e32 v12, v11, v8
	s_delay_alu instid0(VALU_DEP_1) | instskip(SKIP_2) | instid1(VALU_DEP_3)
	v_fma_f32 v14, -v6, v12, v11
	v_fmac_f32_e32 v7, v1, v7
	v_mad_co_u64_u32 v[0:1], null, v0, s25, v[86:87]
	v_fmac_f32_e32 v12, v14, v8
	s_delay_alu instid0(VALU_DEP_3) | instskip(NEXT) | instid1(VALU_DEP_3)
	v_mul_f32_e32 v9, v10, v7
	v_mad_co_u64_u32 v[0:1], null, v0, 48, v[52:53]
	s_delay_alu instid0(VALU_DEP_2) | instskip(NEXT) | instid1(VALU_DEP_4)
	v_fma_f32 v13, -v2, v9, v10
	v_fma_f32 v6, -v6, v12, v11
	s_delay_alu instid0(VALU_DEP_2) | instskip(NEXT) | instid1(VALU_DEP_4)
	v_fmac_f32_e32 v9, v13, v7
	v_ashrrev_i32_e32 v1, 31, v0
	s_delay_alu instid0(VALU_DEP_2) | instskip(NEXT) | instid1(VALU_DEP_2)
	v_fma_f32 v2, -v2, v9, v10
	v_lshlrev_b64_e32 v[0:1], 3, v[0:1]
	s_wait_alu 0xfffd
	s_delay_alu instid0(VALU_DEP_2) | instskip(SKIP_3) | instid1(VALU_DEP_2)
	v_div_fmas_f32 v2, v2, v7, v9
	s_mov_b32 vcc_lo, s4
	s_wait_alu 0xfffe
	v_div_fmas_f32 v6, v6, v8, v12
	v_div_fixup_f32 v2, v2, v4, v3
	s_delay_alu instid0(VALU_DEP_2)
	v_div_fixup_f32 v3, v6, v4, v5
	v_add_co_u32 v4, vcc_lo, s72, v0
	s_wait_alu 0xfffd
	v_add_co_ci_u32_e64 v5, null, s73, v1, vcc_lo
	v_mov_b32_e32 v1, 0
	global_store_b64 v[4:5], v[2:3], off
.LBB14_312:                             ;   in Loop: Header=BB14_12 Depth=1
	s_wait_alu 0xfffe
	s_or_b32 exec_lo, exec_lo, s40
	s_mov_b32 s4, -1
	s_mov_b32 s40, exec_lo
	v_cmpx_gt_i32_e32 0x47, v1
; %bb.313:                              ;   in Loop: Header=BB14_12 Depth=1
	v_cmp_eq_u32_e32 vcc_lo, 0, v1
	s_or_not1_b32 s4, vcc_lo, exec_lo
; %bb.314:                              ;   in Loop: Header=BB14_12 Depth=1
	s_wait_alu 0xfffe
	s_or_b32 exec_lo, exec_lo, s40
	s_delay_alu instid0(SALU_CYCLE_1)
	s_and_b32 exec_lo, exec_lo, s4
	s_cbranch_execz .LBB14_337
; %bb.315:                              ;   in Loop: Header=BB14_12 Depth=1
	s_clause 0x1
	scratch_load_b32 v0, off, off offset:132
	scratch_load_b64 v[1:2], off, off offset:120
	s_wait_loadcnt 0x1
	v_add_nc_u32_e32 v0, s94, v0
	s_wait_loadcnt 0x0
	v_or_b32_e32 v1, s39, v1
	s_delay_alu instid0(VALU_DEP_1)
	v_cmp_gt_i32_e64 s4, s33, v1
	v_mov_b32_e32 v1, 0x47
	v_cmp_gt_i32_e32 vcc_lo, s24, v0
	s_and_b32 s4, vcc_lo, s4
	s_wait_alu 0xfffe
	s_and_saveexec_b32 s40, s4
	s_cbranch_execz .LBB14_317
; %bb.316:                              ;   in Loop: Header=BB14_12 Depth=1
	scratch_load_b32 v2, off, off offset:136 ; 4-byte Folded Reload
	s_wait_loadcnt 0x0
	v_add_nc_u32_e32 v1, v103, v2
	v_add_nc_u32_e32 v5, 0, v2
	ds_load_2addr_stride64_b32 v[1:2], v1 offset1:13
	ds_load_2addr_b32 v[3:4], v5 offset0:48 offset1:49
	ds_load_b32 v5, v5 offset:3520
	scratch_load_b64 v[12:13], off, off offset:120 ; 8-byte Folded Reload
	s_wait_dscnt 0x1
	v_fma_mix_f32 v6, v3, v1, 0 op_sel_hi:[0,1,0]
	v_fma_mix_f32 v1, v3, v1, 0 op_sel:[0,1,0] op_sel_hi:[0,1,0]
	s_wait_dscnt 0x0
	s_delay_alu instid0(VALU_DEP_2) | instskip(NEXT) | instid1(VALU_DEP_2)
	v_fma_mix_f32 v3, v5, v2, v6 op_sel_hi:[0,1,0]
	v_fma_mix_f32 v5, v5, v2, v1 op_sel:[0,1,0] op_sel_hi:[0,1,0]
	s_delay_alu instid0(VALU_DEP_2) | instskip(NEXT) | instid1(VALU_DEP_2)
	v_div_scale_f32 v2, null, v4, v4, v3
	v_div_scale_f32 v6, null, v4, v4, v5
	v_div_scale_f32 v11, s4, v5, v4, v5
	s_delay_alu instid0(VALU_DEP_3) | instskip(NEXT) | instid1(VALU_DEP_2)
	v_rcp_f32_e32 v7, v2
	v_rcp_f32_e32 v8, v6
	v_div_scale_f32 v10, vcc_lo, v3, v4, v3
	s_delay_alu instid0(TRANS32_DEP_2) | instskip(NEXT) | instid1(TRANS32_DEP_1)
	v_fma_f32 v1, -v2, v7, 1.0
	v_fma_f32 v9, -v6, v8, 1.0
	s_delay_alu instid0(VALU_DEP_1) | instskip(NEXT) | instid1(VALU_DEP_3)
	v_fmac_f32_e32 v8, v9, v8
	v_fmac_f32_e32 v7, v1, v7
	s_wait_loadcnt 0x0
	v_mad_co_u64_u32 v[0:1], null, v0, s25, v[12:13]
	s_delay_alu instid0(VALU_DEP_3) | instskip(NEXT) | instid1(VALU_DEP_1)
	v_mul_f32_e32 v12, v11, v8
	v_fma_f32 v14, -v6, v12, v11
	s_delay_alu instid0(VALU_DEP_3) | instskip(NEXT) | instid1(VALU_DEP_2)
	v_mad_co_u64_u32 v[0:1], null, v0, 48, v[52:53]
	v_fmac_f32_e32 v12, v14, v8
	v_mul_f32_e32 v9, v10, v7
	s_delay_alu instid0(VALU_DEP_3) | instskip(NEXT) | instid1(VALU_DEP_3)
	v_ashrrev_i32_e32 v1, 31, v0
	v_fma_f32 v6, -v6, v12, v11
	s_delay_alu instid0(VALU_DEP_3) | instskip(NEXT) | instid1(VALU_DEP_3)
	v_fma_f32 v13, -v2, v9, v10
	v_lshlrev_b64_e32 v[0:1], 3, v[0:1]
	s_delay_alu instid0(VALU_DEP_2) | instskip(NEXT) | instid1(VALU_DEP_1)
	v_fmac_f32_e32 v9, v13, v7
	v_fma_f32 v2, -v2, v9, v10
	s_wait_alu 0xfffd
	s_delay_alu instid0(VALU_DEP_1) | instskip(SKIP_3) | instid1(VALU_DEP_2)
	v_div_fmas_f32 v2, v2, v7, v9
	s_mov_b32 vcc_lo, s4
	s_wait_alu 0xfffe
	v_div_fmas_f32 v6, v6, v8, v12
	v_div_fixup_f32 v2, v2, v4, v3
	s_delay_alu instid0(VALU_DEP_2)
	v_div_fixup_f32 v3, v6, v4, v5
	v_add_co_u32 v4, vcc_lo, s72, v0
	s_wait_alu 0xfffd
	v_add_co_ci_u32_e64 v5, null, s73, v1, vcc_lo
	v_mov_b32_e32 v1, 0
	global_store_b64 v[4:5], v[2:3], off
.LBB14_317:                             ;   in Loop: Header=BB14_12 Depth=1
	s_wait_alu 0xfffe
	s_or_b32 exec_lo, exec_lo, s40
	s_mov_b32 s4, -1
	s_mov_b32 s40, exec_lo
	v_cmpx_gt_i32_e32 0x47, v1
; %bb.318:                              ;   in Loop: Header=BB14_12 Depth=1
	v_cmp_eq_u32_e32 vcc_lo, 0, v1
	s_or_not1_b32 s4, vcc_lo, exec_lo
; %bb.319:                              ;   in Loop: Header=BB14_12 Depth=1
	s_wait_alu 0xfffe
	s_or_b32 exec_lo, exec_lo, s40
	s_delay_alu instid0(SALU_CYCLE_1)
	s_and_b32 exec_lo, exec_lo, s4
	s_cbranch_execz .LBB14_337
; %bb.320:                              ;   in Loop: Header=BB14_12 Depth=1
	scratch_load_b32 v0, off, off offset:140 ; 4-byte Folded Reload
	s_wait_loadcnt 0x0
	v_dual_mov_b32 v1, 0x47 :: v_dual_add_nc_u32 v0, s94, v0
	s_delay_alu instid0(VALU_DEP_1)
	v_cmp_gt_i32_e32 vcc_lo, s24, v0
	s_and_b32 s4, vcc_lo, s3
	s_wait_alu 0xfffe
	s_and_saveexec_b32 s40, s4
	s_cbranch_execz .LBB14_322
; %bb.321:                              ;   in Loop: Header=BB14_12 Depth=1
	scratch_load_b32 v2, off, off offset:152 ; 4-byte Folded Reload
	s_wait_loadcnt 0x0
	v_add_nc_u32_e32 v1, v103, v2
	v_add_nc_u32_e32 v5, 0, v2
	ds_load_2addr_stride64_b32 v[1:2], v1 offset1:13
	ds_load_2addr_b32 v[3:4], v5 offset0:48 offset1:49
	ds_load_b32 v5, v5 offset:3520
	s_wait_dscnt 0x1
	v_fma_mix_f32 v6, v3, v1, 0 op_sel_hi:[0,1,0]
	v_fma_mix_f32 v1, v3, v1, 0 op_sel:[0,1,0] op_sel_hi:[0,1,0]
	s_wait_dscnt 0x0
	s_delay_alu instid0(VALU_DEP_2) | instskip(NEXT) | instid1(VALU_DEP_2)
	v_fma_mix_f32 v3, v5, v2, v6 op_sel_hi:[0,1,0]
	v_fma_mix_f32 v5, v5, v2, v1 op_sel:[0,1,0] op_sel_hi:[0,1,0]
	s_delay_alu instid0(VALU_DEP_2) | instskip(NEXT) | instid1(VALU_DEP_2)
	v_div_scale_f32 v2, null, v4, v4, v3
	v_div_scale_f32 v6, null, v4, v4, v5
	v_div_scale_f32 v11, s4, v5, v4, v5
	s_delay_alu instid0(VALU_DEP_3) | instskip(NEXT) | instid1(VALU_DEP_2)
	v_rcp_f32_e32 v7, v2
	v_rcp_f32_e32 v8, v6
	v_div_scale_f32 v10, vcc_lo, v3, v4, v3
	s_delay_alu instid0(TRANS32_DEP_2) | instskip(NEXT) | instid1(TRANS32_DEP_1)
	v_fma_f32 v1, -v2, v7, 1.0
	v_fma_f32 v9, -v6, v8, 1.0
	s_delay_alu instid0(VALU_DEP_1) | instskip(NEXT) | instid1(VALU_DEP_1)
	v_fmac_f32_e32 v8, v9, v8
	v_mul_f32_e32 v12, v11, v8
	s_delay_alu instid0(VALU_DEP_1) | instskip(SKIP_2) | instid1(VALU_DEP_3)
	v_fma_f32 v14, -v6, v12, v11
	v_fmac_f32_e32 v7, v1, v7
	v_mad_co_u64_u32 v[0:1], null, v0, s25, v[86:87]
	v_fmac_f32_e32 v12, v14, v8
	s_delay_alu instid0(VALU_DEP_3) | instskip(NEXT) | instid1(VALU_DEP_3)
	v_mul_f32_e32 v9, v10, v7
	v_mad_co_u64_u32 v[0:1], null, v0, 48, v[52:53]
	s_delay_alu instid0(VALU_DEP_2) | instskip(NEXT) | instid1(VALU_DEP_4)
	v_fma_f32 v13, -v2, v9, v10
	v_fma_f32 v6, -v6, v12, v11
	s_delay_alu instid0(VALU_DEP_2) | instskip(NEXT) | instid1(VALU_DEP_4)
	v_fmac_f32_e32 v9, v13, v7
	v_ashrrev_i32_e32 v1, 31, v0
	s_delay_alu instid0(VALU_DEP_2) | instskip(NEXT) | instid1(VALU_DEP_2)
	v_fma_f32 v2, -v2, v9, v10
	v_lshlrev_b64_e32 v[0:1], 3, v[0:1]
	s_wait_alu 0xfffd
	s_delay_alu instid0(VALU_DEP_2) | instskip(SKIP_3) | instid1(VALU_DEP_2)
	v_div_fmas_f32 v2, v2, v7, v9
	s_mov_b32 vcc_lo, s4
	s_wait_alu 0xfffe
	v_div_fmas_f32 v6, v6, v8, v12
	v_div_fixup_f32 v2, v2, v4, v3
	s_delay_alu instid0(VALU_DEP_2)
	v_div_fixup_f32 v3, v6, v4, v5
	v_add_co_u32 v4, vcc_lo, s72, v0
	s_wait_alu 0xfffd
	v_add_co_ci_u32_e64 v5, null, s73, v1, vcc_lo
	v_mov_b32_e32 v1, 0
	global_store_b64 v[4:5], v[2:3], off
.LBB14_322:                             ;   in Loop: Header=BB14_12 Depth=1
	s_wait_alu 0xfffe
	s_or_b32 exec_lo, exec_lo, s40
	s_mov_b32 s4, -1
	s_mov_b32 s40, exec_lo
	v_cmpx_gt_i32_e32 0x47, v1
; %bb.323:                              ;   in Loop: Header=BB14_12 Depth=1
	v_cmp_eq_u32_e32 vcc_lo, 0, v1
	s_or_not1_b32 s4, vcc_lo, exec_lo
; %bb.324:                              ;   in Loop: Header=BB14_12 Depth=1
	s_wait_alu 0xfffe
	s_or_b32 exec_lo, exec_lo, s40
	s_delay_alu instid0(SALU_CYCLE_1)
	s_and_b32 exec_lo, exec_lo, s4
	s_cbranch_execz .LBB14_337
; %bb.325:                              ;   in Loop: Header=BB14_12 Depth=1
	s_clause 0x1
	scratch_load_b32 v0, off, off offset:156
	scratch_load_b64 v[1:2], off, off offset:144
	s_wait_loadcnt 0x1
	v_add_nc_u32_e32 v0, s94, v0
	s_wait_loadcnt 0x0
	v_or_b32_e32 v1, s39, v1
	s_delay_alu instid0(VALU_DEP_1)
	v_cmp_gt_i32_e64 s4, s33, v1
	v_mov_b32_e32 v1, 0x47
	v_cmp_gt_i32_e32 vcc_lo, s24, v0
	s_and_b32 s4, vcc_lo, s4
	s_wait_alu 0xfffe
	s_and_saveexec_b32 s40, s4
	s_cbranch_execz .LBB14_327
; %bb.326:                              ;   in Loop: Header=BB14_12 Depth=1
	scratch_load_b32 v2, off, off offset:160 ; 4-byte Folded Reload
	s_wait_loadcnt 0x0
	v_add_nc_u32_e32 v1, v103, v2
	v_add_nc_u32_e32 v5, 0, v2
	ds_load_2addr_stride64_b32 v[1:2], v1 offset1:13
	ds_load_2addr_b32 v[3:4], v5 offset0:48 offset1:49
	ds_load_b32 v5, v5 offset:3520
	scratch_load_b64 v[12:13], off, off offset:144 ; 8-byte Folded Reload
	s_wait_dscnt 0x1
	v_fma_mix_f32 v6, v3, v1, 0 op_sel_hi:[0,1,0]
	v_fma_mix_f32 v1, v3, v1, 0 op_sel:[0,1,0] op_sel_hi:[0,1,0]
	s_wait_dscnt 0x0
	s_delay_alu instid0(VALU_DEP_2) | instskip(NEXT) | instid1(VALU_DEP_2)
	v_fma_mix_f32 v3, v5, v2, v6 op_sel_hi:[0,1,0]
	v_fma_mix_f32 v5, v5, v2, v1 op_sel:[0,1,0] op_sel_hi:[0,1,0]
	s_delay_alu instid0(VALU_DEP_2) | instskip(NEXT) | instid1(VALU_DEP_2)
	v_div_scale_f32 v2, null, v4, v4, v3
	v_div_scale_f32 v6, null, v4, v4, v5
	v_div_scale_f32 v11, s4, v5, v4, v5
	s_delay_alu instid0(VALU_DEP_3) | instskip(NEXT) | instid1(VALU_DEP_2)
	v_rcp_f32_e32 v7, v2
	v_rcp_f32_e32 v8, v6
	v_div_scale_f32 v10, vcc_lo, v3, v4, v3
	s_delay_alu instid0(TRANS32_DEP_2) | instskip(NEXT) | instid1(TRANS32_DEP_1)
	v_fma_f32 v1, -v2, v7, 1.0
	v_fma_f32 v9, -v6, v8, 1.0
	s_delay_alu instid0(VALU_DEP_1) | instskip(NEXT) | instid1(VALU_DEP_3)
	v_fmac_f32_e32 v8, v9, v8
	v_fmac_f32_e32 v7, v1, v7
	s_wait_loadcnt 0x0
	v_mad_co_u64_u32 v[0:1], null, v0, s25, v[12:13]
	s_delay_alu instid0(VALU_DEP_3) | instskip(NEXT) | instid1(VALU_DEP_1)
	v_mul_f32_e32 v12, v11, v8
	v_fma_f32 v14, -v6, v12, v11
	s_delay_alu instid0(VALU_DEP_3) | instskip(NEXT) | instid1(VALU_DEP_2)
	v_mad_co_u64_u32 v[0:1], null, v0, 48, v[52:53]
	v_fmac_f32_e32 v12, v14, v8
	v_mul_f32_e32 v9, v10, v7
	s_delay_alu instid0(VALU_DEP_3) | instskip(NEXT) | instid1(VALU_DEP_3)
	v_ashrrev_i32_e32 v1, 31, v0
	v_fma_f32 v6, -v6, v12, v11
	s_delay_alu instid0(VALU_DEP_3) | instskip(NEXT) | instid1(VALU_DEP_3)
	v_fma_f32 v13, -v2, v9, v10
	v_lshlrev_b64_e32 v[0:1], 3, v[0:1]
	s_delay_alu instid0(VALU_DEP_2) | instskip(NEXT) | instid1(VALU_DEP_1)
	v_fmac_f32_e32 v9, v13, v7
	v_fma_f32 v2, -v2, v9, v10
	s_wait_alu 0xfffd
	s_delay_alu instid0(VALU_DEP_1) | instskip(SKIP_3) | instid1(VALU_DEP_2)
	v_div_fmas_f32 v2, v2, v7, v9
	s_mov_b32 vcc_lo, s4
	s_wait_alu 0xfffe
	v_div_fmas_f32 v6, v6, v8, v12
	v_div_fixup_f32 v2, v2, v4, v3
	s_delay_alu instid0(VALU_DEP_2)
	v_div_fixup_f32 v3, v6, v4, v5
	v_add_co_u32 v4, vcc_lo, s72, v0
	s_wait_alu 0xfffd
	v_add_co_ci_u32_e64 v5, null, s73, v1, vcc_lo
	v_mov_b32_e32 v1, 0
	global_store_b64 v[4:5], v[2:3], off
.LBB14_327:                             ;   in Loop: Header=BB14_12 Depth=1
	s_wait_alu 0xfffe
	s_or_b32 exec_lo, exec_lo, s40
	s_mov_b32 s4, -1
	s_mov_b32 s40, exec_lo
	v_cmpx_gt_i32_e32 0x47, v1
; %bb.328:                              ;   in Loop: Header=BB14_12 Depth=1
	v_cmp_eq_u32_e32 vcc_lo, 0, v1
	s_or_not1_b32 s4, vcc_lo, exec_lo
; %bb.329:                              ;   in Loop: Header=BB14_12 Depth=1
	s_wait_alu 0xfffe
	s_or_b32 exec_lo, exec_lo, s40
	s_delay_alu instid0(SALU_CYCLE_1)
	s_and_b32 exec_lo, exec_lo, s4
	s_cbranch_execz .LBB14_337
; %bb.330:                              ;   in Loop: Header=BB14_12 Depth=1
	scratch_load_b32 v0, off, off offset:164 ; 4-byte Folded Reload
	s_wait_loadcnt 0x0
	v_dual_mov_b32 v1, 0x47 :: v_dual_add_nc_u32 v0, s94, v0
	s_delay_alu instid0(VALU_DEP_1)
	v_cmp_gt_i32_e32 vcc_lo, s24, v0
	s_and_b32 s3, vcc_lo, s3
	s_wait_alu 0xfffe
	s_and_saveexec_b32 s4, s3
	s_cbranch_execz .LBB14_332
; %bb.331:                              ;   in Loop: Header=BB14_12 Depth=1
	scratch_load_b32 v2, off, off offset:176 ; 4-byte Folded Reload
	s_wait_loadcnt 0x0
	v_add_nc_u32_e32 v1, v103, v2
	v_add_nc_u32_e32 v5, 0, v2
	ds_load_2addr_stride64_b32 v[1:2], v1 offset1:13
	ds_load_2addr_b32 v[3:4], v5 offset0:48 offset1:49
	ds_load_b32 v5, v5 offset:3520
	s_wait_dscnt 0x1
	v_fma_mix_f32 v6, v3, v1, 0 op_sel_hi:[0,1,0]
	v_fma_mix_f32 v1, v3, v1, 0 op_sel:[0,1,0] op_sel_hi:[0,1,0]
	s_wait_dscnt 0x0
	s_delay_alu instid0(VALU_DEP_2) | instskip(NEXT) | instid1(VALU_DEP_2)
	v_fma_mix_f32 v3, v5, v2, v6 op_sel_hi:[0,1,0]
	v_fma_mix_f32 v5, v5, v2, v1 op_sel:[0,1,0] op_sel_hi:[0,1,0]
	s_delay_alu instid0(VALU_DEP_2) | instskip(NEXT) | instid1(VALU_DEP_2)
	v_div_scale_f32 v2, null, v4, v4, v3
	v_div_scale_f32 v6, null, v4, v4, v5
	v_div_scale_f32 v11, s3, v5, v4, v5
	s_delay_alu instid0(VALU_DEP_3) | instskip(NEXT) | instid1(VALU_DEP_2)
	v_rcp_f32_e32 v7, v2
	v_rcp_f32_e32 v8, v6
	v_div_scale_f32 v10, vcc_lo, v3, v4, v3
	s_delay_alu instid0(TRANS32_DEP_2) | instskip(NEXT) | instid1(TRANS32_DEP_1)
	v_fma_f32 v1, -v2, v7, 1.0
	v_fma_f32 v9, -v6, v8, 1.0
	s_delay_alu instid0(VALU_DEP_1) | instskip(NEXT) | instid1(VALU_DEP_1)
	v_fmac_f32_e32 v8, v9, v8
	v_mul_f32_e32 v12, v11, v8
	s_delay_alu instid0(VALU_DEP_1) | instskip(SKIP_2) | instid1(VALU_DEP_3)
	v_fma_f32 v14, -v6, v12, v11
	v_fmac_f32_e32 v7, v1, v7
	v_mad_co_u64_u32 v[0:1], null, v0, s25, v[86:87]
	v_fmac_f32_e32 v12, v14, v8
	s_delay_alu instid0(VALU_DEP_3) | instskip(NEXT) | instid1(VALU_DEP_3)
	v_mul_f32_e32 v9, v10, v7
	v_mad_co_u64_u32 v[0:1], null, v0, 48, v[52:53]
	s_delay_alu instid0(VALU_DEP_2) | instskip(NEXT) | instid1(VALU_DEP_4)
	v_fma_f32 v13, -v2, v9, v10
	v_fma_f32 v6, -v6, v12, v11
	s_delay_alu instid0(VALU_DEP_2) | instskip(NEXT) | instid1(VALU_DEP_4)
	v_fmac_f32_e32 v9, v13, v7
	v_ashrrev_i32_e32 v1, 31, v0
	s_delay_alu instid0(VALU_DEP_2) | instskip(NEXT) | instid1(VALU_DEP_2)
	v_fma_f32 v2, -v2, v9, v10
	v_lshlrev_b64_e32 v[0:1], 3, v[0:1]
	s_wait_alu 0xfffd
	s_delay_alu instid0(VALU_DEP_2) | instskip(SKIP_3) | instid1(VALU_DEP_2)
	v_div_fmas_f32 v2, v2, v7, v9
	s_mov_b32 vcc_lo, s3
	s_wait_alu 0xfffe
	v_div_fmas_f32 v6, v6, v8, v12
	v_div_fixup_f32 v2, v2, v4, v3
	s_delay_alu instid0(VALU_DEP_2)
	v_div_fixup_f32 v3, v6, v4, v5
	v_add_co_u32 v4, vcc_lo, s72, v0
	s_wait_alu 0xfffd
	v_add_co_ci_u32_e64 v5, null, s73, v1, vcc_lo
	v_mov_b32_e32 v1, 0
	global_store_b64 v[4:5], v[2:3], off
.LBB14_332:                             ;   in Loop: Header=BB14_12 Depth=1
	s_wait_alu 0xfffe
	s_or_b32 exec_lo, exec_lo, s4
	s_mov_b32 s3, -1
	s_mov_b32 s4, exec_lo
	v_cmpx_gt_i32_e32 0x47, v1
; %bb.333:                              ;   in Loop: Header=BB14_12 Depth=1
	v_cmp_eq_u32_e32 vcc_lo, 0, v1
	s_or_not1_b32 s3, vcc_lo, exec_lo
; %bb.334:                              ;   in Loop: Header=BB14_12 Depth=1
	s_wait_alu 0xfffe
	s_or_b32 exec_lo, exec_lo, s4
	s_delay_alu instid0(SALU_CYCLE_1)
	s_and_b32 exec_lo, exec_lo, s3
	s_cbranch_execz .LBB14_337
; %bb.335:                              ;   in Loop: Header=BB14_12 Depth=1
	s_clause 0x1
	scratch_load_b32 v0, off, off offset:180
	scratch_load_b64 v[1:2], off, off offset:168
	s_wait_loadcnt 0x1
	v_add_nc_u32_e32 v0, s94, v0
	s_wait_loadcnt 0x0
	v_or_b32_e32 v1, s39, v1
	s_delay_alu instid0(VALU_DEP_2) | instskip(NEXT) | instid1(VALU_DEP_2)
	v_cmp_gt_i32_e32 vcc_lo, s24, v0
	v_cmp_gt_i32_e64 s3, s33, v1
	s_and_b32 s3, vcc_lo, s3
	s_wait_alu 0xfffe
	s_and_b32 exec_lo, exec_lo, s3
	s_cbranch_execz .LBB14_337
; %bb.336:                              ;   in Loop: Header=BB14_12 Depth=1
	scratch_load_b32 v2, off, off offset:184 ; 4-byte Folded Reload
	s_wait_loadcnt 0x0
	v_add_nc_u32_e32 v1, v103, v2
	v_add_nc_u32_e32 v5, 0, v2
	ds_load_2addr_stride64_b32 v[1:2], v1 offset1:13
	ds_load_2addr_b32 v[3:4], v5 offset0:48 offset1:49
	ds_load_b32 v5, v5 offset:3520
	scratch_load_b64 v[12:13], off, off offset:168 ; 8-byte Folded Reload
	s_wait_dscnt 0x1
	v_fma_mix_f32 v6, v3, v1, 0 op_sel_hi:[0,1,0]
	v_fma_mix_f32 v1, v3, v1, 0 op_sel:[0,1,0] op_sel_hi:[0,1,0]
	s_wait_dscnt 0x0
	s_delay_alu instid0(VALU_DEP_2) | instskip(NEXT) | instid1(VALU_DEP_2)
	v_fma_mix_f32 v3, v5, v2, v6 op_sel_hi:[0,1,0]
	v_fma_mix_f32 v5, v5, v2, v1 op_sel:[0,1,0] op_sel_hi:[0,1,0]
	s_delay_alu instid0(VALU_DEP_2) | instskip(NEXT) | instid1(VALU_DEP_2)
	v_div_scale_f32 v2, null, v4, v4, v3
	v_div_scale_f32 v6, null, v4, v4, v5
	v_div_scale_f32 v11, s3, v5, v4, v5
	s_delay_alu instid0(VALU_DEP_3) | instskip(NEXT) | instid1(VALU_DEP_2)
	v_rcp_f32_e32 v7, v2
	v_rcp_f32_e32 v8, v6
	v_div_scale_f32 v10, vcc_lo, v3, v4, v3
	s_delay_alu instid0(TRANS32_DEP_2) | instskip(NEXT) | instid1(TRANS32_DEP_1)
	v_fma_f32 v1, -v2, v7, 1.0
	v_fma_f32 v9, -v6, v8, 1.0
	s_delay_alu instid0(VALU_DEP_1) | instskip(NEXT) | instid1(VALU_DEP_3)
	v_fmac_f32_e32 v8, v9, v8
	v_fmac_f32_e32 v7, v1, v7
	s_wait_loadcnt 0x0
	v_mad_co_u64_u32 v[0:1], null, v0, s25, v[12:13]
	s_delay_alu instid0(VALU_DEP_3) | instskip(NEXT) | instid1(VALU_DEP_1)
	v_mul_f32_e32 v12, v11, v8
	v_fma_f32 v14, -v6, v12, v11
	s_delay_alu instid0(VALU_DEP_3) | instskip(NEXT) | instid1(VALU_DEP_2)
	v_mad_co_u64_u32 v[0:1], null, v0, 48, v[52:53]
	v_fmac_f32_e32 v12, v14, v8
	v_mul_f32_e32 v9, v10, v7
	s_delay_alu instid0(VALU_DEP_3) | instskip(NEXT) | instid1(VALU_DEP_3)
	v_ashrrev_i32_e32 v1, 31, v0
	v_fma_f32 v6, -v6, v12, v11
	s_delay_alu instid0(VALU_DEP_3) | instskip(NEXT) | instid1(VALU_DEP_3)
	v_fma_f32 v13, -v2, v9, v10
	v_lshlrev_b64_e32 v[0:1], 3, v[0:1]
	s_delay_alu instid0(VALU_DEP_2) | instskip(NEXT) | instid1(VALU_DEP_1)
	v_fmac_f32_e32 v9, v13, v7
	v_fma_f32 v2, -v2, v9, v10
	s_wait_alu 0xfffd
	s_delay_alu instid0(VALU_DEP_1)
	v_div_fmas_f32 v2, v2, v7, v9
	s_mov_b32 vcc_lo, s3
	s_wait_alu 0xfffe
	v_div_fmas_f32 v6, v6, v8, v12
	v_add_co_u32 v0, vcc_lo, s72, v0
	v_div_fixup_f32 v2, v2, v4, v3
	s_wait_alu 0xfffd
	v_add_co_ci_u32_e64 v1, null, s73, v1, vcc_lo
	v_div_fixup_f32 v3, v6, v4, v5
	global_store_b64 v[0:1], v[2:3], off
.LBB14_337:                             ;   in Loop: Header=BB14_12 Depth=1
	s_wait_alu 0xfffe
	s_or_b32 exec_lo, exec_lo, s34
	v_add_nc_u32_e32 v0, s94, v145
	v_or_b32_e32 v1, s39, v75
	s_delay_alu instid0(VALU_DEP_1) | instskip(SKIP_1) | instid1(VALU_DEP_4)
	v_cmp_gt_i32_e64 s3, s33, v1
	v_mov_b32_e32 v1, 0x47
	v_cmp_gt_i32_e32 vcc_lo, s24, v0
	s_and_b32 s4, vcc_lo, s3
	s_wait_alu 0xfffe
	s_and_saveexec_b32 s34, s4
	s_cbranch_execz .LBB14_339
; %bb.338:                              ;   in Loop: Header=BB14_12 Depth=1
	v_add_nc_u32_e32 v1, v161, v146
	v_add_nc_u32_e32 v5, 0, v146
	s_delay_alu instid0(VALU_DEP_2)
	v_add_nc_u32_e32 v1, 0x80, v1
	ds_load_2addr_stride64_b32 v[1:2], v1 offset1:13
	ds_load_2addr_b32 v[3:4], v5 offset0:48 offset1:49
	ds_load_b32 v5, v5 offset:3520
	s_wait_dscnt 0x1
	v_fma_mix_f32 v6, v3, v1, 0 op_sel_hi:[0,1,0]
	v_fma_mix_f32 v1, v3, v1, 0 op_sel:[0,1,0] op_sel_hi:[0,1,0]
	s_wait_dscnt 0x0
	s_delay_alu instid0(VALU_DEP_2) | instskip(NEXT) | instid1(VALU_DEP_2)
	v_fma_mix_f32 v3, v5, v2, v6 op_sel_hi:[0,1,0]
	v_fma_mix_f32 v5, v5, v2, v1 op_sel:[0,1,0] op_sel_hi:[0,1,0]
	s_delay_alu instid0(VALU_DEP_2) | instskip(NEXT) | instid1(VALU_DEP_2)
	v_div_scale_f32 v2, null, v4, v4, v3
	v_div_scale_f32 v6, null, v4, v4, v5
	v_div_scale_f32 v10, vcc_lo, v3, v4, v3
	s_delay_alu instid0(VALU_DEP_3) | instskip(NEXT) | instid1(VALU_DEP_2)
	v_rcp_f32_e32 v7, v2
	v_rcp_f32_e32 v8, v6
	v_div_scale_f32 v11, s4, v5, v4, v5
	s_delay_alu instid0(TRANS32_DEP_2) | instskip(NEXT) | instid1(TRANS32_DEP_1)
	v_fma_f32 v1, -v2, v7, 1.0
	v_fma_f32 v9, -v6, v8, 1.0
	s_delay_alu instid0(VALU_DEP_2) | instskip(NEXT) | instid1(VALU_DEP_2)
	v_fmac_f32_e32 v7, v1, v7
	v_fmac_f32_e32 v8, v9, v8
	v_mad_co_u64_u32 v[0:1], null, v0, s25, v[75:76]
	s_delay_alu instid0(VALU_DEP_2) | instskip(NEXT) | instid1(VALU_DEP_2)
	v_dual_mul_f32 v9, v10, v7 :: v_dual_mul_f32 v12, v11, v8
	v_mul_lo_u32 v0, v0, 48
	s_delay_alu instid0(VALU_DEP_2) | instskip(NEXT) | instid1(VALU_DEP_3)
	v_fma_f32 v1, -v2, v9, v10
	v_fma_f32 v13, -v6, v12, v11
	s_delay_alu instid0(VALU_DEP_2) | instskip(NEXT) | instid1(VALU_DEP_2)
	v_fmac_f32_e32 v9, v1, v7
	v_fmac_f32_e32 v12, v13, v8
	v_ashrrev_i32_e32 v1, 31, v0
	v_or_b32_e32 v0, v0, v102
	s_delay_alu instid0(VALU_DEP_4) | instskip(NEXT) | instid1(VALU_DEP_4)
	v_fma_f32 v2, -v2, v9, v10
	v_fma_f32 v6, -v6, v12, v11
	s_delay_alu instid0(VALU_DEP_3) | instskip(SKIP_1) | instid1(VALU_DEP_3)
	v_lshlrev_b64_e32 v[0:1], 3, v[0:1]
	s_wait_alu 0xfffd
	v_div_fmas_f32 v2, v2, v7, v9
	s_mov_b32 vcc_lo, s4
	s_wait_alu 0xfffe
	v_div_fmas_f32 v6, v6, v8, v12
	s_delay_alu instid0(VALU_DEP_2) | instskip(NEXT) | instid1(VALU_DEP_2)
	v_div_fixup_f32 v2, v2, v4, v3
	v_div_fixup_f32 v3, v6, v4, v5
	v_add_co_u32 v4, vcc_lo, s72, v0
	s_wait_alu 0xfffd
	v_add_co_ci_u32_e64 v5, null, s73, v1, vcc_lo
	v_mov_b32_e32 v1, 0
	global_store_b64 v[4:5], v[2:3], off offset:256
.LBB14_339:                             ;   in Loop: Header=BB14_12 Depth=1
	s_wait_alu 0xfffe
	s_or_b32 exec_lo, exec_lo, s34
	s_mov_b32 s4, -1
	s_mov_b32 s34, exec_lo
	v_cmpx_gt_i32_e32 0x47, v1
; %bb.340:                              ;   in Loop: Header=BB14_12 Depth=1
	v_cmp_eq_u32_e32 vcc_lo, 0, v1
	s_or_not1_b32 s4, vcc_lo, exec_lo
; %bb.341:                              ;   in Loop: Header=BB14_12 Depth=1
	s_wait_alu 0xfffe
	s_or_b32 exec_lo, exec_lo, s34
	s_delay_alu instid0(SALU_CYCLE_1)
	s_and_b32 exec_lo, exec_lo, s4
	s_cbranch_execz .LBB14_10
; %bb.342:                              ;   in Loop: Header=BB14_12 Depth=1
	v_dual_mov_b32 v1, 0x47 :: v_dual_add_nc_u32 v0, s94, v147
	s_delay_alu instid0(VALU_DEP_1)
	v_cmp_gt_i32_e32 vcc_lo, s24, v0
	s_and_b32 s4, vcc_lo, s3
	s_wait_alu 0xfffe
	s_and_saveexec_b32 s34, s4
	s_cbranch_execz .LBB14_344
; %bb.343:                              ;   in Loop: Header=BB14_12 Depth=1
	v_add_nc_u32_e32 v1, v161, v148
	v_add_nc_u32_e32 v5, 0, v148
	s_delay_alu instid0(VALU_DEP_2)
	v_add_nc_u32_e32 v1, 0x80, v1
	ds_load_2addr_stride64_b32 v[1:2], v1 offset1:13
	ds_load_2addr_b32 v[3:4], v5 offset0:48 offset1:49
	ds_load_b32 v5, v5 offset:3520
	s_wait_dscnt 0x1
	v_fma_mix_f32 v6, v3, v1, 0 op_sel_hi:[0,1,0]
	v_fma_mix_f32 v1, v3, v1, 0 op_sel:[0,1,0] op_sel_hi:[0,1,0]
	s_wait_dscnt 0x0
	s_delay_alu instid0(VALU_DEP_2) | instskip(NEXT) | instid1(VALU_DEP_2)
	v_fma_mix_f32 v3, v5, v2, v6 op_sel_hi:[0,1,0]
	v_fma_mix_f32 v5, v5, v2, v1 op_sel:[0,1,0] op_sel_hi:[0,1,0]
	s_delay_alu instid0(VALU_DEP_2) | instskip(NEXT) | instid1(VALU_DEP_2)
	v_div_scale_f32 v2, null, v4, v4, v3
	v_div_scale_f32 v6, null, v4, v4, v5
	v_div_scale_f32 v11, s4, v5, v4, v5
	s_delay_alu instid0(VALU_DEP_3) | instskip(NEXT) | instid1(VALU_DEP_2)
	v_rcp_f32_e32 v7, v2
	v_rcp_f32_e32 v8, v6
	v_div_scale_f32 v10, vcc_lo, v3, v4, v3
	s_delay_alu instid0(TRANS32_DEP_2) | instskip(NEXT) | instid1(TRANS32_DEP_1)
	v_fma_f32 v1, -v2, v7, 1.0
	v_fma_f32 v9, -v6, v8, 1.0
	s_delay_alu instid0(VALU_DEP_1) | instskip(NEXT) | instid1(VALU_DEP_3)
	v_fmac_f32_e32 v8, v9, v8
	v_fmac_f32_e32 v7, v1, v7
	v_mad_co_u64_u32 v[0:1], null, v0, s25, v[75:76]
	s_delay_alu instid0(VALU_DEP_3) | instskip(NEXT) | instid1(VALU_DEP_2)
	v_mul_f32_e32 v12, v11, v8
	v_mul_lo_u32 v0, v0, 48
	s_delay_alu instid0(VALU_DEP_2) | instskip(NEXT) | instid1(VALU_DEP_1)
	v_fma_f32 v13, -v6, v12, v11
	v_dual_mul_f32 v9, v10, v7 :: v_dual_fmac_f32 v12, v13, v8
	s_delay_alu instid0(VALU_DEP_1) | instskip(NEXT) | instid1(VALU_DEP_2)
	v_fma_f32 v1, -v2, v9, v10
	v_fma_f32 v6, -v6, v12, v11
	s_delay_alu instid0(VALU_DEP_2) | instskip(SKIP_2) | instid1(VALU_DEP_3)
	v_fmac_f32_e32 v9, v1, v7
	v_ashrrev_i32_e32 v1, 31, v0
	v_or_b32_e32 v0, v0, v102
	v_fma_f32 v2, -v2, v9, v10
	s_delay_alu instid0(VALU_DEP_2) | instskip(SKIP_1) | instid1(VALU_DEP_2)
	v_lshlrev_b64_e32 v[0:1], 3, v[0:1]
	s_wait_alu 0xfffd
	v_div_fmas_f32 v2, v2, v7, v9
	s_mov_b32 vcc_lo, s4
	s_wait_alu 0xfffe
	v_div_fmas_f32 v6, v6, v8, v12
	s_delay_alu instid0(VALU_DEP_2) | instskip(NEXT) | instid1(VALU_DEP_2)
	v_div_fixup_f32 v2, v2, v4, v3
	v_div_fixup_f32 v3, v6, v4, v5
	v_add_co_u32 v4, vcc_lo, s72, v0
	s_wait_alu 0xfffd
	v_add_co_ci_u32_e64 v5, null, s73, v1, vcc_lo
	v_mov_b32_e32 v1, 0
	global_store_b64 v[4:5], v[2:3], off offset:256
.LBB14_344:                             ;   in Loop: Header=BB14_12 Depth=1
	s_wait_alu 0xfffe
	s_or_b32 exec_lo, exec_lo, s34
	s_mov_b32 s4, -1
	s_mov_b32 s34, exec_lo
	v_cmpx_gt_i32_e32 0x47, v1
; %bb.345:                              ;   in Loop: Header=BB14_12 Depth=1
	v_cmp_eq_u32_e32 vcc_lo, 0, v1
	s_or_not1_b32 s4, vcc_lo, exec_lo
; %bb.346:                              ;   in Loop: Header=BB14_12 Depth=1
	s_wait_alu 0xfffe
	s_or_b32 exec_lo, exec_lo, s34
	s_delay_alu instid0(SALU_CYCLE_1)
	s_and_b32 exec_lo, exec_lo, s4
	s_cbranch_execz .LBB14_10
; %bb.347:                              ;   in Loop: Header=BB14_12 Depth=1
	v_dual_mov_b32 v1, 0x47 :: v_dual_add_nc_u32 v0, s94, v149
	s_delay_alu instid0(VALU_DEP_1)
	v_cmp_gt_i32_e32 vcc_lo, s24, v0
	s_and_b32 s4, vcc_lo, s3
	s_wait_alu 0xfffe
	s_and_saveexec_b32 s34, s4
	s_cbranch_execz .LBB14_349
; %bb.348:                              ;   in Loop: Header=BB14_12 Depth=1
	v_add_nc_u32_e32 v1, v161, v150
	v_add_nc_u32_e32 v5, 0, v150
	s_delay_alu instid0(VALU_DEP_2)
	v_add_nc_u32_e32 v1, 0x80, v1
	ds_load_2addr_stride64_b32 v[1:2], v1 offset1:13
	ds_load_2addr_b32 v[3:4], v5 offset0:48 offset1:49
	ds_load_b32 v5, v5 offset:3520
	s_wait_dscnt 0x1
	v_fma_mix_f32 v6, v3, v1, 0 op_sel_hi:[0,1,0]
	v_fma_mix_f32 v1, v3, v1, 0 op_sel:[0,1,0] op_sel_hi:[0,1,0]
	s_wait_dscnt 0x0
	s_delay_alu instid0(VALU_DEP_2) | instskip(NEXT) | instid1(VALU_DEP_2)
	v_fma_mix_f32 v3, v5, v2, v6 op_sel_hi:[0,1,0]
	v_fma_mix_f32 v5, v5, v2, v1 op_sel:[0,1,0] op_sel_hi:[0,1,0]
	s_delay_alu instid0(VALU_DEP_2) | instskip(NEXT) | instid1(VALU_DEP_2)
	v_div_scale_f32 v2, null, v4, v4, v3
	v_div_scale_f32 v6, null, v4, v4, v5
	v_div_scale_f32 v10, vcc_lo, v3, v4, v3
	s_delay_alu instid0(VALU_DEP_3) | instskip(NEXT) | instid1(VALU_DEP_2)
	v_rcp_f32_e32 v7, v2
	v_rcp_f32_e32 v8, v6
	v_div_scale_f32 v11, s4, v5, v4, v5
	s_delay_alu instid0(TRANS32_DEP_2) | instskip(NEXT) | instid1(TRANS32_DEP_1)
	v_fma_f32 v1, -v2, v7, 1.0
	v_fma_f32 v9, -v6, v8, 1.0
	s_delay_alu instid0(VALU_DEP_2) | instskip(NEXT) | instid1(VALU_DEP_2)
	v_fmac_f32_e32 v7, v1, v7
	v_fmac_f32_e32 v8, v9, v8
	v_mad_co_u64_u32 v[0:1], null, v0, s25, v[75:76]
	s_delay_alu instid0(VALU_DEP_2) | instskip(NEXT) | instid1(VALU_DEP_2)
	v_dual_mul_f32 v9, v10, v7 :: v_dual_mul_f32 v12, v11, v8
	v_mul_lo_u32 v0, v0, 48
	s_delay_alu instid0(VALU_DEP_2) | instskip(NEXT) | instid1(VALU_DEP_3)
	v_fma_f32 v1, -v2, v9, v10
	v_fma_f32 v13, -v6, v12, v11
	s_delay_alu instid0(VALU_DEP_2) | instskip(NEXT) | instid1(VALU_DEP_2)
	v_fmac_f32_e32 v9, v1, v7
	v_fmac_f32_e32 v12, v13, v8
	v_ashrrev_i32_e32 v1, 31, v0
	v_or_b32_e32 v0, v0, v102
	s_delay_alu instid0(VALU_DEP_4) | instskip(NEXT) | instid1(VALU_DEP_4)
	v_fma_f32 v2, -v2, v9, v10
	v_fma_f32 v6, -v6, v12, v11
	s_delay_alu instid0(VALU_DEP_3) | instskip(SKIP_1) | instid1(VALU_DEP_3)
	v_lshlrev_b64_e32 v[0:1], 3, v[0:1]
	s_wait_alu 0xfffd
	v_div_fmas_f32 v2, v2, v7, v9
	s_mov_b32 vcc_lo, s4
	s_wait_alu 0xfffe
	v_div_fmas_f32 v6, v6, v8, v12
	s_delay_alu instid0(VALU_DEP_2) | instskip(NEXT) | instid1(VALU_DEP_2)
	v_div_fixup_f32 v2, v2, v4, v3
	v_div_fixup_f32 v3, v6, v4, v5
	v_add_co_u32 v4, vcc_lo, s72, v0
	s_wait_alu 0xfffd
	v_add_co_ci_u32_e64 v5, null, s73, v1, vcc_lo
	v_mov_b32_e32 v1, 0
	global_store_b64 v[4:5], v[2:3], off offset:256
.LBB14_349:                             ;   in Loop: Header=BB14_12 Depth=1
	s_wait_alu 0xfffe
	s_or_b32 exec_lo, exec_lo, s34
	s_mov_b32 s4, -1
	s_mov_b32 s34, exec_lo
	v_cmpx_gt_i32_e32 0x47, v1
; %bb.350:                              ;   in Loop: Header=BB14_12 Depth=1
	v_cmp_eq_u32_e32 vcc_lo, 0, v1
	s_or_not1_b32 s4, vcc_lo, exec_lo
; %bb.351:                              ;   in Loop: Header=BB14_12 Depth=1
	s_wait_alu 0xfffe
	s_or_b32 exec_lo, exec_lo, s34
	s_delay_alu instid0(SALU_CYCLE_1)
	s_and_b32 exec_lo, exec_lo, s4
	s_cbranch_execz .LBB14_10
; %bb.352:                              ;   in Loop: Header=BB14_12 Depth=1
	scratch_load_b32 v0, off, off           ; 4-byte Folded Reload
	s_wait_loadcnt 0x0
	v_dual_mov_b32 v1, 0x47 :: v_dual_add_nc_u32 v0, s94, v0
	s_delay_alu instid0(VALU_DEP_1)
	v_cmp_gt_i32_e32 vcc_lo, s24, v0
	s_and_b32 s4, vcc_lo, s3
	s_wait_alu 0xfffe
	s_and_saveexec_b32 s34, s4
	s_cbranch_execz .LBB14_354
; %bb.353:                              ;   in Loop: Header=BB14_12 Depth=1
	scratch_load_b32 v2, off, off offset:12 ; 4-byte Folded Reload
	s_wait_loadcnt 0x0
	v_add_nc_u32_e32 v1, v161, v2
	v_add_nc_u32_e32 v5, 0, v2
	s_delay_alu instid0(VALU_DEP_2)
	v_add_nc_u32_e32 v1, 0x80, v1
	ds_load_2addr_stride64_b32 v[1:2], v1 offset1:13
	ds_load_2addr_b32 v[3:4], v5 offset0:48 offset1:49
	ds_load_b32 v5, v5 offset:3520
	s_wait_dscnt 0x1
	v_fma_mix_f32 v6, v3, v1, 0 op_sel_hi:[0,1,0]
	v_fma_mix_f32 v1, v3, v1, 0 op_sel:[0,1,0] op_sel_hi:[0,1,0]
	s_wait_dscnt 0x0
	s_delay_alu instid0(VALU_DEP_2) | instskip(NEXT) | instid1(VALU_DEP_2)
	v_fma_mix_f32 v3, v5, v2, v6 op_sel_hi:[0,1,0]
	v_fma_mix_f32 v5, v5, v2, v1 op_sel:[0,1,0] op_sel_hi:[0,1,0]
	s_delay_alu instid0(VALU_DEP_2) | instskip(NEXT) | instid1(VALU_DEP_2)
	v_div_scale_f32 v2, null, v4, v4, v3
	v_div_scale_f32 v6, null, v4, v4, v5
	v_div_scale_f32 v10, vcc_lo, v3, v4, v3
	s_delay_alu instid0(VALU_DEP_3) | instskip(NEXT) | instid1(VALU_DEP_2)
	v_rcp_f32_e32 v7, v2
	v_rcp_f32_e32 v8, v6
	v_div_scale_f32 v11, s4, v5, v4, v5
	s_delay_alu instid0(TRANS32_DEP_2) | instskip(NEXT) | instid1(TRANS32_DEP_1)
	v_fma_f32 v1, -v2, v7, 1.0
	v_fma_f32 v9, -v6, v8, 1.0
	s_delay_alu instid0(VALU_DEP_2) | instskip(NEXT) | instid1(VALU_DEP_2)
	v_fmac_f32_e32 v7, v1, v7
	v_fmac_f32_e32 v8, v9, v8
	v_mad_co_u64_u32 v[0:1], null, v0, s25, v[75:76]
	s_delay_alu instid0(VALU_DEP_2) | instskip(NEXT) | instid1(VALU_DEP_2)
	v_dual_mul_f32 v9, v10, v7 :: v_dual_mul_f32 v12, v11, v8
	v_mul_lo_u32 v0, v0, 48
	s_delay_alu instid0(VALU_DEP_2) | instskip(NEXT) | instid1(VALU_DEP_3)
	v_fma_f32 v1, -v2, v9, v10
	v_fma_f32 v13, -v6, v12, v11
	s_delay_alu instid0(VALU_DEP_2) | instskip(NEXT) | instid1(VALU_DEP_2)
	v_fmac_f32_e32 v9, v1, v7
	v_fmac_f32_e32 v12, v13, v8
	v_ashrrev_i32_e32 v1, 31, v0
	v_or_b32_e32 v0, v0, v102
	s_delay_alu instid0(VALU_DEP_4) | instskip(NEXT) | instid1(VALU_DEP_4)
	v_fma_f32 v2, -v2, v9, v10
	v_fma_f32 v6, -v6, v12, v11
	s_delay_alu instid0(VALU_DEP_3) | instskip(SKIP_1) | instid1(VALU_DEP_3)
	v_lshlrev_b64_e32 v[0:1], 3, v[0:1]
	s_wait_alu 0xfffd
	v_div_fmas_f32 v2, v2, v7, v9
	s_mov_b32 vcc_lo, s4
	s_wait_alu 0xfffe
	v_div_fmas_f32 v6, v6, v8, v12
	s_delay_alu instid0(VALU_DEP_2) | instskip(NEXT) | instid1(VALU_DEP_2)
	v_div_fixup_f32 v2, v2, v4, v3
	v_div_fixup_f32 v3, v6, v4, v5
	v_add_co_u32 v4, vcc_lo, s72, v0
	s_wait_alu 0xfffd
	v_add_co_ci_u32_e64 v5, null, s73, v1, vcc_lo
	v_mov_b32_e32 v1, 0
	global_store_b64 v[4:5], v[2:3], off offset:256
.LBB14_354:                             ;   in Loop: Header=BB14_12 Depth=1
	s_wait_alu 0xfffe
	s_or_b32 exec_lo, exec_lo, s34
	s_mov_b32 s4, -1
	s_mov_b32 s34, exec_lo
	v_cmpx_gt_i32_e32 0x47, v1
; %bb.355:                              ;   in Loop: Header=BB14_12 Depth=1
	v_cmp_eq_u32_e32 vcc_lo, 0, v1
	s_or_not1_b32 s4, vcc_lo, exec_lo
; %bb.356:                              ;   in Loop: Header=BB14_12 Depth=1
	s_wait_alu 0xfffe
	s_or_b32 exec_lo, exec_lo, s34
	s_delay_alu instid0(SALU_CYCLE_1)
	s_and_b32 exec_lo, exec_lo, s4
	s_cbranch_execz .LBB14_10
; %bb.357:                              ;   in Loop: Header=BB14_12 Depth=1
	scratch_load_b32 v0, off, off offset:16 ; 4-byte Folded Reload
	s_wait_loadcnt 0x0
	v_dual_mov_b32 v1, 0x47 :: v_dual_add_nc_u32 v0, s94, v0
	s_delay_alu instid0(VALU_DEP_1)
	v_cmp_gt_i32_e32 vcc_lo, s24, v0
	s_and_b32 s4, vcc_lo, s3
	s_wait_alu 0xfffe
	s_and_saveexec_b32 s34, s4
	s_cbranch_execz .LBB14_359
; %bb.358:                              ;   in Loop: Header=BB14_12 Depth=1
	scratch_load_b32 v2, off, off offset:32 ; 4-byte Folded Reload
	s_wait_loadcnt 0x0
	v_add_nc_u32_e32 v1, v161, v2
	v_add_nc_u32_e32 v5, 0, v2
	s_delay_alu instid0(VALU_DEP_2)
	v_add_nc_u32_e32 v1, 0x80, v1
	ds_load_2addr_stride64_b32 v[1:2], v1 offset1:13
	ds_load_2addr_b32 v[3:4], v5 offset0:48 offset1:49
	ds_load_b32 v5, v5 offset:3520
	s_wait_dscnt 0x1
	v_fma_mix_f32 v6, v3, v1, 0 op_sel_hi:[0,1,0]
	v_fma_mix_f32 v1, v3, v1, 0 op_sel:[0,1,0] op_sel_hi:[0,1,0]
	s_wait_dscnt 0x0
	s_delay_alu instid0(VALU_DEP_2) | instskip(NEXT) | instid1(VALU_DEP_2)
	v_fma_mix_f32 v3, v5, v2, v6 op_sel_hi:[0,1,0]
	v_fma_mix_f32 v5, v5, v2, v1 op_sel:[0,1,0] op_sel_hi:[0,1,0]
	s_delay_alu instid0(VALU_DEP_2) | instskip(NEXT) | instid1(VALU_DEP_2)
	v_div_scale_f32 v2, null, v4, v4, v3
	v_div_scale_f32 v6, null, v4, v4, v5
	v_div_scale_f32 v10, vcc_lo, v3, v4, v3
	s_delay_alu instid0(VALU_DEP_3) | instskip(NEXT) | instid1(VALU_DEP_2)
	v_rcp_f32_e32 v7, v2
	v_rcp_f32_e32 v8, v6
	v_div_scale_f32 v11, s4, v5, v4, v5
	s_delay_alu instid0(TRANS32_DEP_2) | instskip(NEXT) | instid1(TRANS32_DEP_1)
	v_fma_f32 v1, -v2, v7, 1.0
	v_fma_f32 v9, -v6, v8, 1.0
	s_delay_alu instid0(VALU_DEP_2) | instskip(NEXT) | instid1(VALU_DEP_2)
	v_fmac_f32_e32 v7, v1, v7
	v_fmac_f32_e32 v8, v9, v8
	v_mad_co_u64_u32 v[0:1], null, v0, s25, v[75:76]
	s_delay_alu instid0(VALU_DEP_2) | instskip(NEXT) | instid1(VALU_DEP_2)
	v_dual_mul_f32 v9, v10, v7 :: v_dual_mul_f32 v12, v11, v8
	v_mul_lo_u32 v0, v0, 48
	s_delay_alu instid0(VALU_DEP_2) | instskip(NEXT) | instid1(VALU_DEP_3)
	v_fma_f32 v1, -v2, v9, v10
	v_fma_f32 v13, -v6, v12, v11
	s_delay_alu instid0(VALU_DEP_2) | instskip(NEXT) | instid1(VALU_DEP_2)
	v_fmac_f32_e32 v9, v1, v7
	v_fmac_f32_e32 v12, v13, v8
	v_ashrrev_i32_e32 v1, 31, v0
	v_or_b32_e32 v0, v0, v102
	s_delay_alu instid0(VALU_DEP_4) | instskip(NEXT) | instid1(VALU_DEP_4)
	v_fma_f32 v2, -v2, v9, v10
	v_fma_f32 v6, -v6, v12, v11
	s_delay_alu instid0(VALU_DEP_3) | instskip(SKIP_1) | instid1(VALU_DEP_3)
	v_lshlrev_b64_e32 v[0:1], 3, v[0:1]
	s_wait_alu 0xfffd
	v_div_fmas_f32 v2, v2, v7, v9
	s_mov_b32 vcc_lo, s4
	s_wait_alu 0xfffe
	v_div_fmas_f32 v6, v6, v8, v12
	s_delay_alu instid0(VALU_DEP_2) | instskip(NEXT) | instid1(VALU_DEP_2)
	v_div_fixup_f32 v2, v2, v4, v3
	v_div_fixup_f32 v3, v6, v4, v5
	v_add_co_u32 v4, vcc_lo, s72, v0
	s_wait_alu 0xfffd
	v_add_co_ci_u32_e64 v5, null, s73, v1, vcc_lo
	v_mov_b32_e32 v1, 0
	global_store_b64 v[4:5], v[2:3], off offset:256
.LBB14_359:                             ;   in Loop: Header=BB14_12 Depth=1
	s_wait_alu 0xfffe
	s_or_b32 exec_lo, exec_lo, s34
	s_mov_b32 s4, -1
	s_mov_b32 s34, exec_lo
	v_cmpx_gt_i32_e32 0x47, v1
; %bb.360:                              ;   in Loop: Header=BB14_12 Depth=1
	v_cmp_eq_u32_e32 vcc_lo, 0, v1
	s_or_not1_b32 s4, vcc_lo, exec_lo
; %bb.361:                              ;   in Loop: Header=BB14_12 Depth=1
	s_wait_alu 0xfffe
	s_or_b32 exec_lo, exec_lo, s34
	s_delay_alu instid0(SALU_CYCLE_1)
	s_and_b32 exec_lo, exec_lo, s4
	s_cbranch_execz .LBB14_10
; %bb.362:                              ;   in Loop: Header=BB14_12 Depth=1
	scratch_load_b32 v0, off, off offset:36 ; 4-byte Folded Reload
	s_wait_loadcnt 0x0
	v_dual_mov_b32 v1, 0x47 :: v_dual_add_nc_u32 v0, s94, v0
	s_delay_alu instid0(VALU_DEP_1)
	v_cmp_gt_i32_e32 vcc_lo, s24, v0
	s_and_b32 s4, vcc_lo, s3
	s_wait_alu 0xfffe
	s_and_saveexec_b32 s34, s4
	s_cbranch_execz .LBB14_364
; %bb.363:                              ;   in Loop: Header=BB14_12 Depth=1
	scratch_load_b32 v2, off, off offset:52 ; 4-byte Folded Reload
	s_wait_loadcnt 0x0
	v_add_nc_u32_e32 v1, v161, v2
	v_add_nc_u32_e32 v5, 0, v2
	s_delay_alu instid0(VALU_DEP_2)
	v_add_nc_u32_e32 v1, 0x80, v1
	ds_load_2addr_stride64_b32 v[1:2], v1 offset1:13
	ds_load_2addr_b32 v[3:4], v5 offset0:48 offset1:49
	ds_load_b32 v5, v5 offset:3520
	s_wait_dscnt 0x1
	v_fma_mix_f32 v6, v3, v1, 0 op_sel_hi:[0,1,0]
	v_fma_mix_f32 v1, v3, v1, 0 op_sel:[0,1,0] op_sel_hi:[0,1,0]
	s_wait_dscnt 0x0
	s_delay_alu instid0(VALU_DEP_2) | instskip(NEXT) | instid1(VALU_DEP_2)
	v_fma_mix_f32 v3, v5, v2, v6 op_sel_hi:[0,1,0]
	v_fma_mix_f32 v5, v5, v2, v1 op_sel:[0,1,0] op_sel_hi:[0,1,0]
	s_delay_alu instid0(VALU_DEP_2) | instskip(NEXT) | instid1(VALU_DEP_2)
	v_div_scale_f32 v2, null, v4, v4, v3
	v_div_scale_f32 v6, null, v4, v4, v5
	v_div_scale_f32 v10, vcc_lo, v3, v4, v3
	s_delay_alu instid0(VALU_DEP_3) | instskip(NEXT) | instid1(VALU_DEP_2)
	v_rcp_f32_e32 v7, v2
	v_rcp_f32_e32 v8, v6
	v_div_scale_f32 v11, s4, v5, v4, v5
	s_delay_alu instid0(TRANS32_DEP_2) | instskip(NEXT) | instid1(TRANS32_DEP_1)
	v_fma_f32 v1, -v2, v7, 1.0
	v_fma_f32 v9, -v6, v8, 1.0
	s_delay_alu instid0(VALU_DEP_2) | instskip(NEXT) | instid1(VALU_DEP_2)
	v_fmac_f32_e32 v7, v1, v7
	v_fmac_f32_e32 v8, v9, v8
	v_mad_co_u64_u32 v[0:1], null, v0, s25, v[75:76]
	s_delay_alu instid0(VALU_DEP_2) | instskip(NEXT) | instid1(VALU_DEP_2)
	v_dual_mul_f32 v9, v10, v7 :: v_dual_mul_f32 v12, v11, v8
	v_mul_lo_u32 v0, v0, 48
	s_delay_alu instid0(VALU_DEP_2) | instskip(NEXT) | instid1(VALU_DEP_3)
	v_fma_f32 v1, -v2, v9, v10
	v_fma_f32 v13, -v6, v12, v11
	s_delay_alu instid0(VALU_DEP_2) | instskip(NEXT) | instid1(VALU_DEP_2)
	v_fmac_f32_e32 v9, v1, v7
	v_fmac_f32_e32 v12, v13, v8
	v_ashrrev_i32_e32 v1, 31, v0
	v_or_b32_e32 v0, v0, v102
	s_delay_alu instid0(VALU_DEP_4) | instskip(NEXT) | instid1(VALU_DEP_4)
	v_fma_f32 v2, -v2, v9, v10
	v_fma_f32 v6, -v6, v12, v11
	s_delay_alu instid0(VALU_DEP_3) | instskip(SKIP_1) | instid1(VALU_DEP_3)
	v_lshlrev_b64_e32 v[0:1], 3, v[0:1]
	s_wait_alu 0xfffd
	v_div_fmas_f32 v2, v2, v7, v9
	s_mov_b32 vcc_lo, s4
	s_wait_alu 0xfffe
	v_div_fmas_f32 v6, v6, v8, v12
	s_delay_alu instid0(VALU_DEP_2) | instskip(NEXT) | instid1(VALU_DEP_2)
	v_div_fixup_f32 v2, v2, v4, v3
	v_div_fixup_f32 v3, v6, v4, v5
	v_add_co_u32 v4, vcc_lo, s72, v0
	s_wait_alu 0xfffd
	v_add_co_ci_u32_e64 v5, null, s73, v1, vcc_lo
	v_mov_b32_e32 v1, 0
	global_store_b64 v[4:5], v[2:3], off offset:256
.LBB14_364:                             ;   in Loop: Header=BB14_12 Depth=1
	s_wait_alu 0xfffe
	s_or_b32 exec_lo, exec_lo, s34
	s_mov_b32 s4, -1
	s_mov_b32 s34, exec_lo
	v_cmpx_gt_i32_e32 0x47, v1
; %bb.365:                              ;   in Loop: Header=BB14_12 Depth=1
	v_cmp_eq_u32_e32 vcc_lo, 0, v1
	s_or_not1_b32 s4, vcc_lo, exec_lo
; %bb.366:                              ;   in Loop: Header=BB14_12 Depth=1
	s_wait_alu 0xfffe
	s_or_b32 exec_lo, exec_lo, s34
	s_delay_alu instid0(SALU_CYCLE_1)
	s_and_b32 exec_lo, exec_lo, s4
	s_cbranch_execz .LBB14_10
; %bb.367:                              ;   in Loop: Header=BB14_12 Depth=1
	scratch_load_b32 v0, off, off offset:56 ; 4-byte Folded Reload
	s_wait_loadcnt 0x0
	v_dual_mov_b32 v1, 0x47 :: v_dual_add_nc_u32 v0, s94, v0
	s_delay_alu instid0(VALU_DEP_1)
	v_cmp_gt_i32_e32 vcc_lo, s24, v0
	s_and_b32 s4, vcc_lo, s3
	s_wait_alu 0xfffe
	s_and_saveexec_b32 s34, s4
	s_cbranch_execz .LBB14_369
; %bb.368:                              ;   in Loop: Header=BB14_12 Depth=1
	scratch_load_b32 v2, off, off offset:72 ; 4-byte Folded Reload
	s_wait_loadcnt 0x0
	v_add_nc_u32_e32 v1, v161, v2
	v_add_nc_u32_e32 v5, 0, v2
	s_delay_alu instid0(VALU_DEP_2)
	v_add_nc_u32_e32 v1, 0x80, v1
	ds_load_2addr_stride64_b32 v[1:2], v1 offset1:13
	ds_load_2addr_b32 v[3:4], v5 offset0:48 offset1:49
	ds_load_b32 v5, v5 offset:3520
	s_wait_dscnt 0x1
	v_fma_mix_f32 v6, v3, v1, 0 op_sel_hi:[0,1,0]
	v_fma_mix_f32 v1, v3, v1, 0 op_sel:[0,1,0] op_sel_hi:[0,1,0]
	s_wait_dscnt 0x0
	s_delay_alu instid0(VALU_DEP_2) | instskip(NEXT) | instid1(VALU_DEP_2)
	v_fma_mix_f32 v3, v5, v2, v6 op_sel_hi:[0,1,0]
	v_fma_mix_f32 v5, v5, v2, v1 op_sel:[0,1,0] op_sel_hi:[0,1,0]
	s_delay_alu instid0(VALU_DEP_2) | instskip(NEXT) | instid1(VALU_DEP_2)
	v_div_scale_f32 v2, null, v4, v4, v3
	v_div_scale_f32 v6, null, v4, v4, v5
	v_div_scale_f32 v10, vcc_lo, v3, v4, v3
	s_delay_alu instid0(VALU_DEP_3) | instskip(NEXT) | instid1(VALU_DEP_2)
	v_rcp_f32_e32 v7, v2
	v_rcp_f32_e32 v8, v6
	v_div_scale_f32 v11, s4, v5, v4, v5
	s_delay_alu instid0(TRANS32_DEP_2) | instskip(NEXT) | instid1(TRANS32_DEP_1)
	v_fma_f32 v1, -v2, v7, 1.0
	v_fma_f32 v9, -v6, v8, 1.0
	s_delay_alu instid0(VALU_DEP_2) | instskip(NEXT) | instid1(VALU_DEP_2)
	v_fmac_f32_e32 v7, v1, v7
	v_fmac_f32_e32 v8, v9, v8
	v_mad_co_u64_u32 v[0:1], null, v0, s25, v[75:76]
	s_delay_alu instid0(VALU_DEP_2) | instskip(NEXT) | instid1(VALU_DEP_2)
	v_dual_mul_f32 v9, v10, v7 :: v_dual_mul_f32 v12, v11, v8
	v_mul_lo_u32 v0, v0, 48
	s_delay_alu instid0(VALU_DEP_2) | instskip(NEXT) | instid1(VALU_DEP_3)
	v_fma_f32 v1, -v2, v9, v10
	v_fma_f32 v13, -v6, v12, v11
	s_delay_alu instid0(VALU_DEP_2) | instskip(NEXT) | instid1(VALU_DEP_2)
	v_fmac_f32_e32 v9, v1, v7
	v_fmac_f32_e32 v12, v13, v8
	v_ashrrev_i32_e32 v1, 31, v0
	v_or_b32_e32 v0, v0, v102
	s_delay_alu instid0(VALU_DEP_4) | instskip(NEXT) | instid1(VALU_DEP_4)
	v_fma_f32 v2, -v2, v9, v10
	v_fma_f32 v6, -v6, v12, v11
	s_delay_alu instid0(VALU_DEP_3) | instskip(SKIP_1) | instid1(VALU_DEP_3)
	v_lshlrev_b64_e32 v[0:1], 3, v[0:1]
	s_wait_alu 0xfffd
	v_div_fmas_f32 v2, v2, v7, v9
	s_mov_b32 vcc_lo, s4
	s_wait_alu 0xfffe
	v_div_fmas_f32 v6, v6, v8, v12
	s_delay_alu instid0(VALU_DEP_2) | instskip(NEXT) | instid1(VALU_DEP_2)
	v_div_fixup_f32 v2, v2, v4, v3
	v_div_fixup_f32 v3, v6, v4, v5
	v_add_co_u32 v4, vcc_lo, s72, v0
	s_wait_alu 0xfffd
	v_add_co_ci_u32_e64 v5, null, s73, v1, vcc_lo
	v_mov_b32_e32 v1, 0
	global_store_b64 v[4:5], v[2:3], off offset:256
.LBB14_369:                             ;   in Loop: Header=BB14_12 Depth=1
	s_wait_alu 0xfffe
	s_or_b32 exec_lo, exec_lo, s34
	s_mov_b32 s4, -1
	s_mov_b32 s34, exec_lo
	v_cmpx_gt_i32_e32 0x47, v1
; %bb.370:                              ;   in Loop: Header=BB14_12 Depth=1
	v_cmp_eq_u32_e32 vcc_lo, 0, v1
	s_or_not1_b32 s4, vcc_lo, exec_lo
; %bb.371:                              ;   in Loop: Header=BB14_12 Depth=1
	s_wait_alu 0xfffe
	s_or_b32 exec_lo, exec_lo, s34
	s_delay_alu instid0(SALU_CYCLE_1)
	s_and_b32 exec_lo, exec_lo, s4
	s_cbranch_execz .LBB14_10
; %bb.372:                              ;   in Loop: Header=BB14_12 Depth=1
	scratch_load_b32 v0, off, off offset:76 ; 4-byte Folded Reload
	s_wait_loadcnt 0x0
	v_add_nc_u32_e32 v0, s94, v0
	s_delay_alu instid0(VALU_DEP_1)
	v_cmp_gt_i32_e32 vcc_lo, s24, v0
	s_and_b32 s3, vcc_lo, s3
	s_wait_alu 0xfffe
	s_and_b32 exec_lo, exec_lo, s3
	s_cbranch_execz .LBB14_10
; %bb.373:                              ;   in Loop: Header=BB14_12 Depth=1
	scratch_load_b32 v2, off, off offset:92 ; 4-byte Folded Reload
	s_wait_loadcnt 0x0
	v_add_nc_u32_e32 v1, v161, v2
	v_add_nc_u32_e32 v5, 0, v2
	s_delay_alu instid0(VALU_DEP_2)
	v_add_nc_u32_e32 v1, 0x80, v1
	ds_load_2addr_stride64_b32 v[1:2], v1 offset1:13
	ds_load_2addr_b32 v[3:4], v5 offset0:48 offset1:49
	ds_load_b32 v5, v5 offset:3520
	s_wait_dscnt 0x1
	v_fma_mix_f32 v6, v3, v1, 0 op_sel_hi:[0,1,0]
	v_fma_mix_f32 v1, v3, v1, 0 op_sel:[0,1,0] op_sel_hi:[0,1,0]
	s_wait_dscnt 0x0
	s_delay_alu instid0(VALU_DEP_2) | instskip(NEXT) | instid1(VALU_DEP_2)
	v_fma_mix_f32 v3, v5, v2, v6 op_sel_hi:[0,1,0]
	v_fma_mix_f32 v5, v5, v2, v1 op_sel:[0,1,0] op_sel_hi:[0,1,0]
	s_delay_alu instid0(VALU_DEP_2) | instskip(NEXT) | instid1(VALU_DEP_2)
	v_div_scale_f32 v2, null, v4, v4, v3
	v_div_scale_f32 v6, null, v4, v4, v5
	v_div_scale_f32 v10, vcc_lo, v3, v4, v3
	s_delay_alu instid0(VALU_DEP_3) | instskip(NEXT) | instid1(VALU_DEP_2)
	v_rcp_f32_e32 v7, v2
	v_rcp_f32_e32 v8, v6
	v_div_scale_f32 v11, s3, v5, v4, v5
	s_delay_alu instid0(TRANS32_DEP_2) | instskip(NEXT) | instid1(TRANS32_DEP_1)
	v_fma_f32 v1, -v2, v7, 1.0
	v_fma_f32 v9, -v6, v8, 1.0
	s_delay_alu instid0(VALU_DEP_2) | instskip(NEXT) | instid1(VALU_DEP_2)
	v_fmac_f32_e32 v7, v1, v7
	v_fmac_f32_e32 v8, v9, v8
	v_mad_co_u64_u32 v[0:1], null, v0, s25, v[75:76]
	s_delay_alu instid0(VALU_DEP_2) | instskip(NEXT) | instid1(VALU_DEP_2)
	v_dual_mul_f32 v9, v10, v7 :: v_dual_mul_f32 v12, v11, v8
	v_mul_lo_u32 v0, v0, 48
	s_delay_alu instid0(VALU_DEP_2) | instskip(NEXT) | instid1(VALU_DEP_3)
	v_fma_f32 v1, -v2, v9, v10
	v_fma_f32 v13, -v6, v12, v11
	s_delay_alu instid0(VALU_DEP_2) | instskip(NEXT) | instid1(VALU_DEP_2)
	v_fmac_f32_e32 v9, v1, v7
	v_fmac_f32_e32 v12, v13, v8
	v_ashrrev_i32_e32 v1, 31, v0
	v_or_b32_e32 v0, v0, v102
	s_delay_alu instid0(VALU_DEP_4) | instskip(NEXT) | instid1(VALU_DEP_4)
	v_fma_f32 v2, -v2, v9, v10
	v_fma_f32 v6, -v6, v12, v11
	s_delay_alu instid0(VALU_DEP_3) | instskip(SKIP_1) | instid1(VALU_DEP_3)
	v_lshlrev_b64_e32 v[0:1], 3, v[0:1]
	s_wait_alu 0xfffd
	v_div_fmas_f32 v2, v2, v7, v9
	s_mov_b32 vcc_lo, s3
	s_wait_alu 0xfffe
	v_div_fmas_f32 v6, v6, v8, v12
	v_add_co_u32 v0, vcc_lo, s72, v0
	v_div_fixup_f32 v2, v2, v4, v3
	s_wait_alu 0xfffd
	v_add_co_ci_u32_e64 v1, null, s73, v1, vcc_lo
	v_div_fixup_f32 v3, v6, v4, v5
	global_store_b64 v[0:1], v[2:3], off offset:256
	s_branch .LBB14_10
.LBB14_374:
	v_readlane_b32 s0, v255, 3
	v_readlane_b32 s67, v255, 8
	;; [unrolled: 1-line block ×5, first 2 shown]
	s_mov_b32 s34, s0
	v_readlane_b32 s51, v255, 7
	s_and_not1_b32 vcc_lo, exec_lo, s3
	s_wait_alu 0xfffe
	s_cbranch_vccnz .LBB14_8
.LBB14_375:
	s_abs_i32 s0, s99
	s_abs_i32 s3, s48
	s_cvt_f32_u32 s1, s0
	s_sub_co_i32 s2, 0, s0
	v_mov_b32_e32 v25, s40
	s_delay_alu instid0(SALU_CYCLE_1) | instskip(NEXT) | instid1(TRANS32_DEP_1)
	v_rcp_iflag_f32_e32 v0, s1
	v_readfirstlane_b32 s1, v0
	s_mul_f32 s1, s1, 0x4f7ffffe
	s_wait_alu 0xfffe
	s_delay_alu instid0(SALU_CYCLE_2) | instskip(SKIP_1) | instid1(SALU_CYCLE_2)
	s_cvt_u32_f32 s1, s1
	s_wait_alu 0xfffe
	s_mul_i32 s2, s2, s1
	s_wait_alu 0xfffe
	s_mul_hi_u32 s2, s1, s2
	s_wait_alu 0xfffe
	s_add_co_i32 s1, s1, s2
	s_xor_b32 s2, s48, s99
	s_wait_alu 0xfffe
	s_mul_hi_u32 s1, s3, s1
	s_ashr_i32 s2, s2, 31
	s_wait_alu 0xfffe
	s_mul_i32 s4, s1, s0
	s_wait_alu 0xfffe
	s_sub_co_i32 s3, s3, s4
	s_add_co_i32 s4, s1, 1
	s_wait_alu 0xfffe
	s_sub_co_i32 s5, s3, s0
	s_cmp_ge_u32 s3, s0
	s_cselect_b32 s1, s4, s1
	s_wait_alu 0xfffe
	s_cselect_b32 s3, s5, s3
	s_add_co_i32 s4, s1, 1
	s_wait_alu 0xfffe
	s_cmp_ge_u32 s3, s0
	s_cselect_b32 s0, s4, s1
	s_abs_i32 s1, s98
	s_wait_alu 0xfffe
	s_xor_b32 s0, s0, s2
	s_cvt_f32_u32 s3, s1
	s_wait_alu 0xfffe
	s_sub_co_i32 s2, s0, s2
	s_sub_co_i32 s0, 0, s1
	s_wait_alu 0xfffe
	s_mul_i32 s4, s2, s99
	v_rcp_iflag_f32_e32 v0, s3
	s_wait_alu 0xfffe
	s_sub_co_i32 s4, s48, s4
	s_wait_alu 0xfffe
	s_abs_i32 s5, s4
	s_delay_alu instid0(TRANS32_DEP_1) | instskip(SKIP_2) | instid1(SALU_CYCLE_2)
	v_readfirstlane_b32 s3, v0
	s_mul_f32 s3, s3, 0x4f7ffffe
	s_wait_alu 0xfffe
	s_cvt_u32_f32 s3, s3
	s_wait_alu 0xfffe
	s_delay_alu instid0(SALU_CYCLE_2)
	s_mul_i32 s0, s0, s3
	s_wait_alu 0xfffe
	s_mul_hi_u32 s0, s3, s0
	s_wait_alu 0xfffe
	s_add_co_i32 s3, s3, s0
	s_wait_alu 0xfffe
	s_mul_hi_u32 s0, s5, s3
	s_xor_b32 s3, s4, s98
	s_wait_alu 0xfffe
	s_mul_i32 s16, s0, s1
	s_ashr_i32 s3, s3, 31
	s_sub_co_i32 s5, s5, s16
	s_add_co_i32 s16, s0, 1
	s_wait_alu 0xfffe
	s_sub_co_i32 s17, s5, s1
	s_cmp_ge_u32 s5, s1
	s_cselect_b32 s0, s16, s0
	s_cselect_b32 s5, s17, s5
	s_wait_alu 0xfffe
	s_add_co_i32 s16, s0, 1
	s_cmp_ge_u32 s5, s1
	s_cselect_b32 s0, s16, s0
	s_abs_i32 s1, s97
	s_wait_alu 0xfffe
	s_xor_b32 s0, s0, s3
	s_cvt_f32_u32 s5, s1
	s_wait_alu 0xfffe
	s_sub_co_i32 s20, s0, s3
	s_sub_co_i32 s0, 0, s1
	s_mul_i32 s3, s20, s98
	v_rcp_iflag_f32_e32 v0, s5
	s_wait_alu 0xfffe
	s_sub_co_i32 s3, s4, s3
	s_wait_alu 0xfffe
	s_abs_i32 s4, s3
	s_delay_alu instid0(TRANS32_DEP_1) | instskip(SKIP_2) | instid1(SALU_CYCLE_2)
	v_readfirstlane_b32 s5, v0
	s_mul_f32 s5, s5, 0x4f7ffffe
	s_wait_alu 0xfffe
	s_cvt_u32_f32 s5, s5
	s_wait_alu 0xfffe
	s_delay_alu instid0(SALU_CYCLE_2)
	s_mul_i32 s0, s0, s5
	s_wait_alu 0xfffe
	s_mul_hi_u32 s0, s5, s0
	s_wait_alu 0xfffe
	s_add_co_i32 s5, s5, s0
	s_wait_alu 0xfffe
	s_mul_hi_u32 s0, s4, s5
	s_xor_b32 s5, s3, s97
	s_wait_alu 0xfffe
	s_mul_i32 s16, s0, s1
	s_ashr_i32 s5, s5, 31
	s_sub_co_i32 s4, s4, s16
	s_add_co_i32 s16, s0, 1
	s_wait_alu 0xfffe
	s_sub_co_i32 s17, s4, s1
	s_cmp_ge_u32 s4, s1
	s_cselect_b32 s0, s16, s0
	s_cselect_b32 s4, s17, s4
	s_wait_alu 0xfffe
	s_add_co_i32 s16, s0, 1
	s_cmp_ge_u32 s4, s1
	s_cselect_b32 s0, s16, s0
	s_wait_alu 0xfffe
	s_xor_b32 s0, s0, s5
	s_wait_alu 0xfffe
	s_sub_co_i32 s0, s0, s5
	s_mov_b32 s5, 0
	s_wait_alu 0xfffe
	s_mul_i32 s1, s0, s97
	s_wait_alu 0xfffe
	s_sub_co_i32 s1, s3, s1
	s_wait_alu 0xfffe
	s_abs_i32 s4, s1
	s_ashr_i32 s1, s1, 31
	s_wait_alu 0xfffe
	s_mul_u64 s[16:17], s[4:5], s[52:53]
	s_xor_b32 s1, s1, s101
	s_mul_i32 s3, s17, s55
	s_wait_alu 0xfffe
	s_sub_co_i32 s3, s4, s3
	s_add_co_i32 s4, s17, 1
	s_wait_alu 0xfffe
	s_sub_co_i32 s16, s3, s55
	s_cmp_ge_u32 s3, s55
	s_cselect_b32 s4, s4, s17
	s_cselect_b32 s3, s16, s3
	s_wait_alu 0xfffe
	s_add_co_i32 s16, s4, 1
	s_cmp_ge_u32 s3, s55
	s_cselect_b32 s3, s16, s4
	s_abs_i32 s21, s50
	s_delay_alu instid0(SALU_CYCLE_1) | instskip(SKIP_1) | instid1(SALU_CYCLE_2)
	s_cvt_f32_u32 s4, s21
	s_wait_alu 0xfffe
	v_rcp_iflag_f32_e32 v0, s4
	s_xor_b32 s4, s3, s1
	s_wait_alu 0xfffe
	s_sub_co_i32 s1, s4, s1
	s_cmp_eq_u64 s[18:19], 0
	s_delay_alu instid0(TRANS32_DEP_1)
	v_readfirstlane_b32 s3, v0
	s_cbranch_scc1 .LBB14_377
; %bb.376:
	v_readlane_b32 s4, v255, 0
	v_mov_b32_e32 v0, 0
	s_mul_i32 s4, s2, s4
	s_wait_alu 0xfffe
	s_add_co_i32 s16, s1, s4
	s_delay_alu instid0(SALU_CYCLE_1) | instskip(NEXT) | instid1(SALU_CYCLE_1)
	s_ashr_i32 s17, s16, 31
	s_lshl_b64 s[16:17], s[16:17], 2
	s_delay_alu instid0(SALU_CYCLE_1) | instskip(SKIP_3) | instid1(VALU_DEP_1)
	s_add_nc_u64 s[16:17], s[18:19], s[16:17]
	global_load_b32 v0, v0, s[16:17]
	s_wait_loadcnt 0x0
	v_ashrrev_i32_e32 v1, 31, v0
	v_lshrrev_b32_e32 v1, 27, v1
	s_delay_alu instid0(VALU_DEP_1) | instskip(NEXT) | instid1(VALU_DEP_1)
	v_add_nc_u32_e32 v0, v0, v1
	v_ashrrev_i32_e32 v0, 5, v0
	s_delay_alu instid0(VALU_DEP_1)
	v_min_i32_e32 v25, s40, v0
.LBB14_377:
	v_bfe_u32 v86, v101, 1, 9
	s_lshl_b32 s4, s0, 1
	s_wait_alu 0xfffe
	s_lshl_b32 s18, s1, 3
	v_or_b32_e32 v1, s4, v93
	s_mul_i32 s0, s2, s47
	v_add_nc_u32_e32 v0, s18, v86
	s_wait_alu 0xfffe
	s_ashr_i32 s1, s0, 31
	s_mul_i32 s16, s20, s33
	s_wait_alu 0xfffe
	s_add_nc_u64 s[8:9], s[8:9], s[0:1]
	v_cmp_le_i32_e64 s1, s33, v1
	v_cmp_le_i32_e64 s0, s24, v0
	s_add_co_i32 s16, s4, s16
	v_lshl_add_u32 v85, v52, 2, 0
	s_mul_i32 s16, s16, s46
	s_and_b32 s19, 0xffff, s27
	s_ashr_i32 s17, s16, 31
	s_or_b32 s0, s0, s1
	v_cmp_gt_i32_e32 vcc_lo, s33, v1
	s_wait_alu 0xfffe
	s_and_saveexec_b32 s1, s0
	s_wait_alu 0xfffe
	s_xor_b32 s0, exec_lo, s1
; %bb.378:
	v_mad_u32_u24 v0, 0xd0, v91, v85
	v_mov_b32_e32 v1, 0
	ds_store_b32 v0, v1
                                        ; implicit-def: $vgpr0
; %bb.379:
	s_wait_alu 0xfffe
	s_or_saveexec_b32 s1, s0
	s_add_nc_u64 s[8:9], s[8:9], s[16:17]
	s_mul_i32 s16, s19, 0x10001
	s_wait_alu 0xfffe
	s_xor_b32 exec_lo, exec_lo, s1
	s_cbranch_execz .LBB14_381
; %bb.380:
	v_mul_lo_u32 v0, v0, s35
	v_mul_lo_u32 v1, v93, s67
	s_delay_alu instid0(VALU_DEP_1) | instskip(NEXT) | instid1(VALU_DEP_1)
	v_add3_u32 v0, v1, v52, v0
	v_ashrrev_i32_e32 v1, 31, v0
	s_delay_alu instid0(VALU_DEP_1) | instskip(NEXT) | instid1(VALU_DEP_1)
	v_lshlrev_b64_e32 v[0:1], 3, v[0:1]
	v_add_co_u32 v0, s0, s8, v0
	s_wait_alu 0xf1ff
	s_delay_alu instid0(VALU_DEP_2) | instskip(SKIP_4) | instid1(VALU_DEP_1)
	v_add_co_ci_u32_e64 v1, null, s9, v1, s0
	global_load_b64 v[0:1], v[0:1], off
	s_wait_loadcnt 0x0
	v_cvt_f16_f32_e32 v0, v0
	v_cvt_f16_f32_e32 v1, v1
	v_pack_b32_f16 v0, v0, v1
	v_mad_u32_u24 v1, 0xd0, v91, v85
	s_delay_alu instid0(VALU_DEP_2)
	v_pk_mul_f16 v0, v0, s16
	ds_store_b32 v1, v0
.LBB14_381:
	s_or_b32 exec_lo, exec_lo, s1
	v_lshrrev_b32_e32 v0, 1, v100
	s_xor_b32 s1, vcc_lo, -1
	s_delay_alu instid0(VALU_DEP_1) | instskip(NEXT) | instid1(VALU_DEP_1)
	v_add_nc_u32_e32 v0, s18, v0
	v_cmp_le_i32_e64 s0, s24, v0
	s_wait_alu 0xfffe
	s_or_b32 s0, s0, s1
	s_wait_alu 0xfffe
	s_and_saveexec_b32 s17, s0
	s_wait_alu 0xfffe
	s_xor_b32 s0, exec_lo, s17
; %bb.382:
	v_mad_u32_u24 v0, 0xd0, v100, v85
	v_mov_b32_e32 v1, 0
                                        ; implicit-def: $vgpr100
	ds_store_b32 v0, v1
                                        ; implicit-def: $vgpr0
; %bb.383:
	s_wait_alu 0xfffe
	s_and_not1_saveexec_b32 s0, s0
	s_cbranch_execz .LBB14_385
; %bb.384:
	v_mul_lo_u32 v0, v0, s35
	v_mul_lo_u32 v1, v93, s67
	s_delay_alu instid0(VALU_DEP_1) | instskip(NEXT) | instid1(VALU_DEP_1)
	v_add3_u32 v0, v1, v52, v0
	v_ashrrev_i32_e32 v1, 31, v0
	s_delay_alu instid0(VALU_DEP_1) | instskip(NEXT) | instid1(VALU_DEP_1)
	v_lshlrev_b64_e32 v[0:1], 3, v[0:1]
	v_add_co_u32 v0, vcc_lo, s8, v0
	s_wait_alu 0xfffd
	s_delay_alu instid0(VALU_DEP_2) | instskip(SKIP_4) | instid1(VALU_DEP_1)
	v_add_co_ci_u32_e64 v1, null, s9, v1, vcc_lo
	global_load_b64 v[0:1], v[0:1], off
	s_wait_loadcnt 0x0
	v_cvt_f16_f32_e32 v0, v0
	v_cvt_f16_f32_e32 v1, v1
	v_pack_b32_f16 v0, v0, v1
	v_mad_u32_u24 v1, 0xd0, v100, v85
	s_delay_alu instid0(VALU_DEP_2)
	v_pk_mul_f16 v0, v0, s16
	ds_store_b32 v1, v0
.LBB14_385:
	s_wait_alu 0xfffe
	s_or_b32 exec_lo, exec_lo, s0
	v_lshrrev_b32_e32 v0, 1, v99
	s_delay_alu instid0(VALU_DEP_1) | instskip(NEXT) | instid1(VALU_DEP_1)
	v_add_nc_u32_e32 v0, s18, v0
	v_cmp_le_i32_e32 vcc_lo, s24, v0
	s_or_b32 s0, vcc_lo, s1
	s_wait_alu 0xfffe
	s_and_saveexec_b32 s17, s0
	s_wait_alu 0xfffe
	s_xor_b32 s0, exec_lo, s17
; %bb.386:
	v_mad_u32_u24 v0, 0xd0, v99, v85
	v_mov_b32_e32 v1, 0
                                        ; implicit-def: $vgpr99
	ds_store_b32 v0, v1
                                        ; implicit-def: $vgpr0
; %bb.387:
	s_wait_alu 0xfffe
	s_and_not1_saveexec_b32 s0, s0
	s_cbranch_execz .LBB14_389
; %bb.388:
	v_mul_lo_u32 v0, v0, s35
	v_mul_lo_u32 v1, v93, s67
	s_delay_alu instid0(VALU_DEP_1) | instskip(NEXT) | instid1(VALU_DEP_1)
	v_add3_u32 v0, v1, v52, v0
	v_ashrrev_i32_e32 v1, 31, v0
	s_delay_alu instid0(VALU_DEP_1) | instskip(NEXT) | instid1(VALU_DEP_1)
	v_lshlrev_b64_e32 v[0:1], 3, v[0:1]
	v_add_co_u32 v0, vcc_lo, s8, v0
	s_wait_alu 0xfffd
	s_delay_alu instid0(VALU_DEP_2) | instskip(SKIP_4) | instid1(VALU_DEP_1)
	v_add_co_ci_u32_e64 v1, null, s9, v1, vcc_lo
	global_load_b64 v[0:1], v[0:1], off
	s_wait_loadcnt 0x0
	v_cvt_f16_f32_e32 v0, v0
	v_cvt_f16_f32_e32 v1, v1
	v_pack_b32_f16 v0, v0, v1
	v_mad_u32_u24 v1, 0xd0, v99, v85
	s_delay_alu instid0(VALU_DEP_2)
	v_pk_mul_f16 v0, v0, s16
	ds_store_b32 v1, v0
.LBB14_389:
	s_wait_alu 0xfffe
	s_or_b32 exec_lo, exec_lo, s0
	v_lshrrev_b32_e32 v0, 1, v98
	s_delay_alu instid0(VALU_DEP_1) | instskip(NEXT) | instid1(VALU_DEP_1)
	v_add_nc_u32_e32 v0, s18, v0
	v_cmp_le_i32_e32 vcc_lo, s24, v0
	s_or_b32 s0, vcc_lo, s1
	s_wait_alu 0xfffe
	s_and_saveexec_b32 s17, s0
	s_wait_alu 0xfffe
	s_xor_b32 s0, exec_lo, s17
; %bb.390:
	v_mad_u32_u24 v0, 0xd0, v98, v85
	v_mov_b32_e32 v1, 0
                                        ; implicit-def: $vgpr98
	ds_store_b32 v0, v1
                                        ; implicit-def: $vgpr0
; %bb.391:
	s_wait_alu 0xfffe
	s_and_not1_saveexec_b32 s0, s0
	s_cbranch_execz .LBB14_393
; %bb.392:
	v_mul_lo_u32 v0, v0, s35
	v_mul_lo_u32 v1, v93, s67
	s_delay_alu instid0(VALU_DEP_1) | instskip(NEXT) | instid1(VALU_DEP_1)
	v_add3_u32 v0, v1, v52, v0
	v_ashrrev_i32_e32 v1, 31, v0
	s_delay_alu instid0(VALU_DEP_1) | instskip(NEXT) | instid1(VALU_DEP_1)
	v_lshlrev_b64_e32 v[0:1], 3, v[0:1]
	v_add_co_u32 v0, vcc_lo, s8, v0
	s_wait_alu 0xfffd
	s_delay_alu instid0(VALU_DEP_2) | instskip(SKIP_4) | instid1(VALU_DEP_1)
	v_add_co_ci_u32_e64 v1, null, s9, v1, vcc_lo
	global_load_b64 v[0:1], v[0:1], off
	s_wait_loadcnt 0x0
	v_cvt_f16_f32_e32 v0, v0
	v_cvt_f16_f32_e32 v1, v1
	v_pack_b32_f16 v0, v0, v1
	v_mad_u32_u24 v1, 0xd0, v98, v85
	s_delay_alu instid0(VALU_DEP_2)
	v_pk_mul_f16 v0, v0, s16
	ds_store_b32 v1, v0
.LBB14_393:
	s_wait_alu 0xfffe
	s_or_b32 exec_lo, exec_lo, s0
	v_lshrrev_b32_e32 v0, 1, v97
	s_delay_alu instid0(VALU_DEP_1) | instskip(NEXT) | instid1(VALU_DEP_1)
	v_add_nc_u32_e32 v0, s18, v0
	v_cmp_le_i32_e32 vcc_lo, s24, v0
	s_or_b32 s0, vcc_lo, s1
	s_wait_alu 0xfffe
	s_and_saveexec_b32 s17, s0
	s_wait_alu 0xfffe
	s_xor_b32 s0, exec_lo, s17
; %bb.394:
	v_mad_u32_u24 v0, 0xd0, v97, v85
	v_mov_b32_e32 v1, 0
                                        ; implicit-def: $vgpr97
	ds_store_b32 v0, v1
                                        ; implicit-def: $vgpr0
; %bb.395:
	s_wait_alu 0xfffe
	s_and_not1_saveexec_b32 s0, s0
	s_cbranch_execz .LBB14_397
; %bb.396:
	v_mul_lo_u32 v0, v0, s35
	v_mul_lo_u32 v1, v93, s67
	s_delay_alu instid0(VALU_DEP_1) | instskip(NEXT) | instid1(VALU_DEP_1)
	v_add3_u32 v0, v1, v52, v0
	v_ashrrev_i32_e32 v1, 31, v0
	s_delay_alu instid0(VALU_DEP_1) | instskip(NEXT) | instid1(VALU_DEP_1)
	v_lshlrev_b64_e32 v[0:1], 3, v[0:1]
	v_add_co_u32 v0, vcc_lo, s8, v0
	s_wait_alu 0xfffd
	s_delay_alu instid0(VALU_DEP_2) | instskip(SKIP_4) | instid1(VALU_DEP_1)
	v_add_co_ci_u32_e64 v1, null, s9, v1, vcc_lo
	global_load_b64 v[0:1], v[0:1], off
	s_wait_loadcnt 0x0
	v_cvt_f16_f32_e32 v0, v0
	v_cvt_f16_f32_e32 v1, v1
	v_pack_b32_f16 v0, v0, v1
	v_mad_u32_u24 v1, 0xd0, v97, v85
	s_delay_alu instid0(VALU_DEP_2)
	v_pk_mul_f16 v0, v0, s16
	ds_store_b32 v1, v0
.LBB14_397:
	s_wait_alu 0xfffe
	s_or_b32 exec_lo, exec_lo, s0
	v_lshrrev_b32_e32 v0, 1, v96
	s_delay_alu instid0(VALU_DEP_1) | instskip(NEXT) | instid1(VALU_DEP_1)
	v_add_nc_u32_e32 v0, s18, v0
	v_cmp_le_i32_e32 vcc_lo, s24, v0
	s_or_b32 s0, vcc_lo, s1
	s_wait_alu 0xfffe
	s_and_saveexec_b32 s17, s0
	s_wait_alu 0xfffe
	s_xor_b32 s0, exec_lo, s17
; %bb.398:
	v_mad_u32_u24 v0, 0xd0, v96, v85
	v_mov_b32_e32 v1, 0
                                        ; implicit-def: $vgpr96
	ds_store_b32 v0, v1
                                        ; implicit-def: $vgpr0
; %bb.399:
	s_wait_alu 0xfffe
	s_and_not1_saveexec_b32 s0, s0
	s_cbranch_execz .LBB14_401
; %bb.400:
	v_mul_lo_u32 v0, v0, s35
	v_mul_lo_u32 v1, v93, s67
	s_delay_alu instid0(VALU_DEP_1) | instskip(NEXT) | instid1(VALU_DEP_1)
	v_add3_u32 v0, v1, v52, v0
	v_ashrrev_i32_e32 v1, 31, v0
	s_delay_alu instid0(VALU_DEP_1) | instskip(NEXT) | instid1(VALU_DEP_1)
	v_lshlrev_b64_e32 v[0:1], 3, v[0:1]
	v_add_co_u32 v0, vcc_lo, s8, v0
	s_wait_alu 0xfffd
	s_delay_alu instid0(VALU_DEP_2) | instskip(SKIP_4) | instid1(VALU_DEP_1)
	v_add_co_ci_u32_e64 v1, null, s9, v1, vcc_lo
	global_load_b64 v[0:1], v[0:1], off
	s_wait_loadcnt 0x0
	v_cvt_f16_f32_e32 v0, v0
	v_cvt_f16_f32_e32 v1, v1
	v_pack_b32_f16 v0, v0, v1
	v_mad_u32_u24 v1, 0xd0, v96, v85
	s_delay_alu instid0(VALU_DEP_2)
	v_pk_mul_f16 v0, v0, s16
	ds_store_b32 v1, v0
.LBB14_401:
	s_wait_alu 0xfffe
	s_or_b32 exec_lo, exec_lo, s0
	v_lshrrev_b32_e32 v0, 1, v95
	s_delay_alu instid0(VALU_DEP_1) | instskip(NEXT) | instid1(VALU_DEP_1)
	v_add_nc_u32_e32 v0, s18, v0
	v_cmp_le_i32_e32 vcc_lo, s24, v0
	s_or_b32 s0, vcc_lo, s1
	s_wait_alu 0xfffe
	s_and_saveexec_b32 s17, s0
	s_wait_alu 0xfffe
	s_xor_b32 s0, exec_lo, s17
; %bb.402:
	v_mad_u32_u24 v0, 0xd0, v95, v85
	v_mov_b32_e32 v1, 0
                                        ; implicit-def: $vgpr95
	ds_store_b32 v0, v1
                                        ; implicit-def: $vgpr0
; %bb.403:
	s_wait_alu 0xfffe
	s_and_not1_saveexec_b32 s0, s0
	s_cbranch_execz .LBB14_405
; %bb.404:
	v_mul_lo_u32 v0, v0, s35
	v_mul_lo_u32 v1, v93, s67
	s_delay_alu instid0(VALU_DEP_1) | instskip(NEXT) | instid1(VALU_DEP_1)
	v_add3_u32 v0, v1, v52, v0
	v_ashrrev_i32_e32 v1, 31, v0
	s_delay_alu instid0(VALU_DEP_1) | instskip(NEXT) | instid1(VALU_DEP_1)
	v_lshlrev_b64_e32 v[0:1], 3, v[0:1]
	v_add_co_u32 v0, vcc_lo, s8, v0
	s_wait_alu 0xfffd
	s_delay_alu instid0(VALU_DEP_2) | instskip(SKIP_4) | instid1(VALU_DEP_1)
	v_add_co_ci_u32_e64 v1, null, s9, v1, vcc_lo
	global_load_b64 v[0:1], v[0:1], off
	s_wait_loadcnt 0x0
	v_cvt_f16_f32_e32 v0, v0
	v_cvt_f16_f32_e32 v1, v1
	v_pack_b32_f16 v0, v0, v1
	v_mad_u32_u24 v1, 0xd0, v95, v85
	s_delay_alu instid0(VALU_DEP_2)
	v_pk_mul_f16 v0, v0, s16
	ds_store_b32 v1, v0
.LBB14_405:
	s_wait_alu 0xfffe
	s_or_b32 exec_lo, exec_lo, s0
	v_lshrrev_b32_e32 v0, 1, v94
	s_delay_alu instid0(VALU_DEP_1) | instskip(NEXT) | instid1(VALU_DEP_1)
	v_add_nc_u32_e32 v0, s18, v0
	v_cmp_le_i32_e32 vcc_lo, s24, v0
	s_or_b32 s0, vcc_lo, s1
	s_wait_alu 0xfffe
	s_and_saveexec_b32 s1, s0
	s_wait_alu 0xfffe
	s_xor_b32 s0, exec_lo, s1
; %bb.406:
	v_mad_u32_u24 v0, 0xd0, v94, v85
	v_mov_b32_e32 v1, 0
                                        ; implicit-def: $vgpr94
	ds_store_b32 v0, v1
                                        ; implicit-def: $vgpr0
; %bb.407:
	s_wait_alu 0xfffe
	s_and_not1_saveexec_b32 s0, s0
	s_cbranch_execz .LBB14_409
; %bb.408:
	v_mul_lo_u32 v0, v0, s35
	v_mul_lo_u32 v1, v93, s67
	s_delay_alu instid0(VALU_DEP_1) | instskip(NEXT) | instid1(VALU_DEP_1)
	v_add3_u32 v0, v1, v52, v0
	v_ashrrev_i32_e32 v1, 31, v0
	s_delay_alu instid0(VALU_DEP_1) | instskip(NEXT) | instid1(VALU_DEP_1)
	v_lshlrev_b64_e32 v[0:1], 3, v[0:1]
	v_add_co_u32 v0, vcc_lo, s8, v0
	s_wait_alu 0xfffd
	s_delay_alu instid0(VALU_DEP_2) | instskip(SKIP_4) | instid1(VALU_DEP_1)
	v_add_co_ci_u32_e64 v1, null, s9, v1, vcc_lo
	global_load_b64 v[0:1], v[0:1], off
	s_wait_loadcnt 0x0
	v_cvt_f16_f32_e32 v0, v0
	v_cvt_f16_f32_e32 v1, v1
	v_pack_b32_f16 v0, v0, v1
	v_mad_u32_u24 v1, 0xd0, v94, v85
	s_delay_alu instid0(VALU_DEP_2)
	v_pk_mul_f16 v0, v0, s16
	ds_store_b32 v1, v0
.LBB14_409:
	s_wait_alu 0xfffe
	s_or_b32 exec_lo, exec_lo, s0
	v_lshrrev_b32_e32 v89, 4, v52
	v_and_b32_e32 v88, 15, v52
	s_delay_alu instid0(VALU_DEP_2) | instskip(SKIP_1) | instid1(VALU_DEP_3)
	v_lshl_add_u32 v24, v91, 1, v89
	v_and_b32_e32 v0, 1, v89
	v_lshlrev_b32_e32 v90, 2, v88
	s_delay_alu instid0(VALU_DEP_3) | instskip(NEXT) | instid1(VALU_DEP_1)
	v_lshrrev_b32_e32 v1, 1, v24
	v_add_nc_u32_e32 v2, s18, v1
	s_delay_alu instid0(VALU_DEP_4) | instskip(NEXT) | instid1(VALU_DEP_2)
	v_or_b32_e32 v1, s4, v0
	v_cmp_le_i32_e64 s0, s24, v2
	s_delay_alu instid0(VALU_DEP_2)
	v_cmp_le_i32_e64 s1, s33, v1
	v_cmp_gt_i32_e32 vcc_lo, s33, v1
	s_or_b32 s0, s0, s1
	s_wait_alu 0xfffe
	s_and_saveexec_b32 s1, s0
	s_wait_alu 0xfffe
	s_xor_b32 s0, exec_lo, s1
	s_cbranch_execz .LBB14_411
; %bb.410:
	v_mul_u32_u24_e32 v1, 0xd0, v24
	v_mov_b32_e32 v2, 0
	s_delay_alu instid0(VALU_DEP_2)
	v_add3_u32 v1, 0, v1, v90
	ds_store_b32 v1, v2 offset:128
                                        ; implicit-def: $vgpr2
.LBB14_411:
	s_wait_alu 0xfffe
	s_or_saveexec_b32 s4, s0
	v_or_b32_e32 v1, 32, v88
	v_lshl_add_u32 v87, v88, 2, 0
	s_mul_f32 s1, s3, 0x4f7ffffe
	s_wait_alu 0xfffe
	s_xor_b32 exec_lo, exec_lo, s4
	s_cbranch_execz .LBB14_413
; %bb.412:
	v_mul_lo_u32 v2, v2, s35
	v_mul_lo_u32 v3, v0, s67
	s_delay_alu instid0(VALU_DEP_1) | instskip(NEXT) | instid1(VALU_DEP_1)
	v_add3_u32 v2, v3, v1, v2
	v_ashrrev_i32_e32 v3, 31, v2
	s_delay_alu instid0(VALU_DEP_1) | instskip(NEXT) | instid1(VALU_DEP_1)
	v_lshlrev_b64_e32 v[2:3], 3, v[2:3]
	v_add_co_u32 v2, s0, s8, v2
	s_wait_alu 0xf1ff
	s_delay_alu instid0(VALU_DEP_2) | instskip(SKIP_4) | instid1(VALU_DEP_1)
	v_add_co_ci_u32_e64 v3, null, s9, v3, s0
	global_load_b64 v[2:3], v[2:3], off
	s_wait_loadcnt 0x0
	v_cvt_f16_f32_e32 v2, v2
	v_cvt_f16_f32_e32 v3, v3
	v_pack_b32_f16 v2, v2, v3
	v_mad_u32_u24 v3, 0xd0, v24, v87
	s_delay_alu instid0(VALU_DEP_2)
	v_pk_mul_f16 v2, v2, s16
	ds_store_b32 v3, v2 offset:128
.LBB14_413:
	s_or_b32 exec_lo, exec_lo, s4
	v_add_nc_u32_e32 v26, 4, v24
	s_cvt_u32_f32 s1, s1
	s_xor_b32 s3, vcc_lo, -1
	s_sub_co_i32 s17, 0, s21
	s_delay_alu instid0(VALU_DEP_1) | instskip(NEXT) | instid1(VALU_DEP_1)
	v_lshrrev_b32_e32 v2, 1, v26
	v_add_nc_u32_e32 v2, s18, v2
	s_delay_alu instid0(VALU_DEP_1)
	v_cmp_le_i32_e64 s0, s24, v2
	s_wait_alu 0xfffe
	s_or_b32 s0, s0, s3
	s_wait_alu 0xfffe
	s_and_saveexec_b32 s4, s0
	s_wait_alu 0xfffe
	s_xor_b32 s0, exec_lo, s4
	s_cbranch_execz .LBB14_415
; %bb.414:
	v_mul_u32_u24_e32 v2, 0xd0, v26
	v_mov_b32_e32 v3, 0
	s_delay_alu instid0(VALU_DEP_2)
	v_add3_u32 v2, 0, v2, v90
	ds_store_b32 v2, v3 offset:128
                                        ; implicit-def: $vgpr2
.LBB14_415:
	s_wait_alu 0xfffe
	s_or_saveexec_b32 s4, s0
	s_mul_i32 s0, s17, s1
	s_wait_alu 0xfffe
	s_xor_b32 exec_lo, exec_lo, s4
	s_cbranch_execz .LBB14_417
; %bb.416:
	v_mul_lo_u32 v2, v2, s35
	v_mul_lo_u32 v3, v0, s67
	s_delay_alu instid0(VALU_DEP_1) | instskip(NEXT) | instid1(VALU_DEP_1)
	v_add3_u32 v2, v3, v1, v2
	v_ashrrev_i32_e32 v3, 31, v2
	s_delay_alu instid0(VALU_DEP_1) | instskip(NEXT) | instid1(VALU_DEP_1)
	v_lshlrev_b64_e32 v[2:3], 3, v[2:3]
	v_add_co_u32 v2, vcc_lo, s8, v2
	s_wait_alu 0xfffd
	s_delay_alu instid0(VALU_DEP_2) | instskip(SKIP_4) | instid1(VALU_DEP_1)
	v_add_co_ci_u32_e64 v3, null, s9, v3, vcc_lo
	global_load_b64 v[2:3], v[2:3], off
	s_wait_loadcnt 0x0
	v_cvt_f16_f32_e32 v2, v2
	v_cvt_f16_f32_e32 v3, v3
	v_pack_b32_f16 v2, v2, v3
	v_mad_u32_u24 v3, 0xd0, v26, v87
	s_delay_alu instid0(VALU_DEP_2)
	v_pk_mul_f16 v2, v2, s16
	ds_store_b32 v3, v2 offset:128
.LBB14_417:
	s_or_b32 exec_lo, exec_lo, s4
	v_add_nc_u32_e32 v2, 8, v24
	s_mul_hi_u32 s0, s1, s0
	s_delay_alu instid0(VALU_DEP_1) | instskip(NEXT) | instid1(VALU_DEP_1)
	v_lshrrev_b32_e32 v3, 1, v2
	v_add_nc_u32_e32 v3, s18, v3
	s_delay_alu instid0(VALU_DEP_1)
	v_cmp_le_i32_e32 vcc_lo, s24, v3
	s_or_b32 s4, vcc_lo, s3
	s_wait_alu 0xfffe
	s_and_saveexec_b32 s17, s4
	s_wait_alu 0xfffe
	s_xor_b32 s4, exec_lo, s17
	s_cbranch_execz .LBB14_419
; %bb.418:
	v_mul_u32_u24_e32 v2, 0xd0, v2
	v_mov_b32_e32 v3, 0
	s_delay_alu instid0(VALU_DEP_2)
	v_add3_u32 v2, 0, v2, v90
	ds_store_b32 v2, v3 offset:128
                                        ; implicit-def: $vgpr3
                                        ; implicit-def: $vgpr2
.LBB14_419:
	s_wait_alu 0xfffe
	s_or_saveexec_b32 s17, s4
	s_abs_i32 s4, s2
	s_add_co_i32 s0, s1, s0
	s_wait_alu 0xfffe
	s_xor_b32 exec_lo, exec_lo, s17
	s_cbranch_execz .LBB14_421
; %bb.420:
	v_mul_lo_u32 v3, v3, s35
	v_mul_lo_u32 v4, v0, s67
	v_mad_u32_u24 v2, 0xd0, v2, v87
	s_delay_alu instid0(VALU_DEP_2) | instskip(NEXT) | instid1(VALU_DEP_1)
	v_add3_u32 v3, v4, v1, v3
	v_ashrrev_i32_e32 v4, 31, v3
	s_delay_alu instid0(VALU_DEP_1) | instskip(NEXT) | instid1(VALU_DEP_1)
	v_lshlrev_b64_e32 v[3:4], 3, v[3:4]
	v_add_co_u32 v3, vcc_lo, s8, v3
	s_wait_alu 0xfffd
	s_delay_alu instid0(VALU_DEP_2) | instskip(SKIP_4) | instid1(VALU_DEP_1)
	v_add_co_ci_u32_e64 v4, null, s9, v4, vcc_lo
	global_load_b64 v[3:4], v[3:4], off
	s_wait_loadcnt 0x0
	v_cvt_f16_f32_e32 v3, v3
	v_cvt_f16_f32_e32 v4, v4
	v_pack_b32_f16 v3, v3, v4
	s_delay_alu instid0(VALU_DEP_1)
	v_pk_mul_f16 v3, v3, s16
	ds_store_b32 v2, v3 offset:128
.LBB14_421:
	s_or_b32 exec_lo, exec_lo, s17
	v_add_nc_u32_e32 v2, 12, v24
	s_mov_b32 s1, s5
	s_delay_alu instid0(VALU_DEP_1) | instskip(NEXT) | instid1(VALU_DEP_1)
	v_lshrrev_b32_e32 v3, 1, v2
	v_add_nc_u32_e32 v3, s18, v3
	s_delay_alu instid0(VALU_DEP_1)
	v_cmp_le_i32_e32 vcc_lo, s24, v3
	s_or_b32 s3, vcc_lo, s3
	s_wait_alu 0xfffe
	s_and_saveexec_b32 s17, s3
	s_wait_alu 0xfffe
	s_xor_b32 s3, exec_lo, s17
	s_cbranch_execz .LBB14_423
; %bb.422:
	v_mul_u32_u24_e32 v0, 0xd0, v2
	v_mov_b32_e32 v1, 0
                                        ; implicit-def: $vgpr3
                                        ; implicit-def: $vgpr2
	s_delay_alu instid0(VALU_DEP_2)
	v_add3_u32 v0, 0, v0, v90
	ds_store_b32 v0, v1 offset:128
                                        ; implicit-def: $vgpr0
                                        ; implicit-def: $vgpr1
.LBB14_423:
	s_wait_alu 0xfffe
	s_or_saveexec_b32 s17, s3
	s_mul_u64 s[0:1], s[4:5], s[0:1]
	s_ashr_i32 s3, s2, 31
	s_wait_alu 0xfffe
	s_xor_b32 exec_lo, exec_lo, s17
	s_cbranch_execz .LBB14_425
; %bb.424:
	v_mul_lo_u32 v3, v3, s35
	v_mul_lo_u32 v0, v0, s67
	s_delay_alu instid0(VALU_DEP_1) | instskip(NEXT) | instid1(VALU_DEP_1)
	v_add3_u32 v0, v0, v1, v3
	v_ashrrev_i32_e32 v1, 31, v0
	s_delay_alu instid0(VALU_DEP_1) | instskip(NEXT) | instid1(VALU_DEP_1)
	v_lshlrev_b64_e32 v[0:1], 3, v[0:1]
	v_add_co_u32 v0, vcc_lo, s8, v0
	s_wait_alu 0xfffd
	s_delay_alu instid0(VALU_DEP_2) | instskip(SKIP_4) | instid1(VALU_DEP_1)
	v_add_co_ci_u32_e64 v1, null, s9, v1, vcc_lo
	global_load_b64 v[0:1], v[0:1], off
	s_wait_loadcnt 0x0
	v_cvt_f16_f32_e32 v0, v0
	v_cvt_f16_f32_e32 v1, v1
	v_pack_b32_f16 v0, v0, v1
	v_mad_u32_u24 v1, 0xd0, v2, v87
	s_delay_alu instid0(VALU_DEP_2)
	v_pk_mul_f16 v0, v0, s16
	ds_store_b32 v1, v0 offset:128
.LBB14_425:
	s_or_b32 exec_lo, exec_lo, s17
	v_lshrrev_b32_e32 v27, 2, v52
	v_dual_mov_b32 v115, 0 :: v_dual_and_b32 v28, 0x1ff0, v92
	v_mul_u32_u24_e32 v96, 0xd0, v88
	s_mul_i32 s5, s1, s21
	s_delay_alu instid0(VALU_DEP_3) | instskip(NEXT) | instid1(VALU_DEP_3)
	v_and_b32_e32 v0, 0xfc, v27
	v_mad_u32_u24 v1, 0xd0, v28, 0
	s_wait_loadcnt_dscnt 0x0
	s_barrier_signal -1
	s_barrier_wait -1
	v_lshlrev_b32_e32 v97, 2, v0
	global_inv scope:SCOPE_SE
	s_mul_i32 s0, s20, s45
	s_wait_alu 0xfffe
	s_sub_co_i32 s4, s4, s5
	s_ashr_i32 s1, s0, 31
	v_add3_u32 v0, v1, v96, v97
	s_wait_alu 0xfffe
	s_sub_co_i32 s5, s4, s21
	s_cmp_ge_u32 s4, s21
	v_add_nc_u32_e32 v117, -1, v25
	s_wait_alu 0xfffe
	s_cselect_b32 s4, s5, s4
	ds_load_b128 v[20:23], v0
	ds_load_b128 v[8:11], v0 offset:32
	ds_load_b128 v[12:15], v0 offset:64
	;; [unrolled: 1-line block ×5, first 2 shown]
	s_wait_alu 0xfffe
	s_sub_co_i32 s5, s4, s21
	s_cmp_ge_u32 s4, s21
	v_lshlrev_b32_e32 v25, 1, v52
	s_wait_alu 0xfffe
	s_cselect_b32 s8, s5, s4
	s_mul_u64 s[4:5], s[28:29], s[2:3]
	s_wait_alu 0xfffe
	s_xor_b32 s8, s8, s3
	s_add_nc_u64 s[4:5], s[10:11], s[4:5]
	v_readlane_b32 s10, v255, 1
	v_readlane_b32 s11, v255, 2
	v_cmp_lt_i32_e32 vcc_lo, s96, v117
	s_wait_alu 0xfffe
	s_sub_co_i32 s8, s8, s3
	v_and_b32_e32 v25, 30, v25
	s_wait_alu 0xfffe
	s_ashr_i32 s9, s8, 31
	s_mul_u64 s[2:3], s[10:11], s[2:3]
	s_mul_i32 s10, s20, s31
	s_wait_alu 0xfffe
	s_mul_u64 s[8:9], s[42:43], s[8:9]
	s_add_nc_u64 s[2:3], s[12:13], s[2:3]
	s_ashr_i32 s11, s10, 31
	s_and_b32 vcc_lo, exec_lo, vcc_lo
	s_mov_b32 s16, -1
	s_wait_loadcnt_dscnt 0x0
	s_barrier_signal -1
	s_barrier_wait -1
	global_inv scope:SCOPE_SE
	s_wait_alu 0xfffe
	s_cbranch_vccnz .LBB14_429
; %bb.426:
	v_dual_mov_b32 v98, 32 :: v_dual_add_nc_u32 v29, s18, v24
	v_dual_mov_b32 v49, 0 :: v_dual_add_nc_u32 v30, s18, v26
	s_ashr_i32 s27, s26, 31
	s_delay_alu instid0(VALU_DEP_2) | instskip(SKIP_1) | instid1(VALU_DEP_3)
	v_mul_hi_u32 v31, s6, v29
	v_lshrrev_b32_e32 v35, 3, v52
	v_mul_hi_u32 v32, s6, v30
	s_ashr_i32 s37, s36, 31
	s_wait_alu 0xfffe
	v_dual_mov_b32 v82, s37 :: v_dual_add_nc_u32 v33, v27, v92
	v_lshl_add_u32 v35, v91, 2, v35
	s_movk_i32 s12, 0x140
	v_dual_mov_b32 v84, s27 :: v_dual_add_nc_u32 v31, v29, v31
	s_delay_alu instid0(VALU_DEP_4) | instskip(NEXT) | instid1(VALU_DEP_3)
	v_dual_mov_b32 v81, s36 :: v_dual_add_nc_u32 v32, v30, v32
	v_mul_lo_u32 v69, s26, v35
	s_delay_alu instid0(VALU_DEP_3)
	v_lshrrev_b32_e32 v31, s7, v31
	s_wait_alu 0xfffe
	v_mad_u32_u24 v100, 0x50, v24, s12
	v_lshrrev_b32_e32 v32, s7, v32
	s_lshl_b32 s12, s26, 3
	v_lshlrev_b32_e32 v94, 4, v91
	v_mul_lo_u32 v31, v31, s24
	v_mul_lo_u32 v53, s36, v35
	;; [unrolled: 1-line block ×3, first 2 shown]
	s_wait_alu 0xfffe
	v_add_nc_u32_e32 v71, s12, v69
	v_mul_lo_u32 v65, s26, v33
	v_mul_lo_u32 v55, s36, v33
	v_dual_mov_b32 v51, v49 :: v_dual_lshlrev_b32 v34, 2, v52
	v_sub_nc_u32_e32 v29, v29, v31
	v_add_nc_u32_e32 v77, s12, v71
	v_sub_nc_u32_e32 v30, v30, v32
	v_mbcnt_lo_u32_b32 v105, -1, 0
	v_lshl_add_u32 v67, s26, 4, v65
	v_mad_co_i64_i32 v[73:74], null, v29, s38, 0
	v_lshrrev_b32_e32 v29, 1, v52
	v_mad_co_i64_i32 v[75:76], null, v30, s38, 0
	v_and_b32_e32 v30, 16, v94
	v_add_nc_u32_e32 v79, s12, v77
	s_delay_alu instid0(VALU_DEP_4)
	v_and_b32_e32 v95, 0x1f8, v29
	v_and_or_b32 v29, v52, 14, v28
	s_movk_i32 s12, 0x1380
	v_mul_u32_u24_e32 v114, 0xd0, v30
	s_wait_alu 0xfffe
	v_mad_u32_u24 v110, 0xd0, v35, s12
	s_lshl_b32 s12, s36, 3
	v_add_nc_u16 v31, v30, v95
	v_lshrrev_b32_e32 v29, 1, v29
	s_wait_alu 0xfffe
	v_add_nc_u32_e32 v57, s12, v53
	v_lshl_add_u32 v59, s36, 4, v55
	s_movk_i32 s13, 0xd00
	v_lshrrev_b16 v31, 1, v31
	v_mul_u32_u24_e32 v109, 0x50, v29
	v_add_nc_u32_e32 v61, s12, v57
	v_lshlrev_b32_e32 v29, 1, v27
	s_movk_i32 s16, 0x680
	v_and_b32_e32 v108, 0xffff, v31
	v_mul_u32_u24_e32 v99, 0x50, v24
	v_add_nc_u32_e32 v63, s12, v61
	v_and_b32_e32 v30, 0x1f8, v29
	v_or_b32_e32 v31, 6, v29
	v_or_b32_e32 v29, 7, v29
	v_mul_u32_u24_e32 v101, 0xd0, v33
	v_and_or_b32 v48, v34, 12, 32
	s_wait_alu 0xfffe
	v_mad_u32_u24 v102, 0xd0, v33, s13
	v_dual_mov_b32 v83, s26 :: v_dual_and_b32 v50, 28, v34
	v_mul_u32_u24_e32 v103, 0xd0, v35
	v_ashrrev_i32_e32 v66, 31, v65
	v_ashrrev_i32_e32 v68, 31, v67
	;; [unrolled: 1-line block ×3, first 2 shown]
	v_mad_u32_u24 v104, 0xd0, v35, s16
	v_ashrrev_i32_e32 v72, 31, v71
	v_mad_u32_u24 v107, 0xd0, v35, s13
	v_ashrrev_i32_e32 v78, 31, v77
	v_ashrrev_i32_e32 v80, 31, v79
	v_xor_b32_e32 v106, 16, v105
	v_ashrrev_i32_e32 v56, 31, v55
	v_ashrrev_i32_e32 v60, 31, v59
	v_ashrrev_i32_e32 v54, 31, v53
	v_ashrrev_i32_e32 v58, 31, v57
	v_ashrrev_i32_e32 v62, 31, v61
	v_ashrrev_i32_e32 v64, 31, v63
	v_mul_u32_u24_e32 v113, 0xd0, v30
	v_mul_u32_u24_e32 v111, 0xd0, v31
	;; [unrolled: 1-line block ×3, first 2 shown]
	s_mov_b32 s16, 0
	s_branch .LBB14_430
.LBB14_427:
                                        ; implicit-def: $sgpr48_sgpr49
	s_load_b64 s[46:47], s[0:1], 0x74
	v_cvt_f32_u32_e32 v1, s34
	s_branch .LBB14_2
.LBB14_428:
                                        ; implicit-def: $sgpr54_sgpr55
	s_load_b64 s[6:7], s[0:1], 0x5c
	s_branch .LBB14_5
.LBB14_429:
                                        ; implicit-def: $vgpr99
                                        ; implicit-def: $vgpr73_vgpr74
                                        ; implicit-def: $vgpr100
                                        ; implicit-def: $vgpr75_vgpr76
                                        ; implicit-def: $vgpr83_vgpr84
                                        ; implicit-def: $vgpr101
                                        ; implicit-def: $vgpr65_vgpr66
                                        ; implicit-def: $vgpr48
                                        ; implicit-def: $vgpr102
                                        ; implicit-def: $vgpr67_vgpr68
                                        ; implicit-def: $vgpr103
                                        ; implicit-def: $vgpr50
                                        ; implicit-def: $vgpr69_vgpr70
                                        ; implicit-def: $vgpr104
                                        ; implicit-def: $vgpr71_vgpr72
                                        ; implicit-def: $vgpr107
                                        ; implicit-def: $vgpr77_vgpr78
                                        ; implicit-def: $vgpr110
                                        ; implicit-def: $vgpr79_vgpr80
                                        ; implicit-def: $vgpr94
                                        ; implicit-def: $vgpr114
                                        ; implicit-def: $vgpr95
                                        ; implicit-def: $vgpr109
                                        ; implicit-def: $vgpr108
                                        ; implicit-def: $vgpr105
                                        ; implicit-def: $vgpr106
                                        ; implicit-def: $vgpr98
                                        ; implicit-def: $vgpr81_vgpr82
                                        ; implicit-def: $vgpr55_vgpr56
                                        ; implicit-def: $vgpr59_vgpr60
                                        ; implicit-def: $vgpr53_vgpr54
                                        ; implicit-def: $vgpr57_vgpr58
                                        ; implicit-def: $vgpr61_vgpr62
                                        ; implicit-def: $vgpr63_vgpr64
                                        ; implicit-def: $vgpr113
                                        ; implicit-def: $vgpr111
                                        ; implicit-def: $vgpr112
.LBB14_430:
	v_lshlrev_b32_e32 v116, 1, v25
	s_add_nc_u64 s[12:13], s[4:5], s[0:1]
	s_add_nc_u64 s[14:15], s[14:15], s[8:9]
	s_wait_alu 0xfffe
	s_and_not1_b32 vcc_lo, exec_lo, s16
	s_add_nc_u64 s[10:11], s[2:3], s[10:11]
	s_wait_alu 0xfffe
	s_cbranch_vccnz .LBB14_434
; %bb.431:
	v_dual_mov_b32 v98, 32 :: v_dual_add_nc_u32 v25, s18, v24
	v_dual_mov_b32 v49, 0 :: v_dual_add_nc_u32 v26, s18, v26
	v_add_co_u32 v81, s0, s14, v116
	s_delay_alu instid0(VALU_DEP_3) | instskip(NEXT) | instid1(VALU_DEP_3)
	v_mul_hi_u32 v30, s6, v25
	v_mul_hi_u32 v31, s6, v26
	s_delay_alu instid0(VALU_DEP_4)
	v_dual_mov_b32 v51, v49 :: v_dual_add_nc_u32 v32, v27, v92
	v_lshlrev_b32_e32 v33, 2, v52
	v_lshrrev_b32_e32 v34, 3, v52
	s_wait_alu 0xf1ff
	v_add_co_ci_u32_e64 v82, null, s15, 0, s0
	v_add_nc_u32_e32 v30, v25, v30
	v_dual_mov_b32 v118, 0xfeffffff :: v_dual_add_nc_u32 v31, v26, v31
	s_movk_i32 s0, 0x140
	v_mul_u32_u24_e32 v99, 0x50, v24
	s_delay_alu instid0(VALU_DEP_3) | instskip(NEXT) | instid1(VALU_DEP_3)
	v_lshrrev_b32_e32 v30, s7, v30
	v_lshrrev_b32_e32 v31, s7, v31
	s_wait_alu 0xfffe
	v_mad_u32_u24 v100, 0x50, v24, s0
	s_movk_i32 s0, 0xd00
	v_mul_lo_u32 v65, s26, v32
	v_mul_lo_u32 v30, v30, s24
	v_mul_u32_u24_e32 v101, 0xd0, v32
	v_lshl_add_u32 v24, v91, 2, v34
	s_wait_alu 0xfffe
	v_mad_u32_u24 v102, 0xd0, v32, s0
	v_mul_lo_u32 v55, s36, v32
	v_mov_b32_e32 v32, v49
	v_and_b32_e32 v50, 28, v33
	v_mul_lo_u32 v31, v31, s24
	v_sub_nc_u32_e32 v25, v25, v30
	v_and_b32_e32 v35, 12, v33
	v_mul_u32_u24_e32 v103, 0xd0, v24
	v_dual_mov_b32 v33, v49 :: v_dual_lshlrev_b32 v94, 4, v91
	v_mov_b32_e32 v37, v49
	v_mad_co_i64_i32 v[73:74], null, v25, s38, 0
	v_dual_mov_b32 v38, v49 :: v_dual_lshlrev_b32 v25, 2, v50
	v_sub_nc_u32_e32 v26, v26, v31
	v_mbcnt_lo_u32_b32 v105, -1, 0
	v_mov_b32_e32 v41, v49
	s_delay_alu instid0(VALU_DEP_4) | instskip(SKIP_4) | instid1(VALU_DEP_4)
	v_add3_u32 v119, 0, v103, v25
	v_lshrrev_b32_e32 v25, 1, v52
	v_mad_co_i64_i32 v[75:76], null, v26, s38, 0
	v_and_b32_e32 v26, 16, v94
	v_xor_b32_e32 v106, 16, v105
	v_dual_mov_b32 v44, v49 :: v_dual_and_b32 v95, 0x1f8, v25
	v_and_or_b32 v28, v52, 14, v28
	s_movk_i32 s2, 0x680
	s_delay_alu instid0(VALU_DEP_3) | instskip(NEXT) | instid1(VALU_DEP_3)
	v_cmp_gt_i32_e32 vcc_lo, 32, v106
	v_add_nc_u16 v25, v26, v95
	v_mad_u32_u24 v107, 0xd0, v24, s0
	s_movk_i32 s0, 0x1380
	v_add_nc_u32_e32 v29, 0, v116
	v_mul_lo_u32 v69, s26, v24
	v_lshrrev_b16 v25, 1, v25
	s_wait_alu 0xfffe
	v_mad_u32_u24 v104, 0xd0, v24, s2
	v_mad_u32_u24 v110, 0xd0, v24, s0
	v_lshrrev_b32_e32 v28, 1, v28
	v_mul_lo_u32 v53, s36, v24
	v_dual_mov_b32 v45, v49 :: v_dual_and_b32 v108, 0xffff, v25
	s_wait_alu 0xfffd
	v_cndmask_b32_e32 v24, v105, v106, vcc_lo
	v_mul_u32_u24_e32 v114, 0xd0, v26
	v_mad_u32_u24 v25, 0xd0, v26, 0
	v_mul_u32_u24_e32 v109, 0x50, v28
	v_dual_mov_b32 v47, v49 :: v_dual_lshlrev_b32 v26, 2, v108
	v_lshlrev_b32_e32 v125, 2, v24
	v_lshlrev_b32_e32 v24, 1, v27
	s_lshl_b32 s1, s26, 3
	s_delay_alu instid0(VALU_DEP_3)
	v_add3_u32 v124, 0, v109, v26
	s_lshl_b32 s0, s36, 3
	s_wait_alu 0xfffe
	v_dual_mov_b32 v40, v49 :: v_dual_add_nc_u32 v71, s1, v69
	v_dual_mov_b32 v31, v49 :: v_dual_and_b32 v26, 0x1f8, v24
	v_or_b32_e32 v27, 6, v24
	v_or_b32_e32 v24, 7, v24
	v_add_nc_u32_e32 v57, s0, v53
	v_dual_mov_b32 v115, v49 :: v_dual_lshlrev_b32 v34, 2, v35
	v_dual_mov_b32 v42, v49 :: v_dual_add_nc_u32 v77, s1, v71
	s_delay_alu instid0(VALU_DEP_4) | instskip(SKIP_1) | instid1(VALU_DEP_4)
	v_mul_u32_u24_e32 v112, 0xd0, v24
	v_add_nc_u32_e32 v24, v29, v99
	v_add3_u32 v30, 0, v101, v34
	v_lshl_add_u32 v67, s26, 4, v65
	v_dual_mov_b32 v28, v49 :: v_dual_add_nc_u32 v79, s1, v77
	s_delay_alu instid0(VALU_DEP_4) | instskip(SKIP_4) | instid1(VALU_DEP_4)
	v_dual_mov_b32 v24, v49 :: v_dual_add_nc_u32 v131, 0x1800, v24
	v_add_nc_u32_e32 v61, s0, v57
	v_lshl_add_u32 v59, s36, 4, v55
	v_mul_u32_u24_e32 v113, 0xd0, v26
	v_mul_u32_u24_e32 v111, 0xd0, v27
	v_dual_mov_b32 v26, v49 :: v_dual_add_nc_u32 v63, s0, v61
	v_ashrrev_i32_e32 v66, 31, v65
	v_dual_mov_b32 v36, v49 :: v_dual_add_nc_u32 v83, 0x80, v30
	v_ashrrev_i32_e32 v68, 31, v67
	v_add_nc_u32_e32 v84, 0xd80, v30
	v_ashrrev_i32_e32 v70, 31, v69
	v_dual_mov_b32 v39, v49 :: v_dual_add_nc_u32 v120, 0x680, v119
	v_ashrrev_i32_e32 v72, 31, v71
	v_dual_mov_b32 v46, v49 :: v_dual_add_nc_u32 v121, 0xd00, v119
	;; [unrolled: 2-line block ×3, first 2 shown]
	v_ashrrev_i32_e32 v80, 31, v79
	v_add3_u32 v123, v25, v96, v97
	v_ashrrev_i32_e32 v56, 31, v55
	v_ashrrev_i32_e32 v60, 31, v59
	;; [unrolled: 1-line block ×6, first 2 shown]
	v_add3_u32 v126, v25, v113, v90
	v_add3_u32 v127, v25, v111, v90
	v_add3_u32 v128, v25, v112, v90
	v_dual_mov_b32 v25, v49 :: v_dual_lshlrev_b32 v130, 2, v50
	v_mov_b32_e32 v34, v49
	v_or_b32_e32 v48, 32, v35
	v_lshlrev_b32_e32 v129, 2, v35
	v_mov_b32_e32 v35, v49
	v_dual_mov_b32 v29, v49 :: v_dual_mov_b32 v30, v49
	v_mov_b32_e32 v27, v49
	s_ashr_i32 s27, s26, 31
	s_ashr_i32 s37, s36, 31
	s_lshl_b32 s16, s96, 5
.LBB14_432:                             ; =>This Inner Loop Header: Depth=1
	s_wait_alu 0xfffe
	s_ashr_i32 s17, s16, 31
	v_lshlrev_b64_e32 v[132:133], 1, v[73:74]
	s_wait_alu 0xfffe
	s_lshl_b64 s[0:1], s[16:17], 1
	v_lshlrev_b64_e32 v[134:135], 1, v[75:76]
	s_wait_alu 0xfffe
	v_add_co_u32 v148, vcc_lo, v81, s0
	s_wait_alu 0xfffd
	v_add_co_ci_u32_e64 v149, null, s1, v82, vcc_lo
	v_lshlrev_b64_e32 v[136:137], 2, v[65:66]
	s_mul_u64 s[2:3], s[16:17], s[26:27]
	v_lshlrev_b64_e32 v[138:139], 2, v[67:68]
	s_wait_alu 0xfffe
	s_lshl_b64 s[0:1], s[2:3], 2
	v_add_co_u32 v132, vcc_lo, v148, v132
	v_lshlrev_b64_e32 v[140:141], 2, v[69:70]
	s_wait_alu 0xfffd
	v_add_co_ci_u32_e64 v133, null, v149, v133, vcc_lo
	v_add_co_u32 v134, vcc_lo, v148, v134
	s_wait_alu 0xfffe
	s_add_nc_u64 s[0:1], s[12:13], s[0:1]
	v_lshlrev_b64_e32 v[142:143], 2, v[71:72]
	s_wait_alu 0xfffd
	v_add_co_ci_u32_e64 v135, null, v149, v135, vcc_lo
	s_wait_alu 0xfffe
	v_add_co_u32 v136, vcc_lo, s0, v136
	v_lshlrev_b64_e32 v[144:145], 2, v[77:78]
	s_wait_alu 0xfffd
	v_add_co_ci_u32_e64 v137, null, s1, v137, vcc_lo
	v_add_co_u32 v138, vcc_lo, s0, v138
	v_lshlrev_b64_e32 v[146:147], 2, v[79:80]
	s_wait_alu 0xfffd
	v_add_co_ci_u32_e64 v139, null, s1, v139, vcc_lo
	v_add_co_u32 v140, vcc_lo, s0, v140
	s_wait_alu 0xfffd
	v_add_co_ci_u32_e64 v141, null, s1, v141, vcc_lo
	v_add_co_u32 v148, vcc_lo, s0, v142
	;; [unrolled: 3-line block ×4, first 2 shown]
	s_wait_alu 0xfffd
	v_add_co_ci_u32_e64 v153, null, s1, v147, vcc_lo
	s_clause 0x1
	global_load_b32 v172, v[132:133], off
	global_load_b32 v173, v[134:135], off
	v_add_co_u32 v132, vcc_lo, v136, v129
	s_wait_alu 0xfffd
	v_add_co_ci_u32_e64 v133, null, 0, v137, vcc_lo
	v_add_co_u32 v138, vcc_lo, v138, v129
	s_wait_alu 0xfffd
	v_add_co_ci_u32_e64 v139, null, 0, v139, vcc_lo
	;; [unrolled: 3-line block ×6, first 2 shown]
	s_clause 0x5
	global_load_b128 v[134:137], v[132:133], off offset:128
	global_load_b128 v[138:141], v[138:139], off offset:128
	global_load_b128 v[142:145], v[142:143], off
	global_load_b128 v[146:149], v[146:147], off
	;; [unrolled: 1-line block ×4, first 2 shown]
	v_lshlrev_b64_e32 v[158:159], 2, v[55:56]
	s_mul_u64 s[0:1], s[16:17], s[36:37]
	v_lshlrev_b64_e32 v[160:161], 2, v[59:60]
	s_wait_alu 0xfffe
	s_lshl_b64 s[0:1], s[0:1], 2
	v_lshlrev_b64_e32 v[162:163], 2, v[53:54]
	s_wait_alu 0xfffe
	s_add_nc_u64 s[2:3], s[10:11], s[0:1]
	v_lshlrev_b64_e32 v[164:165], 2, v[57:58]
	s_wait_alu 0xfffe
	v_add_co_u32 v158, s0, s2, v158
	v_lshlrev_b64_e32 v[166:167], 2, v[61:62]
	s_wait_alu 0xf1ff
	v_add_co_ci_u32_e64 v159, null, s3, v159, s0
	v_add_co_u32 v160, s0, s2, v160
	v_lshlrev_b64_e32 v[168:169], 2, v[63:64]
	s_wait_alu 0xf1ff
	v_add_co_ci_u32_e64 v161, null, s3, v161, s0
	v_add_co_u32 v162, s0, s2, v162
	s_wait_alu 0xf1ff
	v_add_co_ci_u32_e64 v163, null, s3, v163, s0
	v_add_co_u32 v164, s0, s2, v164
	;; [unrolled: 3-line block ×10, first 2 shown]
	s_wait_alu 0xf1ff
	v_add_co_ci_u32_e64 v187, null, 0, v169, s0
	v_dual_mov_b32 v133, v118 :: v_dual_mov_b32 v132, v115
	s_add_co_i32 s96, s96, 1
	s_add_co_i32 s16, s16, 32
	s_wait_alu 0xfffe
	v_cmp_lt_i32_e32 vcc_lo, s96, v117
	s_wait_loadcnt 0x6
	ds_store_2addr_b32 v131, v172, v173 offset0:128 offset1:208
	s_wait_loadcnt 0x5
	ds_store_b128 v83, v[134:137]
	s_wait_loadcnt 0x4
	ds_store_b128 v84, v[138:141]
	;; [unrolled: 2-line block ×6, first 2 shown]
	s_wait_dscnt 0x0
	s_barrier_signal -1
	s_barrier_wait -1
	global_inv scope:SCOPE_SE
	ds_load_b128 v[142:145], v123
	ds_load_b128 v[146:149], v123 offset:32
	ds_load_b128 v[150:153], v123 offset:64
	;; [unrolled: 1-line block ×5, first 2 shown]
	s_wait_loadcnt_dscnt 0x0
	s_barrier_signal -1
	s_barrier_wait -1
	global_inv scope:SCOPE_SE
	s_clause 0x5
	global_load_b128 v[166:169], v[166:167], off offset:128
	global_load_b128 v[170:173], v[170:171], off offset:128
	global_load_b128 v[174:177], v[174:175], off
	global_load_b128 v[178:181], v[178:179], off
	;; [unrolled: 1-line block ×4, first 2 shown]
	s_and_b32 vcc_lo, exec_lo, vcc_lo
	v_wmma_f32_16x16x16_f16 v[134:141], v[142:145], v[20:23], 0
	s_delay_alu instid0(VALU_DEP_1) | instskip(NEXT) | instid1(VALU_DEP_1)
	v_wmma_f32_16x16x16_f16 v[134:141], v[146:149], v[8:11], v[134:141]
	v_wmma_f32_16x16x16_f16 v[134:141], v[150:153], v[12:15], v[134:141]
	s_delay_alu instid0(VALU_DEP_1) | instskip(NEXT) | instid1(VALU_DEP_1)
	v_wmma_f32_16x16x16_f16 v[134:141], v[154:157], v[16:19], v[134:141]
	v_wmma_f32_16x16x16_f16 v[134:141], v[158:161], v[4:7], v[134:141]
	s_delay_alu instid0(VALU_DEP_1)
	v_wmma_f32_16x16x16_f16 v[134:141], v[162:165], v[0:3], v[134:141]
	v_add_nc_u32_e32 v115, 0x1a00, v124
	v_add_nc_u32_e32 v118, 0x1a08, v124
	ds_load_2addr_b32 v[190:191], v115 offset1:1
	ds_load_2addr_b32 v[192:193], v118 offset1:1
	s_wait_loadcnt 0x5
	ds_store_b128 v83, v[166:169]
	s_wait_loadcnt 0x4
	ds_store_b128 v84, v[170:173]
	;; [unrolled: 2-line block ×6, first 2 shown]
	s_wait_dscnt 0x7
	v_lshrrev_b32_e32 v118, 16, v190
	v_cvt_f32_f16_e64 v115, v190
	v_cvt_f32_f16_e64 v142, v191
	v_lshrrev_b32_e32 v143, 16, v191
	s_wait_dscnt 0x6
	v_lshrrev_b32_e32 v145, 16, v192
	v_lshrrev_b32_e32 v191, 16, v193
	v_cvt_f32_f16_e32 v118, v118
	v_cvt_f32_f16_e64 v144, v192
	v_cvt_f32_f16_e64 v190, v193
	;; [unrolled: 1-line block ×5, first 2 shown]
	v_dual_add_f32 v115, v134, v115 :: v_dual_add_f32 v134, v135, v118
	v_add_nc_u32_e32 v194, 0x200, v126
	v_add_nc_u32_e32 v195, 0x400, v126
	v_dual_add_f32 v135, v136, v142 :: v_dual_add_f32 v136, v137, v143
	v_dual_add_f32 v137, v138, v144 :: v_dual_add_f32 v138, v139, v145
	;; [unrolled: 1-line block ×3, first 2 shown]
	s_delay_alu instid0(VALU_DEP_3) | instskip(NEXT) | instid1(VALU_DEP_4)
	v_dual_add_f32 v140, v141, v146 :: v_dual_add_f32 v143, 0x40051340, v136
	v_dual_add_f32 v141, 0x40051340, v134 :: v_dual_add_f32 v142, 0x40051340, v135
	s_delay_alu instid0(VALU_DEP_4) | instskip(NEXT) | instid1(VALU_DEP_3)
	v_dual_add_f32 v144, 0x40051340, v137 :: v_dual_add_f32 v145, 0x40051340, v138
	v_dual_add_f32 v146, 0x40051340, v139 :: v_dual_add_f32 v147, 0x40051340, v140
	s_delay_alu instid0(VALU_DEP_3)
	v_max3_num_f32 v118, v133, v118, v141
	s_wait_dscnt 0x0
	s_barrier_signal -1
	s_barrier_wait -1
	global_inv scope:SCOPE_SE
	v_max3_num_f32 v118, v118, v142, v143
	s_delay_alu instid0(VALU_DEP_1) | instskip(NEXT) | instid1(VALU_DEP_1)
	v_max3_num_f32 v118, v118, v144, v145
	v_max3_num_f32 v118, v118, v146, v147
	ds_bpermute_b32 v141, v125, v118
	s_wait_dscnt 0x0
	v_max_num_f32_e32 v141, v141, v141
	s_delay_alu instid0(VALU_DEP_1) | instskip(NEXT) | instid1(VALU_DEP_1)
	v_max_num_f32_e32 v118, v118, v141
	v_sub_f32_e32 v115, v115, v118
	s_delay_alu instid0(VALU_DEP_1) | instskip(NEXT) | instid1(VALU_DEP_1)
	v_dual_mul_f32 v141, 0x3fb8aa3b, v115 :: v_dual_sub_f32 v134, v134, v118
	v_rndne_f32_e32 v151, v141
	s_delay_alu instid0(VALU_DEP_2) | instskip(SKIP_1) | instid1(VALU_DEP_2)
	v_mul_f32_e32 v142, 0x3fb8aa3b, v134
	v_cmp_ngt_f32_e64 s0, 0xc2ce8ed0, v134
	v_rndne_f32_e32 v153, v142
	v_sub_f32_e32 v139, v139, v118
	v_fma_f32 v152, 0x3fb8aa3b, v134, -v142
	s_delay_alu instid0(VALU_DEP_3) | instskip(NEXT) | instid1(VALU_DEP_3)
	v_sub_f32_e32 v142, v142, v153
	v_dual_sub_f32 v140, v140, v118 :: v_dual_mul_f32 v147, 0x3fb8aa3b, v139
	v_sub_f32_e32 v135, v135, v118
	v_cvt_i32_f32_e32 v153, v153
	v_cmp_ngt_f32_e64 s5, 0xc2ce8ed0, v139
	s_delay_alu instid0(VALU_DEP_4) | instskip(NEXT) | instid1(VALU_DEP_4)
	v_mul_f32_e32 v148, 0x3fb8aa3b, v140
	v_dual_sub_f32 v136, v136, v118 :: v_dual_mul_f32 v143, 0x3fb8aa3b, v135
	v_fma_f32 v162, 0x3fb8aa3b, v139, -v147
	v_rndne_f32_e32 v163, v147
	s_delay_alu instid0(VALU_DEP_4) | instskip(NEXT) | instid1(VALU_DEP_4)
	v_fma_f32 v164, 0x3fb8aa3b, v140, -v148
	v_mul_f32_e32 v144, 0x3fb8aa3b, v136
	v_fma_f32 v150, 0x3fb8aa3b, v115, -v141
	v_sub_f32_e32 v137, v137, v118
	v_fma_f32 v154, 0x3fb8aa3b, v135, -v143
	v_sub_f32_e32 v133, v133, v118
	v_rndne_f32_e32 v155, v143
	v_fmac_f32_e32 v150, 0x32a5705f, v115
	v_dual_sub_f32 v138, v138, v118 :: v_dual_mul_f32 v145, 0x3fb8aa3b, v137
	v_fmac_f32_e32 v154, 0x32a5705f, v135
	v_mul_f32_e32 v149, 0x3fb8aa3b, v133
	v_fma_f32 v156, 0x3fb8aa3b, v136, -v144
	s_delay_alu instid0(VALU_DEP_4) | instskip(SKIP_3) | instid1(VALU_DEP_4)
	v_dual_mul_f32 v146, 0x3fb8aa3b, v138 :: v_dual_sub_f32 v141, v141, v151
	v_rndne_f32_e32 v157, v144
	v_fma_f32 v158, 0x3fb8aa3b, v137, -v145
	v_rndne_f32_e32 v159, v145
	v_rndne_f32_e32 v161, v146
	v_rndne_f32_e32 v191, v149
	v_dual_fmac_f32 v152, 0x32a5705f, v134 :: v_dual_sub_f32 v143, v143, v155
	v_fma_f32 v160, 0x3fb8aa3b, v138, -v146
	v_fma_f32 v190, 0x3fb8aa3b, v133, -v149
	v_dual_fmac_f32 v156, 0x32a5705f, v136 :: v_dual_sub_f32 v145, v145, v159
	v_dual_sub_f32 v144, v144, v157 :: v_dual_sub_f32 v147, v147, v163
	v_dual_fmac_f32 v158, 0x32a5705f, v137 :: v_dual_sub_f32 v149, v149, v191
	v_dual_sub_f32 v146, v146, v161 :: v_dual_add_f32 v141, v141, v150
	v_add_f32_e32 v142, v142, v152
	v_dual_fmac_f32 v162, 0x32a5705f, v139 :: v_dual_add_f32 v143, v143, v154
	s_delay_alu instid0(VALU_DEP_4)
	v_dual_fmac_f32 v164, 0x32a5705f, v140 :: v_dual_add_f32 v145, v145, v158
	v_add_f32_e32 v144, v144, v156
	v_exp_f32_e32 v141, v141
	v_exp_f32_e32 v142, v142
	v_cvt_i32_f32_e32 v151, v151
	v_exp_f32_e32 v143, v143
	v_exp_f32_e32 v144, v144
	;; [unrolled: 1-line block ×3, first 2 shown]
	v_cvt_i32_f32_e32 v155, v155
	v_cvt_i32_f32_e32 v157, v157
	;; [unrolled: 1-line block ×3, first 2 shown]
	v_cmp_ngt_f32_e64 s8, 0xc2ce8ed0, v115
	v_ldexp_f32 v141, v141, v151
	v_ldexp_f32 v142, v142, v153
	v_cmp_ngt_f32_e64 s1, 0xc2ce8ed0, v135
	v_ldexp_f32 v143, v143, v155
	v_ldexp_f32 v144, v144, v157
	v_cmp_ngt_f32_e64 s2, 0xc2ce8ed0, v136
	v_ldexp_f32 v145, v145, v159
	v_cmp_ngt_f32_e64 s3, 0xc2ce8ed0, v137
	s_wait_alu 0xf1ff
	v_cndmask_b32_e64 v141, 0, v141, s8
	v_cndmask_b32_e64 v142, 0, v142, s0
	v_cmp_nlt_f32_e64 s0, 0x42b17218, v134
	v_cmp_nlt_f32_e64 s8, 0x42b17218, v115
	v_cndmask_b32_e64 v134, 0, v143, s1
	v_cmp_nlt_f32_e64 s1, 0x42b17218, v135
	v_cndmask_b32_e64 v135, 0, v144, s2
	v_cmp_nlt_f32_e64 s2, 0x42b17218, v136
	v_cndmask_b32_e64 v136, 0, v145, s3
	v_cmp_nlt_f32_e64 s3, 0x42b17218, v137
	s_wait_alu 0xf1ff
	v_cndmask_b32_e64 v115, 0x7f800000, v141, s8
	v_cndmask_b32_e64 v141, 0x7f800000, v142, s0
	v_fmac_f32_e32 v160, 0x32a5705f, v138
	v_cvt_i32_f32_e32 v161, v161
	v_cndmask_b32_e64 v143, 0x7f800000, v136, s3
	v_rndne_f32_e32 v165, v148
	v_cmp_ngt_f32_e64 s4, 0xc2ce8ed0, v138
	v_add_f32_e32 v146, v146, v160
	v_cndmask_b32_e64 v142, 0x7f800000, v135, s2
	v_fmac_f32_e32 v190, 0x32a5705f, v133
	v_dual_sub_f32 v148, v148, v165 :: v_dual_add_f32 v147, v147, v162
	s_delay_alu instid0(VALU_DEP_4) | instskip(SKIP_1) | instid1(VALU_DEP_3)
	v_exp_f32_e32 v146, v146
	v_cvt_i32_f32_e32 v163, v163
	v_add_f32_e32 v149, v149, v190
	v_cvt_i32_f32_e32 v165, v165
	v_exp_f32_e32 v147, v147
	v_cvt_i32_f32_e32 v191, v191
	v_cmp_ngt_f32_e64 s6, 0xc2ce8ed0, v140
	v_exp_f32_e32 v149, v149
	v_cmp_ngt_f32_e64 s7, 0xc2ce8ed0, v133
	v_cndmask_b32_e64 v134, 0x7f800000, v134, s1
	v_ldexp_f32 v146, v146, v161
	v_cmp_le_f32_e64 s0, 0xc1a00000, v133
	v_cvt_f16_f32_e64 v145, v142
	s_delay_alu instid0(TRANS32_DEP_2)
	v_ldexp_f32 v147, v147, v163
	s_wait_alu 0xf1ff
	v_cndmask_b32_e64 v137, 0, v146, s4
	v_cmp_nlt_f32_e64 s4, 0x42b17218, v138
	v_ldexp_f32 v149, v149, v191
	v_cvt_f16_f32_e64 v144, v134
	v_cndmask_b32_e64 v138, 0, v147, s5
	v_cmp_nlt_f32_e64 s5, 0x42b17218, v139
	s_wait_alu 0xf1ff
	v_cndmask_b32_e64 v137, 0x7f800000, v137, s4
	v_add_f32_e32 v148, v148, v164
	s_delay_alu instid0(VALU_DEP_3) | instskip(NEXT) | instid1(VALU_DEP_3)
	v_cndmask_b32_e64 v138, 0x7f800000, v138, s5
	v_cvt_f16_f32_e64 v146, v137
	s_delay_alu instid0(VALU_DEP_3) | instskip(NEXT) | instid1(VALU_DEP_2)
	v_exp_f32_e32 v148, v148
	v_cvt_f16_f32_e64 v136, v138
	s_delay_alu instid0(TRANS32_DEP_1) | instskip(NEXT) | instid1(VALU_DEP_1)
	v_ldexp_f32 v148, v148, v165
	v_cndmask_b32_e64 v139, 0, v148, s6
	v_cmp_nlt_f32_e64 s6, 0x42b17218, v140
	v_cndmask_b32_e64 v140, 0, v149, s7
	v_cmp_nlt_f32_e64 s7, 0x42b17218, v133
	v_add_f32_e32 v133, v115, v141
	v_cvt_f16_f32_e32 v115, v115
	s_wait_alu 0xf1ff
	v_cndmask_b32_e64 v139, 0x7f800000, v139, s6
	v_cvt_f16_f32_e64 v141, v141
	v_cndmask_b32_e64 v135, 0x7f800000, v140, s7
	v_add_f32_e32 v148, v134, v133
	v_perm_b32 v134, v145, v144, 0x5040100
	v_cvt_f16_f32_e64 v147, v139
	v_perm_b32 v133, v141, v115, 0x5040100
	v_cndmask_b32_e64 v140, 0, v135, s0
	v_add_f32_e32 v115, v142, v148
	v_cvt_f16_f32_e64 v135, v143
	v_perm_b32 v136, v147, v136, 0x5040100
	s_delay_alu instid0(VALU_DEP_4) | instskip(NEXT) | instid1(VALU_DEP_4)
	v_cvt_f16_f32_e64 v149, v140
	v_add_f32_e32 v115, v143, v115
	s_delay_alu instid0(VALU_DEP_4) | instskip(NEXT) | instid1(VALU_DEP_3)
	v_perm_b32 v135, v146, v135, 0x5040100
	v_and_b32_e32 v141, 0xffff, v149
	s_delay_alu instid0(VALU_DEP_3) | instskip(NEXT) | instid1(VALU_DEP_2)
	v_add_f32_e32 v115, v137, v115
	v_mul_u32_u24_e32 v141, 0x10001, v141
	s_delay_alu instid0(VALU_DEP_2) | instskip(NEXT) | instid1(VALU_DEP_2)
	v_add_f32_e32 v115, v138, v115
	v_pk_mul_f16 v44, v44, v141
	s_delay_alu instid0(VALU_DEP_2)
	v_add_f32_e32 v115, v139, v115
	v_pk_mul_f16 v45, v45, v141
	v_pk_mul_f16 v46, v46, v141
	;; [unrolled: 1-line block ×4, first 2 shown]
	v_fmac_f32_e32 v115, v132, v140
	ds_load_2addr_b32 v[148:149], v126 offset1:16
	ds_load_2addr_b32 v[157:158], v126 offset0:32 offset1:52
	ds_load_2addr_b32 v[152:153], v126 offset0:104 offset1:120
	;; [unrolled: 1-line block ×5, first 2 shown]
	ds_load_2addr_b32 v[154:155], v127 offset1:16
	ds_load_2addr_b32 v[163:164], v128 offset1:16
	ds_load_2addr_b32 v[165:166], v126 offset0:68 offset1:84
	ds_load_2addr_b32 v[167:168], v126 offset0:172 offset1:188
	;; [unrolled: 1-line block ×3, first 2 shown]
	ds_load_b32 v132, v127 offset:128
	ds_load_b32 v171, v128 offset:128
	v_pk_mul_f16 v41, v41, v141
	v_pk_mul_f16 v42, v42, v141
	;; [unrolled: 1-line block ×19, first 2 shown]
	s_wait_dscnt 0xb
	v_perm_b32 v137, v158, v148, 0x7060302
	s_wait_dscnt 0x9
	v_perm_b32 v138, v162, v152, 0x7060302
	;; [unrolled: 2-line block ×4, first 2 shown]
	v_perm_b32 v144, v163, v154, 0x5040100
	v_perm_b32 v143, v160, v150, 0x5040100
	;; [unrolled: 1-line block ×4, first 2 shown]
	s_wait_dscnt 0x4
	v_perm_b32 v145, v165, v149, 0x7060302
	s_wait_dscnt 0x3
	v_perm_b32 v146, v167, v153, 0x7060302
	;; [unrolled: 2-line block ×3, first 2 shown]
	v_perm_b32 v148, v164, v155, 0x7060302
	v_perm_b32 v152, v164, v155, 0x5040100
	;; [unrolled: 1-line block ×8, first 2 shown]
	s_wait_dscnt 0x0
	v_perm_b32 v156, v171, v132, 0x7060302
	v_perm_b32 v160, v171, v132, 0x5040100
	;; [unrolled: 1-line block ×5, first 2 shown]
	v_wmma_f16_16x16x16_f16 v[44:47], v[141:144], v[133:136], v[44:47]
	v_wmma_f16_16x16x16_f16 v[40:43], v[137:140], v[133:136], v[40:43]
	v_wmma_f16_16x16x16_f16 v[36:39], v[149:152], v[133:136], v[36:39]
	v_wmma_f16_16x16x16_f16 v[32:35], v[145:148], v[133:136], v[32:35]
	v_wmma_f16_16x16x16_f16 v[28:31], v[157:160], v[133:136], v[28:31]
	v_wmma_f16_16x16x16_f16 v[24:27], v[153:156], v[133:136], v[24:27]
	s_wait_loadcnt 0x0
	s_barrier_signal -1
	s_barrier_wait -1
	global_inv scope:SCOPE_SE
	s_wait_alu 0xfffe
	s_cbranch_vccnz .LBB14_432
; %bb.433:
	v_dual_mov_b32 v82, s37 :: v_dual_mov_b32 v81, s36
	v_dual_mov_b32 v84, s27 :: v_dual_mov_b32 v83, s26
	s_branch .LBB14_435
.LBB14_434:
	v_dual_mov_b32 v27, 0 :: v_dual_mov_b32 v118, 0xfeffffff
	s_delay_alu instid0(VALU_DEP_1) | instskip(SKIP_1) | instid1(VALU_DEP_2)
	v_dual_mov_b32 v31, 0 :: v_dual_mov_b32 v26, v27
	v_dual_mov_b32 v25, v27 :: v_dual_mov_b32 v24, v27
	;; [unrolled: 1-line block ×11, first 2 shown]
	v_mov_b32_e32 v32, v27
.LBB14_435:
	s_lshl_b32 s0, s96, 5
	v_lshlrev_b64_e32 v[73:74], 1, v[73:74]
	s_wait_alu 0xfffe
	s_ashr_i32 s1, s0, 31
	v_mul_lo_u32 v84, s0, v84
	s_wait_alu 0xfffe
	v_mul_lo_u32 v117, s1, v83
	v_mul_hi_u32 v121, s0, v83
	s_lshl_b64 s[2:3], s[0:1], 1
	v_mul_lo_u32 v83, s0, v83
	s_wait_alu 0xfffe
	s_add_nc_u64 s[2:3], s[14:15], s[2:3]
	v_lshlrev_b64_e32 v[75:76], 1, v[75:76]
	s_wait_alu 0xfffe
	v_add_co_u32 v119, s2, s2, v116
	v_add_nc_u32_e32 v84, v84, v117
	s_wait_alu 0xf1ff
	v_add_co_ci_u32_e64 v120, null, s3, 0, s2
	s_delay_alu instid0(VALU_DEP_3) | instskip(NEXT) | instid1(VALU_DEP_3)
	v_add_co_u32 v73, vcc_lo, v119, v73
	v_add_nc_u32_e32 v84, v84, v121
	s_wait_alu 0xfffd
	s_delay_alu instid0(VALU_DEP_3) | instskip(SKIP_1) | instid1(VALU_DEP_3)
	v_add_co_ci_u32_e64 v74, null, v120, v74, vcc_lo
	v_add_co_u32 v75, vcc_lo, v119, v75
	v_lshlrev_b64_e32 v[83:84], 2, v[83:84]
	s_wait_alu 0xfffd
	v_add_co_ci_u32_e64 v76, null, v120, v76, vcc_lo
	v_lshlrev_b64_e32 v[65:66], 2, v[65:66]
	s_clause 0x1
	global_load_b32 v117, v[73:74], off
	global_load_b32 v129, v[75:76], off
	v_add_co_u32 v75, vcc_lo, s12, v83
	s_wait_alu 0xfffd
	v_add_co_ci_u32_e64 v76, null, s13, v84, vcc_lo
	v_lshlrev_b64_e32 v[83:84], 2, v[48:49]
	s_delay_alu instid0(VALU_DEP_3) | instskip(SKIP_1) | instid1(VALU_DEP_3)
	v_add_co_u32 v49, vcc_lo, v75, v65
	s_wait_alu 0xfffd
	v_add_co_ci_u32_e64 v73, null, v76, v66, vcc_lo
	v_lshlrev_b64_e32 v[65:66], 2, v[67:68]
	s_delay_alu instid0(VALU_DEP_3) | instskip(SKIP_1) | instid1(VALU_DEP_3)
	v_add_co_u32 v67, vcc_lo, v49, v83
	s_wait_alu 0xfffd
	v_add_co_ci_u32_e64 v68, null, v73, v84, vcc_lo
	v_lshlrev_b64_e32 v[127:128], 2, v[50:51]
	s_delay_alu instid0(VALU_DEP_4) | instskip(SKIP_3) | instid1(VALU_DEP_3)
	v_add_co_u32 v49, vcc_lo, v75, v65
	s_wait_alu 0xfffd
	v_add_co_ci_u32_e64 v73, null, v76, v66, vcc_lo
	v_lshlrev_b64_e32 v[65:66], 2, v[69:70]
	v_add_co_u32 v69, vcc_lo, v49, v83
	s_wait_alu 0xfffd
	s_delay_alu instid0(VALU_DEP_3) | instskip(SKIP_1) | instid1(VALU_DEP_4)
	v_add_co_ci_u32_e64 v70, null, v73, v84, vcc_lo
	v_mul_lo_u32 v82, s0, v82
	v_add_co_u32 v49, vcc_lo, v75, v65
	s_wait_alu 0xfffd
	v_add_co_ci_u32_e64 v51, null, v76, v66, vcc_lo
	v_lshlrev_b64_e32 v[65:66], 2, v[71:72]
	s_delay_alu instid0(VALU_DEP_3) | instskip(SKIP_1) | instid1(VALU_DEP_3)
	v_add_co_u32 v73, vcc_lo, v49, v127
	s_wait_alu 0xfffd
	v_add_co_ci_u32_e64 v74, null, v51, v128, vcc_lo
	v_lshlrev_b64_e32 v[71:72], 2, v[79:80]
	s_delay_alu instid0(VALU_DEP_4) | instskip(SKIP_3) | instid1(VALU_DEP_3)
	v_add_co_u32 v49, vcc_lo, v75, v65
	s_wait_alu 0xfffd
	v_add_co_ci_u32_e64 v51, null, v76, v66, vcc_lo
	v_lshlrev_b64_e32 v[65:66], 2, v[77:78]
	v_add_co_u32 v77, vcc_lo, v49, v127
	s_wait_alu 0xfffd
	s_delay_alu instid0(VALU_DEP_3) | instskip(SKIP_1) | instid1(VALU_DEP_4)
	v_add_co_ci_u32_e64 v78, null, v51, v128, vcc_lo
	v_mul_lo_u32 v130, s1, v81
	v_add_co_u32 v49, vcc_lo, v75, v65
	s_wait_alu 0xfffd
	v_add_co_ci_u32_e64 v51, null, v76, v66, vcc_lo
	v_add_co_u32 v65, vcc_lo, v75, v71
	s_wait_alu 0xfffd
	v_add_co_ci_u32_e64 v66, null, v76, v72, vcc_lo
	;; [unrolled: 3-line block ×4, first 2 shown]
	s_clause 0x5
	global_load_b128 v[65:68], v[67:68], off
	global_load_b128 v[69:72], v[69:70], off
	;; [unrolled: 1-line block ×6, first 2 shown]
	v_mul_hi_u32 v133, s0, v81
	v_add_nc_u32_e32 v82, v82, v130
	v_lshlrev_b32_e32 v131, 2, v48
	v_lshlrev_b64_e32 v[48:49], 2, v[55:56]
	v_lshlrev_b64_e32 v[55:56], 2, v[57:58]
	v_mul_lo_u32 v57, s0, v81
	v_lshlrev_b32_e32 v132, 2, v50
	v_lshlrev_b64_e32 v[50:51], 2, v[59:60]
	v_add_nc_u32_e32 v58, v82, v133
	v_lshlrev_b64_e32 v[53:54], 2, v[53:54]
	v_add_nc_u32_e32 v114, 0, v114
	;; [unrolled: 2-line block ×3, first 2 shown]
	v_lshlrev_b64_e32 v[57:58], 2, v[57:58]
	v_lshlrev_b64_e32 v[61:62], 2, v[63:64]
	v_add3_u32 v81, v114, v96, v97
	v_add3_u32 v135, 0, v102, v131
	v_add_nc_u32_e32 v63, v116, v99
	v_add_nc_u32_e32 v64, v116, v100
	v_add_co_u32 v57, vcc_lo, s10, v57
	s_wait_alu 0xfffd
	v_add_co_ci_u32_e64 v58, null, s11, v58, vcc_lo
	v_add3_u32 v116, 0, v101, v131
	s_delay_alu instid0(VALU_DEP_3) | instskip(SKIP_1) | instid1(VALU_DEP_3)
	v_add_co_u32 v48, vcc_lo, v57, v48
	s_wait_alu 0xfffd
	v_add_co_ci_u32_e64 v49, null, v58, v49, vcc_lo
	v_add_co_u32 v50, vcc_lo, v57, v50
	s_wait_alu 0xfffd
	v_add_co_ci_u32_e64 v51, null, v58, v51, vcc_lo
	;; [unrolled: 3-line block ×10, first 2 shown]
	v_add_co_u32 v96, vcc_lo, v100, v127
	v_add3_u32 v136, 0, v103, v132
	s_wait_alu 0xfffd
	v_add_co_ci_u32_e64 v97, null, v101, v128, vcc_lo
	v_add_co_u32 v103, vcc_lo, v61, v127
	v_add3_u32 v137, 0, v104, v132
	v_add3_u32 v107, 0, v107, v132
	;; [unrolled: 1-line block ×3, first 2 shown]
	s_wait_alu 0xfffd
	v_add_co_ci_u32_e64 v104, null, v62, v128, vcc_lo
	v_cmp_lt_i32_e32 vcc_lo, v106, v98
	v_cmp_gt_u32_e64 s0, 16, v52
	s_wait_loadcnt 0x7
	ds_store_b32 v63, v117 offset:6656
	s_wait_loadcnt 0x6
	ds_store_b32 v64, v129 offset:6656
	s_wait_loadcnt 0x5
	ds_store_b128 v116, v[65:68]
	s_wait_loadcnt 0x4
	ds_store_b128 v135, v[69:72]
	;; [unrolled: 2-line block ×6, first 2 shown]
	s_wait_dscnt 0x0
	s_barrier_signal -1
	s_barrier_wait -1
	global_inv scope:SCOPE_SE
	ds_load_b128 v[48:51], v81
	ds_load_b128 v[61:64], v81 offset:32
	ds_load_b128 v[65:68], v81 offset:64
	;; [unrolled: 1-line block ×5, first 2 shown]
	s_wait_loadcnt_dscnt 0x0
	s_barrier_signal -1
	s_barrier_wait -1
	global_inv scope:SCOPE_SE
	s_clause 0x5
	global_load_b128 v[81:84], v[53:54], off
	global_load_b128 v[99:102], v[55:56], off
	;; [unrolled: 1-line block ×6, first 2 shown]
	v_lshlrev_b32_e32 v53, 2, v108
	s_delay_alu instid0(VALU_DEP_1) | instskip(NEXT) | instid1(VALU_DEP_1)
	v_add3_u32 v53, 0, v109, v53
	v_add_nc_u32_e32 v54, 0x1a00, v53
	v_add_nc_u32_e32 v103, 0x1a08, v53
	ds_load_2addr_b32 v[96:97], v54 offset1:1
	v_wmma_f32_16x16x16_f16 v[53:60], v[48:51], v[20:23], 0
	s_delay_alu instid0(VALU_DEP_1) | instskip(NEXT) | instid1(VALU_DEP_1)
	v_wmma_f32_16x16x16_f16 v[53:60], v[61:64], v[8:11], v[53:60]
	v_wmma_f32_16x16x16_f16 v[53:60], v[65:68], v[12:15], v[53:60]
	s_delay_alu instid0(VALU_DEP_1) | instskip(SKIP_2) | instid1(VALU_DEP_2)
	v_wmma_f32_16x16x16_f16 v[53:60], v[69:72], v[16:19], v[53:60]
	s_wait_dscnt 0x0
	v_lshrrev_b32_e32 v9, 16, v96
	v_wmma_f32_16x16x16_f16 v[53:60], v[73:76], v[4:7], v[53:60]
	v_cvt_f32_f16_e32 v8, v96
	v_lshrrev_b32_e32 v4, 16, v97
	v_cvt_f32_f16_e32 v10, v97
	s_delay_alu instid0(VALU_DEP_4) | instskip(SKIP_1) | instid1(VALU_DEP_4)
	v_wmma_f32_16x16x16_f16 v[53:60], v[77:80], v[0:3], v[53:60]
	v_cvt_f32_f16_e32 v0, v9
	v_cvt_f32_f16_e32 v2, v4
	s_delay_alu instid0(VALU_DEP_3) | instskip(NEXT) | instid1(VALU_DEP_3)
	v_add_f32_e32 v4, v53, v8
	v_add_f32_e32 v0, v54, v0
	ds_load_2addr_b32 v[20:21], v103 offset1:1
	v_add_f32_e32 v2, v56, v2
	s_wait_loadcnt 0x5
	ds_store_b128 v116, v[81:84]
	s_wait_loadcnt 0x4
	ds_store_b128 v135, v[99:102]
	s_wait_loadcnt 0x3
	ds_store_b128 v136, v[119:122]
	s_wait_loadcnt 0x2
	ds_store_b128 v137, v[123:126]
	s_wait_loadcnt 0x1
	ds_store_b128 v107, v[127:130]
	s_wait_loadcnt 0x0
	ds_store_b128 v110, v[131:134]
	s_wait_dscnt 0x6
	v_lshrrev_b32_e32 v1, 16, v21
	v_lshrrev_b32_e32 v6, 16, v20
	v_cvt_f32_f16_e32 v5, v20
	v_add_f32_e32 v9, 0x40051340, v0
	v_cvt_f32_f16_e32 v7, v21
	v_cvt_f32_f16_e32 v1, v1
	;; [unrolled: 1-line block ×3, first 2 shown]
	v_dual_add_f32 v6, v55, v10 :: v_dual_add_f32 v5, v57, v5
	v_add_f32_e32 v11, 0x40051340, v2
	s_delay_alu instid0(VALU_DEP_4) | instskip(NEXT) | instid1(VALU_DEP_3)
	v_dual_add_f32 v1, v60, v1 :: v_dual_add_f32 v8, 0x40051340, v4
	v_dual_add_f32 v3, v58, v3 :: v_dual_add_f32 v10, 0x40051340, v6
	v_add_f32_e32 v7, v59, v7
	s_delay_alu instid0(VALU_DEP_3) | instskip(NEXT) | instid1(VALU_DEP_4)
	v_add_f32_e32 v13, 0x40051340, v1
	v_max3_num_f32 v8, v118, v8, v9
	v_add_f32_e32 v9, 0x40051340, v5
	v_add3_u32 v19, v114, v113, v90
	v_add3_u32 v67, v114, v111, v90
	;; [unrolled: 1-line block ×3, first 2 shown]
	v_max3_num_f32 v8, v8, v10, v11
	s_wait_alu 0xfffd
	v_cndmask_b32_e32 v10, v105, v106, vcc_lo
	v_add_f32_e32 v12, 0x40051340, v3
	v_add_f32_e32 v11, 0x40051340, v7
	s_wait_dscnt 0x0
	s_barrier_signal -1
	v_lshlrev_b32_e32 v53, 2, v10
	v_max3_num_f32 v8, v8, v9, v12
	s_barrier_wait -1
	global_inv scope:SCOPE_SE
	v_max3_num_f32 v8, v8, v11, v13
	ds_bpermute_b32 v9, v53, v8
	s_wait_dscnt 0x0
	v_max_num_f32_e32 v9, v9, v9
	s_delay_alu instid0(VALU_DEP_1) | instskip(NEXT) | instid1(VALU_DEP_1)
	v_max_num_f32_e32 v54, v8, v9
	v_sub_f32_e32 v6, v6, v54
	s_delay_alu instid0(VALU_DEP_1) | instskip(SKIP_4) | instid1(VALU_DEP_4)
	v_mul_f32_e32 v11, 0x3fb8aa3b, v6
	v_dual_sub_f32 v5, v5, v54 :: v_dual_add_nc_u32 v16, 0x200, v19
	v_sub_f32_e32 v4, v4, v54
	v_dual_sub_f32 v3, v3, v54 :: v_dual_add_nc_u32 v20, 0x400, v19
	v_sub_f32_e32 v1, v1, v54
	v_mul_f32_e32 v13, 0x3fb8aa3b, v5
	s_delay_alu instid0(VALU_DEP_4) | instskip(NEXT) | instid1(VALU_DEP_4)
	v_mul_f32_e32 v9, 0x3fb8aa3b, v4
	v_dual_sub_f32 v7, v7, v54 :: v_dual_mul_f32 v14, 0x3fb8aa3b, v3
	s_delay_alu instid0(VALU_DEP_4) | instskip(NEXT) | instid1(VALU_DEP_3)
	v_dual_sub_f32 v0, v0, v54 :: v_dual_mul_f32 v17, 0x3fb8aa3b, v1
	v_fma_f32 v21, 0x3fb8aa3b, v4, -v9
	v_rndne_f32_e32 v22, v9
	v_sub_f32_e32 v2, v2, v54
	v_rndne_f32_e32 v59, v14
	v_mul_f32_e32 v15, 0x3fb8aa3b, v7
	v_fmac_f32_e32 v21, 0x32a5705f, v4
	v_dual_sub_f32 v9, v9, v22 :: v_dual_mul_f32 v10, 0x3fb8aa3b, v0
	v_fma_f32 v56, 0x3fb8aa3b, v5, -v13
	v_rndne_f32_e32 v57, v13
	v_fma_f32 v58, 0x3fb8aa3b, v3, -v14
	s_delay_alu instid0(VALU_DEP_4) | instskip(NEXT) | instid1(VALU_DEP_3)
	v_dual_sub_f32 v14, v14, v59 :: v_dual_add_f32 v9, v9, v21
	v_dual_mul_f32 v12, 0x3fb8aa3b, v2 :: v_dual_sub_f32 v13, v13, v57
	v_fma_f32 v23, 0x3fb8aa3b, v0, -v10
	v_sub_f32_e32 v8, v118, v54
	v_rndne_f32_e32 v48, v10
	v_fma_f32 v62, 0x3fb8aa3b, v1, -v17
	v_rndne_f32_e32 v63, v17
	v_fmac_f32_e32 v56, 0x32a5705f, v5
	v_exp_f32_e32 v9, v9
	v_fma_f32 v49, 0x3fb8aa3b, v6, -v11
	v_rndne_f32_e32 v50, v11
	v_cvt_i32_f32_e32 v22, v22
	v_fmac_f32_e32 v23, 0x32a5705f, v0
	v_mul_f32_e32 v18, 0x3fb8aa3b, v8
	v_dual_sub_f32 v10, v10, v48 :: v_dual_fmac_f32 v49, 0x32a5705f, v6
	v_dual_sub_f32 v17, v17, v63 :: v_dual_fmac_f32 v62, 0x32a5705f, v1
	v_add_f32_e32 v13, v13, v56
	v_fma_f32 v51, 0x3fb8aa3b, v2, -v12
	v_rndne_f32_e32 v55, v12
	v_fma_f32 v60, 0x3fb8aa3b, v7, -v15
	v_sub_f32_e32 v11, v11, v50
	v_fma_f32 v64, 0x3fb8aa3b, v8, -v18
	v_exp_f32_e32 v13, v13
	v_ldexp_f32 v9, v9, v22
	v_cmp_ngt_f32_e32 vcc_lo, 0xc2ce8ed0, v4
	v_dual_add_f32 v10, v10, v23 :: v_dual_fmac_f32 v51, 0x32a5705f, v2
	v_sub_f32_e32 v12, v12, v55
	v_cvt_i32_f32_e32 v57, v57
	v_dual_fmac_f32 v60, 0x32a5705f, v7 :: v_dual_add_f32 v11, v11, v49
	v_dual_fmac_f32 v64, 0x32a5705f, v8 :: v_dual_add_f32 v17, v17, v62
	s_wait_alu 0xfffd
	v_cndmask_b32_e32 v9, 0, v9, vcc_lo
	v_exp_f32_e32 v10, v10
	v_cvt_i32_f32_e32 v48, v48
	v_exp_f32_e32 v11, v11
	v_exp_f32_e32 v17, v17
	v_ldexp_f32 v13, v13, v57
	v_add_f32_e32 v12, v12, v51
	v_rndne_f32_e32 v61, v15
	v_cvt_i32_f32_e32 v50, v50
	v_fmac_f32_e32 v58, 0x32a5705f, v3
	v_cvt_i32_f32_e32 v63, v63
	v_exp_f32_e32 v12, v12
	v_ldexp_f32 v10, v10, v48
	v_cmp_ngt_f32_e32 vcc_lo, 0xc2ce8ed0, v0
	v_rndne_f32_e32 v65, v18
	v_cvt_i32_f32_e32 v55, v55
	v_sub_f32_e32 v15, v15, v61
	v_ldexp_f32 v11, v11, v50
	v_ldexp_f32 v17, v17, v63
	s_wait_alu 0xfffd
	v_cndmask_b32_e32 v10, 0, v10, vcc_lo
	v_cmp_ngt_f32_e32 vcc_lo, 0xc2ce8ed0, v6
	v_add_f32_e32 v14, v14, v58
	v_dual_sub_f32 v18, v18, v65 :: v_dual_add_f32 v15, v15, v60
	v_ldexp_f32 v12, v12, v55
	s_wait_alu 0xfffd
	v_cndmask_b32_e32 v11, 0, v11, vcc_lo
	v_exp_f32_e32 v14, v14
	v_cmp_ngt_f32_e32 vcc_lo, 0xc2ce8ed0, v2
	v_cvt_i32_f32_e32 v59, v59
	v_exp_f32_e32 v15, v15
	v_cvt_i32_f32_e32 v61, v61
	v_cvt_i32_f32_e32 v21, v65
	s_wait_alu 0xfffd
	v_cndmask_b32_e32 v12, 0, v12, vcc_lo
	v_cmp_ngt_f32_e32 vcc_lo, 0xc2ce8ed0, v5
	s_delay_alu instid0(TRANS32_DEP_2)
	v_ldexp_f32 v14, v14, v59
	s_wait_alu 0xfffd
	v_cndmask_b32_e32 v13, 0, v13, vcc_lo
	v_cmp_ngt_f32_e32 vcc_lo, 0xc2ce8ed0, v3
	v_ldexp_f32 v15, v15, v61
	s_wait_alu 0xfffd
	v_cndmask_b32_e32 v14, 0, v14, vcc_lo
	v_cmp_ngt_f32_e32 vcc_lo, 0xc2ce8ed0, v7
	s_wait_alu 0xfffd
	v_dual_add_f32 v18, v18, v64 :: v_dual_cndmask_b32 v15, 0, v15
	s_delay_alu instid0(VALU_DEP_1) | instskip(SKIP_4) | instid1(TRANS32_DEP_1)
	v_exp_f32_e32 v18, v18
	v_cmp_ngt_f32_e32 vcc_lo, 0xc2ce8ed0, v1
	s_wait_alu 0xfffd
	v_cndmask_b32_e32 v17, 0, v17, vcc_lo
	v_cmp_ngt_f32_e32 vcc_lo, 0xc2ce8ed0, v8
	v_ldexp_f32 v18, v18, v21
	s_wait_alu 0xfffd
	s_delay_alu instid0(VALU_DEP_1)
	v_cndmask_b32_e32 v18, 0, v18, vcc_lo
	v_cmp_nlt_f32_e32 vcc_lo, 0x42b17218, v4
	s_wait_alu 0xfffd
	v_cndmask_b32_e32 v4, 0x7f800000, v9, vcc_lo
	v_cmp_nlt_f32_e32 vcc_lo, 0x42b17218, v0
	s_wait_alu 0xfffd
	;; [unrolled: 3-line block ×5, first 2 shown]
	v_cndmask_b32_e32 v5, 0x7f800000, v13, vcc_lo
	v_cmp_nlt_f32_e32 vcc_lo, 0x42b17218, v3
	s_delay_alu instid0(VALU_DEP_2) | instskip(SKIP_3) | instid1(VALU_DEP_2)
	v_cvt_f16_f32_e32 v9, v5
	s_wait_alu 0xfffd
	v_cndmask_b32_e32 v3, 0x7f800000, v14, vcc_lo
	v_cmp_nlt_f32_e32 vcc_lo, 0x42b17218, v7
	v_cvt_f16_f32_e32 v10, v3
	s_wait_alu 0xfffd
	v_cndmask_b32_e32 v21, 0x7f800000, v15, vcc_lo
	v_cmp_nlt_f32_e32 vcc_lo, 0x42b17218, v8
	s_delay_alu instid0(VALU_DEP_3) | instskip(NEXT) | instid1(VALU_DEP_3)
	v_perm_b32 v50, v10, v9, 0x5040100
	v_cvt_f16_f32_e32 v11, v21
	s_wait_alu 0xfffd
	v_cndmask_b32_e32 v7, 0x7f800000, v18, vcc_lo
	v_cmp_nlt_f32_e32 vcc_lo, 0x42b17218, v1
	s_wait_alu 0xfffd
	v_dual_add_f32 v1, v4, v0 :: v_dual_cndmask_b32 v22, 0x7f800000, v17
	s_delay_alu instid0(VALU_DEP_1) | instskip(SKIP_1) | instid1(VALU_DEP_3)
	v_add_f32_e32 v1, v6, v1
	v_cmp_le_f32_e32 vcc_lo, 0xc1a00000, v8
	v_cvt_f16_f32_e32 v12, v22
	s_delay_alu instid0(VALU_DEP_3)
	v_add_f32_e32 v1, v2, v1
	s_wait_alu 0xfffd
	v_cndmask_b32_e32 v23, 0, v7, vcc_lo
	v_cvt_f16_f32_e32 v0, v0
	v_perm_b32 v51, v12, v11, 0x5040100
	v_add_f32_e32 v1, v5, v1
	v_cvt_f16_f32_e32 v7, v6
	v_cvt_f16_f32_e32 v6, v23
	s_delay_alu instid0(VALU_DEP_3) | instskip(SKIP_1) | instid1(VALU_DEP_2)
	v_add_f32_e32 v17, v3, v1
	v_cvt_f16_f32_e32 v8, v2
	v_dual_add_f32 v21, v21, v17 :: v_dual_and_b32 v2, 0xffff, v6
	s_delay_alu instid0(VALU_DEP_2) | instskip(NEXT) | instid1(VALU_DEP_2)
	v_perm_b32 v49, v8, v7, 0x5040100
	v_mul_u32_u24_e32 v56, 0x10001, v2
	s_delay_alu instid0(VALU_DEP_3) | instskip(NEXT) | instid1(VALU_DEP_2)
	v_add_f32_e32 v55, v22, v21
	v_pk_mul_f16 v8, v44, v56
	v_pk_mul_f16 v9, v45, v56
	;; [unrolled: 1-line block ×3, first 2 shown]
	s_delay_alu instid0(VALU_DEP_4)
	v_fmac_f32_e32 v55, v115, v23
	v_cvt_f16_f32_e32 v4, v4
	v_pk_mul_f16 v11, v47, v56
	v_pk_mul_f16 v12, v40, v56
	;; [unrolled: 1-line block ×4, first 2 shown]
	v_perm_b32 v48, v0, v4, 0x5040100
	v_pk_mul_f16 v15, v43, v56
	v_pk_mul_f16 v0, v36, v56
	v_pk_mul_f16 v1, v37, v56
	v_pk_mul_f16 v2, v38, v56
	v_pk_mul_f16 v3, v39, v56
	ds_load_2addr_b32 v[36:37], v19 offset1:16
	ds_load_2addr_b32 v[44:45], v19 offset0:32 offset1:52
	ds_load_2addr_b32 v[38:39], v19 offset0:104 offset1:120
	;; [unrolled: 1-line block ×5, first 2 shown]
	ds_load_2addr_b32 v[42:43], v67 offset1:16
	ds_load_2addr_b32 v[59:60], v68 offset1:16
	ds_load_2addr_b32 v[61:62], v19 offset0:68 offset1:84
	ds_load_2addr_b32 v[63:64], v19 offset0:172 offset1:188
	;; [unrolled: 1-line block ×3, first 2 shown]
	ds_load_b32 v67, v67 offset:128
	ds_load_b32 v68, v68 offset:128
	v_pk_mul_f16 v4, v32, v56
	v_pk_mul_f16 v5, v33, v56
	;; [unrolled: 1-line block ×12, first 2 shown]
	ds_bpermute_b32 v56, v53, v55
	s_wait_dscnt 0xc
	v_perm_b32 v24, v45, v36, 0x7060302
	s_wait_dscnt 0xa
	v_perm_b32 v25, v58, v38, 0x7060302
	;; [unrolled: 2-line block ×3, first 2 shown]
	v_perm_b32 v34, v47, v40, 0x5040100
	s_wait_dscnt 0x6
	v_perm_b32 v27, v59, v42, 0x7060302
	v_perm_b32 v35, v59, v42, 0x5040100
	;; [unrolled: 1-line block ×4, first 2 shown]
	s_wait_dscnt 0x5
	v_perm_b32 v28, v61, v37, 0x7060302
	s_wait_dscnt 0x4
	v_perm_b32 v29, v63, v39, 0x7060302
	;; [unrolled: 2-line block ×3, first 2 shown]
	v_perm_b32 v31, v60, v43, 0x7060302
	v_perm_b32 v43, v60, v43, 0x5040100
	v_perm_b32 v42, v65, v41, 0x5040100
	v_perm_b32 v41, v63, v39, 0x5040100
	v_perm_b32 v40, v61, v37, 0x5040100
	v_perm_b32 v36, v62, v44, 0x7060302
	v_perm_b32 v37, v64, v57, 0x7060302
	v_perm_b32 v38, v66, v46, 0x7060302
	s_wait_dscnt 0x1
	v_perm_b32 v39, v68, v67, 0x7060302
	v_perm_b32 v47, v68, v67, 0x5040100
	;; [unrolled: 1-line block ×5, first 2 shown]
	s_wait_loadcnt_dscnt 0x0
	s_barrier_signal -1
	s_barrier_wait -1
	global_inv scope:SCOPE_SE
	s_and_saveexec_b32 s1, s0
	s_cbranch_execz .LBB14_437
; %bb.436:
	v_or_b32_e32 v57, v94, v52
	v_add_f32_e32 v55, v55, v56
	s_delay_alu instid0(VALU_DEP_2)
	v_mad_i32_i24 v56, 0xd0, v57, 0
	ds_store_2addr_b32 v56, v54, v55 offset0:48 offset1:49
.LBB14_437:
	s_wait_alu 0xfffe
	s_or_b32 exec_lo, exec_lo, s1
	v_cmp_ne_u32_e64 s1, 0, v93
	v_cmp_eq_u32_e32 vcc_lo, 0, v93
	s_wait_loadcnt_dscnt 0x0
	s_barrier_signal -1
	s_barrier_wait -1
	global_inv scope:SCOPE_SE
	s_and_saveexec_b32 s2, s1
	s_wait_alu 0xfffe
	s_xor_b32 s1, exec_lo, s2
	s_cbranch_execz .LBB14_439
; %bb.438:
	s_wait_loadcnt 0x0
	s_barrier_signal -1
	s_barrier_wait -1
	global_inv scope:SCOPE_SE
                                        ; implicit-def: $vgpr53
                                        ; implicit-def: $vgpr92
.LBB14_439:
	s_wait_alu 0xfffe
	s_or_saveexec_b32 s2, s1
	v_wmma_f16_16x16x16_f16 v[8:11], v[32:35], v[48:51], v[8:11]
	v_wmma_f16_16x16x16_f16 v[12:15], v[24:27], v[48:51], v[12:15]
	;; [unrolled: 1-line block ×6, first 2 shown]
	s_wait_alu 0xfffe
	s_xor_b32 exec_lo, exec_lo, s2
	s_cbranch_execz .LBB14_443
; %bb.440:
	v_add_nc_u32_e32 v24, v94, v52
	s_delay_alu instid0(VALU_DEP_1)
	v_mad_i32_i24 v28, 0xd0, v24, 0
	ds_load_b64 v[26:27], v28 offset:192
	s_wait_loadcnt_dscnt 0x0
	s_barrier_signal -1
	s_barrier_wait -1
	global_inv scope:SCOPE_SE
	ds_bpermute_b32 v24, v53, v26
	s_wait_dscnt 0x0
	v_dual_max_num_f32 v25, v26, v26 :: v_dual_max_num_f32 v24, v24, v24
	s_delay_alu instid0(VALU_DEP_1) | instskip(NEXT) | instid1(VALU_DEP_1)
	v_max_num_f32_e32 v24, v25, v24
	v_sub_f32_e32 v25, v26, v24
	s_delay_alu instid0(VALU_DEP_1) | instskip(SKIP_1) | instid1(VALU_DEP_2)
	v_mul_f32_e32 v26, 0x3fb8aa3b, v25
	v_cmp_ngt_f32_e64 s1, 0xc2ce8ed0, v25
	v_fma_f32 v29, 0x3fb8aa3b, v25, -v26
	v_rndne_f32_e32 v30, v26
	s_delay_alu instid0(VALU_DEP_1) | instskip(NEXT) | instid1(VALU_DEP_1)
	v_dual_fmamk_f32 v29, v25, 0x32a5705f, v29 :: v_dual_sub_f32 v26, v26, v30
	v_add_f32_e32 v26, v26, v29
	v_cvt_i32_f32_e32 v29, v30
	s_delay_alu instid0(VALU_DEP_2) | instskip(NEXT) | instid1(TRANS32_DEP_1)
	v_exp_f32_e32 v26, v26
	v_ldexp_f32 v26, v26, v29
	s_wait_alu 0xf1ff
	s_delay_alu instid0(VALU_DEP_1) | instskip(SKIP_2) | instid1(VALU_DEP_1)
	v_cndmask_b32_e64 v26, 0, v26, s1
	v_cmp_nlt_f32_e64 s1, 0x42b17218, v25
	s_wait_alu 0xf1ff
	v_cndmask_b32_e64 v25, 0x7f800000, v26, s1
	s_mov_b32 s1, 0
	s_delay_alu instid0(VALU_DEP_1)
	v_mul_f32_e32 v26, v27, v25
	ds_bpermute_b32 v26, v53, v26
	s_wait_dscnt 0x0
	v_fmac_f32_e32 v26, v27, v25
	ds_store_b64 v28, v[25:26] offset:192
	s_and_saveexec_b32 s3, s0
	s_cbranch_execz .LBB14_442
; %bb.441:
	v_or_b32_e32 v25, v92, v52
	s_add_co_i32 s0, s34, ttmp9
	s_wait_alu 0xfffe
	s_lshl_b32 s0, s0, 4
	s_wait_alu 0xfffe
	s_lshl_b64 s[0:1], s[0:1], 3
	v_lshlrev_b32_e32 v27, 3, v25
	v_mov_b32_e32 v25, v26
	s_wait_alu 0xfffe
	s_add_nc_u64 s[0:1], s[22:23], s[0:1]
	global_store_b64 v27, v[24:25], s[0:1]
.LBB14_442:
	s_wait_alu 0xfffe
	s_or_b32 exec_lo, exec_lo, s3
.LBB14_443:
	s_delay_alu instid0(SALU_CYCLE_1)
	s_or_b32 exec_lo, exec_lo, s2
	v_or_b32_e32 v24, v94, v88
	v_lshlrev_b32_e32 v25, 2, v95
	v_perm_b32 v26, v12, v8, 0x5040100
	v_perm_b32 v8, v12, v8, 0x7060302
	;; [unrolled: 1-line block ×3, first 2 shown]
	v_mul_i32_i24_e32 v24, 0xd0, v24
	v_perm_b32 v9, v13, v9, 0x7060302
	v_perm_b32 v13, v14, v10, 0x5040100
	;; [unrolled: 1-line block ×4, first 2 shown]
	v_add3_u32 v24, 0, v24, v25
	v_perm_b32 v11, v15, v11, 0x7060302
	s_mov_b32 s1, 0
	v_perm_b32 v15, v23, v19, 0x7060302
	ds_store_2addr_b32 v24, v26, v8 offset1:1
	ds_store_2addr_b32 v24, v12, v9 offset0:2 offset1:3
	ds_store_2addr_b32 v24, v13, v10 offset0:4 offset1:5
	;; [unrolled: 1-line block ×3, first 2 shown]
	v_perm_b32 v8, v4, v0, 0x5040100
	v_perm_b32 v0, v4, v0, 0x7060302
	;; [unrolled: 1-line block ×15, first 2 shown]
	ds_store_2addr_b32 v24, v8, v0 offset0:16 offset1:17
	ds_store_2addr_b32 v24, v4, v1 offset0:18 offset1:19
	;; [unrolled: 1-line block ×8, first 2 shown]
	s_wait_storecnt 0x0
	s_wait_loadcnt_dscnt 0x0
	s_barrier_signal -1
	s_barrier_wait -1
	global_inv scope:SCOPE_SE
	s_and_saveexec_b32 s2, vcc_lo
	s_cbranch_execz .LBB14_445
; %bb.444:
	v_bfe_u32 v0, v91, 1, 4
	v_add_nc_u32_e32 v1, 1, v86
	v_add_nc_u32_e32 v2, 2, v86
	;; [unrolled: 1-line block ×4, first 2 shown]
	v_and_or_b32 v0, 0x3e0, v91, v0
	v_lshlrev_b32_e32 v3, 1, v1
	v_and_b32_e32 v1, 15, v1
	v_lshlrev_b32_e32 v5, 1, v2
	v_lshlrev_b32_e32 v11, 1, v8
	v_mad_u32_u24 v4, 0xd0, v0, 0
	v_mad_u32_u24 v0, 0xd0, v0, v85
	v_and_or_b32 v6, 0x7e0, v3, v1
	v_and_b32_e32 v1, 15, v2
	v_and_b32_e32 v8, 15, v8
	v_add_nc_u32_e32 v2, 0xc0, v4
	v_mul_u32_u24_e32 v14, 48, v86
	v_mad_u32_u24 v4, 0xd0, v6, 0
	v_and_or_b32 v9, 0x7e0, v5, v1
	ds_load_2addr_stride64_b32 v[0:1], v0 offset1:13
	ds_load_2addr_stride64_b32 v[2:3], v2 offset1:13
	v_mad_u32_u24 v5, 0xd0, v6, v85
	v_and_or_b32 v13, 0x7e0, v11, v8
	v_add_nc_u32_e32 v6, 0xc0, v4
	v_mad_u32_u24 v10, 0xd0, v9, 0
	ds_load_2addr_stride64_b32 v[4:5], v5 offset1:13
	ds_load_2addr_stride64_b32 v[6:7], v6 offset1:13
	v_mad_u32_u24 v9, 0xd0, v9, v85
	v_add_nc_u32_e32 v10, 0xc0, v10
	ds_load_2addr_stride64_b32 v[8:9], v9 offset1:13
	ds_load_2addr_stride64_b32 v[10:11], v10 offset1:13
	v_mad_u32_u24 v16, 0xd0, v13, 0
	v_mad_u32_u24 v13, 0xd0, v13, v85
	v_lshlrev_b32_e32 v15, 1, v12
	v_and_b32_e32 v18, 15, v12
	v_add_lshl_u32 v19, v14, v52, 3
	v_add_nc_u32_e32 v16, 0xc0, v16
	s_wait_dscnt 0x4
	v_fma_mix_f32 v17, v2, v0, 0 op_sel_hi:[0,1,0]
	v_fma_mix_f32 v2, v2, v0, 0 op_sel:[0,1,0] op_sel_hi:[0,1,0]
	v_and_or_b32 v14, 0x7e0, v15, v18
	v_add_nc_u32_e32 v15, 5, v86
	s_mul_i32 s0, ttmp9, 0x300
	v_fma_mix_f32 v0, v3, v1, v17 op_sel_hi:[0,1,0]
	v_fma_mix_f32 v1, v3, v1, v2 op_sel:[0,1,0] op_sel_hi:[0,1,0]
	ds_load_2addr_stride64_b32 v[2:3], v16 offset1:13
	ds_load_2addr_stride64_b32 v[12:13], v13 offset1:13
	s_wait_dscnt 0x4
	v_fma_mix_f32 v17, v6, v4, 0 op_sel_hi:[0,1,0]
	v_fma_mix_f32 v6, v6, v4, 0 op_sel:[0,1,0] op_sel_hi:[0,1,0]
	s_wait_alu 0xfffe
	s_lshl_b64 s[4:5], s[0:1], 3
	s_lshl_b32 s0, s34, 5
	v_add_nc_u32_e32 v20, 7, v86
	v_fma_mix_f32 v4, v7, v5, v17 op_sel_hi:[0,1,0]
	v_fma_mix_f32 v5, v7, v5, v6 op_sel:[0,1,0] op_sel_hi:[0,1,0]
	s_wait_dscnt 0x2
	v_fma_mix_f32 v6, v10, v8, 0 op_sel_hi:[0,1,0]
	v_mad_u32_u24 v7, 0xd0, v14, 0
	v_fma_mix_f32 v8, v10, v8, 0 op_sel:[0,1,0] op_sel_hi:[0,1,0]
	v_lshlrev_b32_e32 v10, 1, v15
	v_and_b32_e32 v15, 15, v15
	v_mad_u32_u24 v14, 0xd0, v14, v85
	v_add_nc_u32_e32 v16, 0xc0, v7
	v_fma_mix_f32 v6, v11, v9, v6 op_sel_hi:[0,1,0]
	v_fma_mix_f32 v7, v11, v9, v8 op_sel:[0,1,0] op_sel_hi:[0,1,0]
	v_and_or_b32 v15, 0x7e0, v10, v15
	ds_load_2addr_stride64_b32 v[8:9], v16 offset1:13
	ds_load_2addr_stride64_b32 v[10:11], v14 offset1:13
	s_wait_dscnt 0x2
	v_fma_mix_f32 v14, v2, v12, 0 op_sel_hi:[0,1,0]
	v_add_nc_u32_e32 v17, 6, v86
	v_mad_u32_u24 v16, 0xd0, v15, 0
	v_fma_mix_f32 v12, v2, v12, 0 op_sel:[0,1,0] op_sel_hi:[0,1,0]
	v_mad_u32_u24 v15, 0xd0, v15, v85
	v_fma_mix_f32 v2, v3, v13, v14 op_sel_hi:[0,1,0]
	v_lshlrev_b32_e32 v18, 1, v17
	v_add_nc_u32_e32 v14, 0xc0, v16
	v_and_b32_e32 v17, 15, v17
	v_fma_mix_f32 v3, v3, v13, v12 op_sel:[0,1,0] op_sel_hi:[0,1,0]
	ds_load_2addr_stride64_b32 v[12:13], v14 offset1:13
	ds_load_2addr_stride64_b32 v[14:15], v15 offset1:13
	v_and_or_b32 v16, 0x7e0, v18, v17
	s_wait_alu 0xfffe
	s_add_nc_u64 s[4:5], s[22:23], s[4:5]
	s_lshl_b64 s[0:1], s[0:1], 3
	v_add_nc_u32_e32 v17, 0x480, v19
	s_wait_alu 0xfffe
	s_add_nc_u64 s[0:1], s[4:5], s[0:1]
	v_mad_u32_u24 v18, 0xd0, v16, 0
	s_clause 0x3
	global_store_b64 v19, v[0:1], s[0:1]
	global_store_b64 v19, v[4:5], s[0:1] offset:384
	global_store_b64 v19, v[6:7], s[0:1] offset:768
	global_store_b64 v17, v[2:3], s[0:1]
	v_lshlrev_b32_e32 v6, 1, v20
	v_and_b32_e32 v7, 15, v20
	s_wait_dscnt 0x2
	v_fma_mix_f32 v0, v8, v10, 0 op_sel_hi:[0,1,0]
	v_add_nc_u32_e32 v1, 0xc0, v18
	v_fma_mix_f32 v8, v8, v10, 0 op_sel:[0,1,0] op_sel_hi:[0,1,0]
	v_mad_u32_u24 v4, 0xd0, v16, v85
	v_and_or_b32 v7, 0x7e0, v6, v7
	v_add_nc_u32_e32 v6, 8, v86
	v_fma_mix_f32 v0, v9, v11, v0 op_sel_hi:[0,1,0]
	ds_load_2addr_stride64_b32 v[2:3], v1 offset1:13
	ds_load_2addr_stride64_b32 v[4:5], v4 offset1:13
	v_fma_mix_f32 v1, v9, v11, v8 op_sel:[0,1,0] op_sel_hi:[0,1,0]
	v_mad_u32_u24 v9, 0xd0, v7, 0
	s_wait_dscnt 0x2
	v_fma_mix_f32 v8, v12, v14, 0 op_sel_hi:[0,1,0]
	v_lshlrev_b32_e32 v10, 1, v6
	v_and_b32_e32 v11, 15, v6
	v_fma_mix_f32 v12, v12, v14, 0 op_sel:[0,1,0] op_sel_hi:[0,1,0]
	v_add_nc_u32_e32 v17, 9, v86
	v_fma_mix_f32 v6, v13, v15, v8 op_sel_hi:[0,1,0]
	v_add_nc_u32_e32 v8, 0xc0, v9
	v_and_or_b32 v16, 0x7e0, v10, v11
	v_mad_u32_u24 v14, 0xd0, v7, v85
	v_fma_mix_f32 v7, v13, v15, v12 op_sel:[0,1,0] op_sel_hi:[0,1,0]
	ds_load_2addr_stride64_b32 v[8:9], v8 offset1:13
	ds_load_2addr_stride64_b32 v[10:11], v14 offset1:13
	v_mad_u32_u24 v12, 0xd0, v16, 0
	v_lshlrev_b32_e32 v13, 1, v17
	v_and_b32_e32 v14, 15, v17
	v_mad_u32_u24 v15, 0xd0, v16, v85
	v_add_nc_u32_e32 v21, 10, v86
	v_add_nc_u32_e32 v12, 0xc0, v12
	s_wait_dscnt 0x2
	v_fma_mix_f32 v17, v2, v4, 0 op_sel_hi:[0,1,0]
	v_and_or_b32 v16, 0x7e0, v13, v14
	v_fma_mix_f32 v4, v2, v4, 0 op_sel:[0,1,0] op_sel_hi:[0,1,0]
	ds_load_2addr_stride64_b32 v[12:13], v12 offset1:13
	ds_load_2addr_stride64_b32 v[14:15], v15 offset1:13
	v_lshlrev_b32_e32 v23, 1, v21
	v_mad_u32_u24 v22, 0xd0, v16, 0
	v_and_b32_e32 v21, 15, v21
	v_fma_mix_f32 v2, v3, v5, v17 op_sel_hi:[0,1,0]
	v_fma_mix_f32 v3, v3, v5, v4 op_sel:[0,1,0] op_sel_hi:[0,1,0]
	v_mad_u32_u24 v16, 0xd0, v16, v85
	v_add_nc_u32_e32 v4, 0xc0, v22
	v_and_or_b32 v21, 0x7e0, v23, v21
	v_add_nc_u32_e32 v18, 0x600, v19
	ds_load_2addr_stride64_b32 v[4:5], v4 offset1:13
	ds_load_2addr_stride64_b32 v[16:17], v16 offset1:13
	v_add_nc_u32_e32 v20, 0x780, v19
	v_add_nc_u32_e32 v22, 0x900, v19
	v_mad_u32_u24 v24, 0xd0, v21, 0
	s_wait_dscnt 0x4
	v_fma_mix_f32 v23, v8, v10, 0 op_sel_hi:[0,1,0]
	s_clause 0x2
	global_store_b64 v18, v[0:1], s[0:1]
	global_store_b64 v20, v[6:7], s[0:1]
	;; [unrolled: 1-line block ×3, first 2 shown]
	v_fma_mix_f32 v1, v8, v10, 0 op_sel:[0,1,0] op_sel_hi:[0,1,0]
	v_add_nc_u32_e32 v8, 11, v86
	v_add_nc_u32_e32 v2, 0xc0, v24
	v_mad_u32_u24 v6, 0xd0, v21, v85
	s_wait_dscnt 0x2
	v_fma_mix_f32 v10, v12, v14, 0 op_sel_hi:[0,1,0]
	v_fma_mix_f32 v12, v12, v14, 0 op_sel:[0,1,0] op_sel_hi:[0,1,0]
	v_lshlrev_b32_e32 v14, 1, v8
	v_and_b32_e32 v18, 15, v8
	ds_load_2addr_stride64_b32 v[2:3], v2 offset1:13
	ds_load_2addr_stride64_b32 v[6:7], v6 offset1:13
	v_fma_mix_f32 v0, v9, v11, v23 op_sel_hi:[0,1,0]
	v_fma_mix_f32 v1, v9, v11, v1 op_sel:[0,1,0] op_sel_hi:[0,1,0]
	v_add_nc_u32_e32 v11, 0xa80, v19
	v_fma_mix_f32 v8, v13, v15, v10 op_sel_hi:[0,1,0]
	v_fma_mix_f32 v9, v13, v15, v12 op_sel:[0,1,0] op_sel_hi:[0,1,0]
	v_and_or_b32 v10, 0x7e0, v14, v18
	v_add_nc_u32_e32 v12, 0xc00, v19
	global_store_b64 v11, v[0:1], s[0:1]
	s_wait_dscnt 0x2
	v_fma_mix_f32 v0, v4, v16, 0 op_sel_hi:[0,1,0]
	v_fma_mix_f32 v1, v4, v16, 0 op_sel:[0,1,0] op_sel_hi:[0,1,0]
	v_mad_u32_u24 v4, 0xd0, v10, 0
	global_store_b64 v12, v[8:9], s[0:1]
	v_add_nc_u32_e32 v8, 12, v86
	v_mad_u32_u24 v9, 0xd0, v10, v85
	v_fma_mix_f32 v0, v5, v17, v0 op_sel_hi:[0,1,0]
	v_add_nc_u32_e32 v4, 0xc0, v4
	v_fma_mix_f32 v1, v5, v17, v1 op_sel:[0,1,0] op_sel_hi:[0,1,0]
	v_lshlrev_b32_e32 v10, 1, v8
	v_and_b32_e32 v11, 15, v8
	v_add_nc_u32_e32 v12, 0xd80, v19
	ds_load_2addr_stride64_b32 v[4:5], v4 offset1:13
	ds_load_2addr_stride64_b32 v[8:9], v9 offset1:13
	s_wait_dscnt 0x2
	v_fma_mix_f32 v13, v2, v6, 0 op_sel_hi:[0,1,0]
	v_add_nc_u32_e32 v15, 15, v86
	v_and_or_b32 v10, 0x7e0, v10, v11
	v_add_nc_u32_e32 v11, 13, v86
	global_store_b64 v12, v[0:1], s[0:1]
	v_fma_mix_f32 v1, v2, v6, 0 op_sel:[0,1,0] op_sel_hi:[0,1,0]
	v_fma_mix_f32 v0, v3, v7, v13 op_sel_hi:[0,1,0]
	v_mad_u32_u24 v2, 0xd0, v10, 0
	v_lshlrev_b32_e32 v6, 1, v11
	v_and_b32_e32 v11, 15, v11
	v_fma_mix_f32 v1, v3, v7, v1 op_sel:[0,1,0] op_sel_hi:[0,1,0]
	v_add_nc_u32_e32 v3, 0xf00, v19
	v_add_nc_u32_e32 v2, 0xc0, v2
	v_mad_u32_u24 v7, 0xd0, v10, v85
	v_and_or_b32 v6, 0x7e0, v6, v11
	v_add_nc_u32_e32 v10, 14, v86
	global_store_b64 v3, v[0:1], s[0:1]
	ds_load_2addr_stride64_b32 v[0:1], v2 offset1:13
	ds_load_2addr_stride64_b32 v[2:3], v7 offset1:13
	v_add_nc_u32_e32 v16, 0x1080, v19
	v_mad_u32_u24 v7, 0xd0, v6, 0
	v_lshlrev_b32_e32 v11, 1, v10
	v_and_b32_e32 v10, 15, v10
	s_wait_dscnt 0x2
	v_fma_mix_f32 v12, v4, v8, 0 op_sel_hi:[0,1,0]
	v_mad_u32_u24 v13, 0xd0, v6, v85
	v_add_nc_u32_e32 v7, 0xc0, v7
	v_fma_mix_f32 v8, v4, v8, 0 op_sel:[0,1,0] op_sel_hi:[0,1,0]
	v_and_or_b32 v14, 0x7e0, v11, v10
	v_fma_mix_f32 v4, v5, v9, v12 op_sel_hi:[0,1,0]
	ds_load_2addr_stride64_b32 v[6:7], v7 offset1:13
	ds_load_2addr_stride64_b32 v[10:11], v13 offset1:13
	v_lshlrev_b32_e32 v13, 1, v15
	v_mad_u32_u24 v12, 0xd0, v14, 0
	v_and_b32_e32 v15, 15, v15
	v_fma_mix_f32 v5, v5, v9, v8 op_sel:[0,1,0] op_sel_hi:[0,1,0]
	v_add_nc_u32_e32 v26, v89, v91
	s_delay_alu instid0(VALU_DEP_4)
	v_add_nc_u32_e32 v8, 0xc0, v12
	v_mad_u32_u24 v12, 0xd0, v14, v85
	v_and_or_b32 v14, 0x7e0, v13, v15
	s_wait_dscnt 0x2
	v_fma_mix_f32 v15, v0, v2, 0 op_sel_hi:[0,1,0]
	v_fma_mix_f32 v2, v0, v2, 0 op_sel:[0,1,0] op_sel_hi:[0,1,0]
	ds_load_2addr_stride64_b32 v[8:9], v8 offset1:13
	ds_load_2addr_stride64_b32 v[12:13], v12 offset1:13
	global_store_b64 v16, v[4:5], s[0:1]
	v_mad_u32_u24 v17, 0xd0, v14, 0
	v_fma_mix_f32 v0, v1, v3, v15 op_sel_hi:[0,1,0]
	v_fma_mix_f32 v1, v1, v3, v2 op_sel:[0,1,0] op_sel_hi:[0,1,0]
	v_lshlrev_b32_e32 v4, 1, v26
	v_and_b32_e32 v5, 15, v26
	v_add_nc_u32_e32 v2, 0xc0, v17
	v_mad_u32_u24 v14, 0xd0, v14, v85
	v_add_nc_u32_e32 v15, 0x1200, v19
	s_wait_dscnt 0x2
	v_fma_mix_f32 v16, v6, v10, 0 op_sel_hi:[0,1,0]
	v_and_or_b32 v17, 0xfe0, v4, v5
	ds_load_2addr_stride64_b32 v[2:3], v2 offset1:13
	ds_load_2addr_stride64_b32 v[4:5], v14 offset1:13
	v_fma_mix_f32 v6, v6, v10, 0 op_sel:[0,1,0] op_sel_hi:[0,1,0]
	global_store_b64 v15, v[0:1], s[0:1]
	v_mad_u32_u24 v10, 0xd0, v17, 0
	v_mad_u32_u24 v14, 0xd0, v17, v87
	v_fma_mix_f32 v0, v7, v11, v16 op_sel_hi:[0,1,0]
	v_fma_mix_f32 v1, v7, v11, v6 op_sel:[0,1,0] op_sel_hi:[0,1,0]
	v_add_nc_u32_e32 v17, 2, v26
	v_add_nc_u32_e32 v7, 0xc0, v10
	v_add_nc_u32_e32 v14, 0x80, v14
	s_wait_dscnt 0x2
	v_fma_mix_f32 v6, v8, v12, 0 op_sel_hi:[0,1,0]
	v_fma_mix_f32 v8, v8, v12, 0 op_sel:[0,1,0] op_sel_hi:[0,1,0]
	ds_load_2addr_stride64_b32 v[10:11], v7 offset1:13
	ds_load_2addr_stride64_b32 v[14:15], v14 offset1:13
	v_lshlrev_b32_e32 v12, 1, v17
	v_and_b32_e32 v17, 15, v17
	v_add_nc_u32_e32 v16, 0x1380, v19
	v_fma_mix_f32 v6, v9, v13, v6 op_sel_hi:[0,1,0]
	v_fma_mix_f32 v7, v9, v13, v8 op_sel:[0,1,0] op_sel_hi:[0,1,0]
	v_add_nc_u32_e32 v8, 0x1500, v19
	s_wait_dscnt 0x2
	v_fma_mix_f32 v9, v2, v4, 0 op_sel_hi:[0,1,0]
	v_fma_mix_f32 v2, v2, v4, 0 op_sel:[0,1,0] op_sel_hi:[0,1,0]
	v_and_or_b32 v4, 0x1fe0, v12, v17
	s_clause 0x1
	global_store_b64 v16, v[0:1], s[0:1]
	global_store_b64 v8, v[6:7], s[0:1]
	v_add_nc_u32_e32 v6, 0x1680, v19
	v_fma_mix_f32 v0, v3, v5, v9 op_sel_hi:[0,1,0]
	v_fma_mix_f32 v1, v3, v5, v2 op_sel:[0,1,0] op_sel_hi:[0,1,0]
	v_mad_u32_u24 v2, 0xd0, v4, 0
	v_mad_u32_u24 v3, 0xd0, v4, v87
	v_add_nc_u32_e32 v4, 4, v26
	v_add_nc_u32_e32 v13, 6, v26
	v_mul_u32_u24_e32 v7, 48, v26
	v_add_nc_u32_e32 v2, 0xc0, v2
	v_add_nc_u32_e32 v5, 0x80, v3
	v_lshlrev_b32_e32 v8, 1, v4
	v_and_b32_e32 v9, 15, v4
	s_wait_dscnt 0x0
	v_fma_mix_f32 v12, v10, v14, 0 op_sel_hi:[0,1,0]
	ds_load_2addr_stride64_b32 v[2:3], v2 offset1:13
	ds_load_2addr_stride64_b32 v[4:5], v5 offset1:13
	global_store_b64 v6, v[0:1], s[0:1]
	v_or_b32_e32 v6, v7, v88
	v_and_or_b32 v1, 0x1fe0, v8, v9
	v_fma_mix_f32 v8, v10, v14, 0 op_sel:[0,1,0] op_sel_hi:[0,1,0]
	v_fma_mix_f32 v0, v11, v15, v12 op_sel_hi:[0,1,0]
	v_lshlrev_b32_e32 v14, 1, v13
	v_and_b32_e32 v13, 15, v13
	v_mad_u32_u24 v10, 0xd0, v1, 0
	v_mad_u32_u24 v12, 0xd0, v1, v87
	v_fma_mix_f32 v1, v11, v15, v8 op_sel:[0,1,0] op_sel_hi:[0,1,0]
	v_mov_b32_e32 v7, 0
	v_and_or_b32 v17, 0x1fe0, v14, v13
	v_add_nc_u32_e32 v10, 0xc0, v10
	v_add_nc_u32_e32 v12, 0x80, v12
	s_delay_alu instid0(VALU_DEP_4) | instskip(NEXT) | instid1(VALU_DEP_4)
	v_dual_mov_b32 v15, v7 :: v_dual_add_nc_u32 v14, 0x60, v6
	v_mad_u32_u24 v18, 0xd0, v17, 0
	ds_load_2addr_stride64_b32 v[10:11], v10 offset1:13
	ds_load_2addr_stride64_b32 v[12:13], v12 offset1:13
	s_wait_dscnt 0x2
	v_fma_mix_f32 v16, v2, v4, 0 op_sel_hi:[0,1,0]
	v_fma_mix_f32 v4, v2, v4, 0 op_sel:[0,1,0] op_sel_hi:[0,1,0]
	v_lshlrev_b64_e32 v[8:9], 3, v[6:7]
	v_mad_u32_u24 v17, 0xd0, v17, v87
	v_lshlrev_b64_e32 v[14:15], 3, v[14:15]
	v_fma_mix_f32 v2, v3, v5, v16 op_sel_hi:[0,1,0]
	v_add_nc_u32_e32 v16, 0xc0, v18
	v_dual_mov_b32 v19, v7 :: v_dual_add_nc_u32 v18, 8, v26
	s_wait_alu 0xfffe
	v_add_co_u32 v8, vcc_lo, s0, v8
	v_add_nc_u32_e32 v17, 0x80, v17
	s_delay_alu instid0(VALU_DEP_3)
	v_lshlrev_b32_e32 v20, 1, v18
	v_and_b32_e32 v21, 15, v18
	v_add_nc_u32_e32 v18, 0xc0, v6
	s_wait_alu 0xfffd
	v_add_co_ci_u32_e64 v9, null, s1, v9, vcc_lo
	v_fma_mix_f32 v3, v3, v5, v4 op_sel:[0,1,0] op_sel_hi:[0,1,0]
	v_and_or_b32 v20, 0x1fe0, v20, v21
	s_wait_dscnt 0x0
	v_fma_mix_f32 v22, v10, v12, 0 op_sel_hi:[0,1,0]
	v_fma_mix_f32 v12, v10, v12, 0 op_sel:[0,1,0] op_sel_hi:[0,1,0]
	v_add_co_u32 v4, vcc_lo, s0, v14
	s_wait_alu 0xfffd
	v_add_co_ci_u32_e64 v5, null, s1, v15, vcc_lo
	ds_load_2addr_stride64_b32 v[14:15], v16 offset1:13
	ds_load_2addr_stride64_b32 v[16:17], v17 offset1:13
	v_fma_mix_f32 v10, v11, v13, v22 op_sel_hi:[0,1,0]
	v_add_nc_u32_e32 v21, 10, v26
	v_fma_mix_f32 v11, v11, v13, v12 op_sel:[0,1,0] op_sel_hi:[0,1,0]
	v_lshlrev_b64_e32 v[12:13], 3, v[18:19]
	v_mad_u32_u24 v18, 0xd0, v20, 0
	v_mad_u32_u24 v19, 0xd0, v20, v87
	v_lshlrev_b32_e32 v20, 1, v21
	v_and_b32_e32 v21, 15, v21
	v_add_nc_u32_e32 v27, 12, v26
	v_add_nc_u32_e32 v18, 0xc0, v18
	;; [unrolled: 1-line block ×4, first 2 shown]
	v_and_or_b32 v24, 0x1fe0, v20, v21
	ds_load_2addr_stride64_b32 v[18:19], v18 offset1:13
	ds_load_2addr_stride64_b32 v[20:21], v23 offset1:13
	v_lshlrev_b32_e32 v28, 1, v27
	v_and_b32_e32 v27, 15, v27
	v_mad_u32_u24 v25, 0xd0, v24, 0
	v_mad_u32_u24 v24, 0xd0, v24, v87
	s_wait_dscnt 0x2
	v_fma_mix_f32 v22, v14, v16, 0 op_sel_hi:[0,1,0]
	v_fma_mix_f32 v16, v14, v16, 0 op_sel:[0,1,0] op_sel_hi:[0,1,0]
	v_mov_b32_e32 v23, v7
	v_add_nc_u32_e32 v25, 0xc0, v25
	v_and_or_b32 v27, 0x1fe0, v28, v27
	v_fma_mix_f32 v14, v15, v17, v22 op_sel_hi:[0,1,0]
	v_add_nc_u32_e32 v22, 0x120, v6
	v_lshlrev_b32_e32 v30, 1, v26
	v_and_b32_e32 v26, 15, v26
	v_add_nc_u32_e32 v24, 0x80, v24
	v_fma_mix_f32 v15, v15, v17, v16 op_sel:[0,1,0] op_sel_hi:[0,1,0]
	v_lshlrev_b64_e32 v[16:17], 3, v[22:23]
	ds_load_2addr_stride64_b32 v[22:23], v25 offset1:13
	ds_load_2addr_stride64_b32 v[24:25], v24 offset1:13
	v_mad_u32_u24 v29, 0xd0, v27, 0
	s_wait_dscnt 0x2
	v_fma_mix_f32 v28, v18, v20, 0 op_sel_hi:[0,1,0]
	v_and_or_b32 v32, 0x1fe0, v30, v26
	v_mad_u32_u24 v27, 0xd0, v27, v87
	v_fma_mix_f32 v20, v18, v20, 0 op_sel:[0,1,0] op_sel_hi:[0,1,0]
	v_add_nc_u32_e32 v26, 0x180, v6
	v_fma_mix_f32 v18, v19, v21, v28 op_sel_hi:[0,1,0]
	v_add_nc_u32_e32 v28, 0xc0, v29
	v_mad_u32_u24 v33, 0xd0, v32, 0
	v_add_nc_u32_e32 v31, 0x80, v27
	v_mad_u32_u24 v32, 0xd0, v32, v87
	ds_load_2addr_stride64_b32 v[28:29], v28 offset1:13
	ds_load_2addr_stride64_b32 v[30:31], v31 offset1:13
	v_add_nc_u32_e32 v33, 0xc0, v33
	v_dual_mov_b32 v27, v7 :: v_dual_add_nc_u32 v34, 0x80, v32
	ds_load_2addr_stride64_b32 v[32:33], v33 offset1:13
	ds_load_2addr_stride64_b32 v[34:35], v34 offset1:13
	v_fma_mix_f32 v19, v19, v21, v20 op_sel:[0,1,0] op_sel_hi:[0,1,0]
	v_lshlrev_b64_e32 v[20:21], 3, v[26:27]
	s_wait_dscnt 0x4
	v_fma_mix_f32 v36, v22, v24, 0 op_sel_hi:[0,1,0]
	v_fma_mix_f32 v24, v22, v24, 0 op_sel:[0,1,0] op_sel_hi:[0,1,0]
	v_add_nc_u32_e32 v26, 0x1e0, v6
	v_add_co_u32 v12, vcc_lo, s0, v12
	s_delay_alu instid0(VALU_DEP_4) | instskip(NEXT) | instid1(VALU_DEP_4)
	v_fma_mix_f32 v22, v23, v25, v36 op_sel_hi:[0,1,0]
	v_fma_mix_f32 v23, v23, v25, v24 op_sel:[0,1,0] op_sel_hi:[0,1,0]
	s_delay_alu instid0(VALU_DEP_4)
	v_lshlrev_b64_e32 v[24:25], 3, v[26:27]
	v_add_nc_u32_e32 v26, 0x240, v6
	v_add_nc_u32_e32 v6, 0x2a0, v6
	s_wait_alu 0xfffd
	v_add_co_ci_u32_e64 v13, null, s1, v13, vcc_lo
	v_add_co_u32 v16, vcc_lo, s0, v16
	s_wait_dscnt 0x2
	v_fma_mix_f32 v36, v28, v30, 0 op_sel_hi:[0,1,0]
	v_fma_mix_f32 v30, v28, v30, 0 op_sel:[0,1,0] op_sel_hi:[0,1,0]
	v_lshlrev_b64_e32 v[26:27], 3, v[26:27]
	s_wait_alu 0xfffd
	v_add_co_ci_u32_e64 v17, null, s1, v17, vcc_lo
	v_add_co_u32 v20, vcc_lo, s0, v20
	v_lshlrev_b64_e32 v[6:7], 3, v[6:7]
	s_wait_alu 0xfffd
	v_add_co_ci_u32_e64 v21, null, s1, v21, vcc_lo
	v_add_co_u32 v24, vcc_lo, s0, v24
	v_fma_mix_f32 v28, v29, v31, v36 op_sel_hi:[0,1,0]
	v_fma_mix_f32 v29, v29, v31, v30 op_sel:[0,1,0] op_sel_hi:[0,1,0]
	s_wait_dscnt 0x0
	v_fma_mix_f32 v30, v32, v34, 0 op_sel_hi:[0,1,0]
	v_fma_mix_f32 v31, v32, v34, 0 op_sel:[0,1,0] op_sel_hi:[0,1,0]
	s_wait_alu 0xfffd
	v_add_co_ci_u32_e64 v25, null, s1, v25, vcc_lo
	v_add_co_u32 v26, vcc_lo, s0, v26
	s_wait_alu 0xfffd
	v_add_co_ci_u32_e64 v27, null, s1, v27, vcc_lo
	v_add_co_u32 v6, vcc_lo, s0, v6
	v_fma_mix_f32 v30, v33, v35, v30 op_sel_hi:[0,1,0]
	v_fma_mix_f32 v31, v33, v35, v31 op_sel:[0,1,0] op_sel_hi:[0,1,0]
	s_wait_alu 0xfffd
	v_add_co_ci_u32_e64 v7, null, s1, v7, vcc_lo
	s_clause 0x7
	global_store_b64 v[8:9], v[0:1], off offset:256
	global_store_b64 v[4:5], v[2:3], off offset:256
	;; [unrolled: 1-line block ×8, first 2 shown]
.LBB14_445:
	s_wait_alu 0xfffe
	s_or_b32 exec_lo, exec_lo, s2
	s_wait_loadcnt 0x0
	s_wait_storecnt 0x0
	s_barrier_signal -1
	s_barrier_wait -1
	global_inv scope:SCOPE_SE
	s_endpgm
	.section	.rodata,"a",@progbits
	.p2align	6, 0x0
	.amdhsa_kernel _ZL18flash_attn_ext_f16ILi96ELi96ELi8ELi2ELb0ELb0EEvPKcS1_S1_S1_S1_PKiPfP15HIP_vector_typeIfLj2EEffffjfiS5_IjLj3EEiiiiiiiiiiiliiliiiiil
		.amdhsa_group_segment_fixed_size 0
		.amdhsa_private_segment_fixed_size 192
		.amdhsa_kernarg_size 464
		.amdhsa_user_sgpr_count 2
		.amdhsa_user_sgpr_dispatch_ptr 0
		.amdhsa_user_sgpr_queue_ptr 0
		.amdhsa_user_sgpr_kernarg_segment_ptr 1
		.amdhsa_user_sgpr_dispatch_id 0
		.amdhsa_user_sgpr_private_segment_size 0
		.amdhsa_wavefront_size32 1
		.amdhsa_uses_dynamic_stack 0
		.amdhsa_enable_private_segment 1
		.amdhsa_system_sgpr_workgroup_id_x 1
		.amdhsa_system_sgpr_workgroup_id_y 0
		.amdhsa_system_sgpr_workgroup_id_z 0
		.amdhsa_system_sgpr_workgroup_info 0
		.amdhsa_system_vgpr_workitem_id 1
		.amdhsa_next_free_vgpr 256
		.amdhsa_next_free_sgpr 105
		.amdhsa_reserve_vcc 1
		.amdhsa_float_round_mode_32 0
		.amdhsa_float_round_mode_16_64 0
		.amdhsa_float_denorm_mode_32 3
		.amdhsa_float_denorm_mode_16_64 3
		.amdhsa_fp16_overflow 0
		.amdhsa_workgroup_processor_mode 1
		.amdhsa_memory_ordered 1
		.amdhsa_forward_progress 1
		.amdhsa_inst_pref_size 255
		.amdhsa_round_robin_scheduling 0
		.amdhsa_exception_fp_ieee_invalid_op 0
		.amdhsa_exception_fp_denorm_src 0
		.amdhsa_exception_fp_ieee_div_zero 0
		.amdhsa_exception_fp_ieee_overflow 0
		.amdhsa_exception_fp_ieee_underflow 0
		.amdhsa_exception_fp_ieee_inexact 0
		.amdhsa_exception_int_div_zero 0
	.end_amdhsa_kernel
	.section	.text._ZL18flash_attn_ext_f16ILi96ELi96ELi8ELi2ELb0ELb0EEvPKcS1_S1_S1_S1_PKiPfP15HIP_vector_typeIfLj2EEffffjfiS5_IjLj3EEiiiiiiiiiiiliiliiiiil,"axG",@progbits,_ZL18flash_attn_ext_f16ILi96ELi96ELi8ELi2ELb0ELb0EEvPKcS1_S1_S1_S1_PKiPfP15HIP_vector_typeIfLj2EEffffjfiS5_IjLj3EEiiiiiiiiiiiliiliiiiil,comdat
.Lfunc_end14:
	.size	_ZL18flash_attn_ext_f16ILi96ELi96ELi8ELi2ELb0ELb0EEvPKcS1_S1_S1_S1_PKiPfP15HIP_vector_typeIfLj2EEffffjfiS5_IjLj3EEiiiiiiiiiiiliiliiiiil, .Lfunc_end14-_ZL18flash_attn_ext_f16ILi96ELi96ELi8ELi2ELb0ELb0EEvPKcS1_S1_S1_S1_PKiPfP15HIP_vector_typeIfLj2EEffffjfiS5_IjLj3EEiiiiiiiiiiiliiliiiiil
                                        ; -- End function
	.set _ZL18flash_attn_ext_f16ILi96ELi96ELi8ELi2ELb0ELb0EEvPKcS1_S1_S1_S1_PKiPfP15HIP_vector_typeIfLj2EEffffjfiS5_IjLj3EEiiiiiiiiiiiliiliiiiil.num_vgpr, 256
	.set _ZL18flash_attn_ext_f16ILi96ELi96ELi8ELi2ELb0ELb0EEvPKcS1_S1_S1_S1_PKiPfP15HIP_vector_typeIfLj2EEffffjfiS5_IjLj3EEiiiiiiiiiiiliiliiiiil.num_agpr, 0
	.set _ZL18flash_attn_ext_f16ILi96ELi96ELi8ELi2ELb0ELb0EEvPKcS1_S1_S1_S1_PKiPfP15HIP_vector_typeIfLj2EEffffjfiS5_IjLj3EEiiiiiiiiiiiliiliiiiil.numbered_sgpr, 105
	.set _ZL18flash_attn_ext_f16ILi96ELi96ELi8ELi2ELb0ELb0EEvPKcS1_S1_S1_S1_PKiPfP15HIP_vector_typeIfLj2EEffffjfiS5_IjLj3EEiiiiiiiiiiiliiliiiiil.num_named_barrier, 0
	.set _ZL18flash_attn_ext_f16ILi96ELi96ELi8ELi2ELb0ELb0EEvPKcS1_S1_S1_S1_PKiPfP15HIP_vector_typeIfLj2EEffffjfiS5_IjLj3EEiiiiiiiiiiiliiliiiiil.private_seg_size, 192
	.set _ZL18flash_attn_ext_f16ILi96ELi96ELi8ELi2ELb0ELb0EEvPKcS1_S1_S1_S1_PKiPfP15HIP_vector_typeIfLj2EEffffjfiS5_IjLj3EEiiiiiiiiiiiliiliiiiil.uses_vcc, 1
	.set _ZL18flash_attn_ext_f16ILi96ELi96ELi8ELi2ELb0ELb0EEvPKcS1_S1_S1_S1_PKiPfP15HIP_vector_typeIfLj2EEffffjfiS5_IjLj3EEiiiiiiiiiiiliiliiiiil.uses_flat_scratch, 1
	.set _ZL18flash_attn_ext_f16ILi96ELi96ELi8ELi2ELb0ELb0EEvPKcS1_S1_S1_S1_PKiPfP15HIP_vector_typeIfLj2EEffffjfiS5_IjLj3EEiiiiiiiiiiiliiliiiiil.has_dyn_sized_stack, 0
	.set _ZL18flash_attn_ext_f16ILi96ELi96ELi8ELi2ELb0ELb0EEvPKcS1_S1_S1_S1_PKiPfP15HIP_vector_typeIfLj2EEffffjfiS5_IjLj3EEiiiiiiiiiiiliiliiiiil.has_recursion, 0
	.set _ZL18flash_attn_ext_f16ILi96ELi96ELi8ELi2ELb0ELb0EEvPKcS1_S1_S1_S1_PKiPfP15HIP_vector_typeIfLj2EEffffjfiS5_IjLj3EEiiiiiiiiiiiliiliiiiil.has_indirect_call, 0
	.section	.AMDGPU.csdata,"",@progbits
; Kernel info:
; codeLenInByte = 62596
; TotalNumSgprs: 107
; NumVgprs: 256
; ScratchSize: 192
; MemoryBound: 0
; FloatMode: 240
; IeeeMode: 1
; LDSByteSize: 0 bytes/workgroup (compile time only)
; SGPRBlocks: 0
; VGPRBlocks: 31
; NumSGPRsForWavesPerEU: 107
; NumVGPRsForWavesPerEU: 256
; Occupancy: 5
; WaveLimiterHint : 1
; COMPUTE_PGM_RSRC2:SCRATCH_EN: 1
; COMPUTE_PGM_RSRC2:USER_SGPR: 2
; COMPUTE_PGM_RSRC2:TRAP_HANDLER: 0
; COMPUTE_PGM_RSRC2:TGID_X_EN: 1
; COMPUTE_PGM_RSRC2:TGID_Y_EN: 0
; COMPUTE_PGM_RSRC2:TGID_Z_EN: 0
; COMPUTE_PGM_RSRC2:TIDIG_COMP_CNT: 1
	.section	.text._ZL18flash_attn_ext_f16ILi96ELi96ELi8ELi2ELb1ELb0EEvPKcS1_S1_S1_S1_PKiPfP15HIP_vector_typeIfLj2EEffffjfiS5_IjLj3EEiiiiiiiiiiiliiliiiiil,"axG",@progbits,_ZL18flash_attn_ext_f16ILi96ELi96ELi8ELi2ELb1ELb0EEvPKcS1_S1_S1_S1_PKiPfP15HIP_vector_typeIfLj2EEffffjfiS5_IjLj3EEiiiiiiiiiiiliiliiiiil,comdat
	.globl	_ZL18flash_attn_ext_f16ILi96ELi96ELi8ELi2ELb1ELb0EEvPKcS1_S1_S1_S1_PKiPfP15HIP_vector_typeIfLj2EEffffjfiS5_IjLj3EEiiiiiiiiiiiliiliiiiil ; -- Begin function _ZL18flash_attn_ext_f16ILi96ELi96ELi8ELi2ELb1ELb0EEvPKcS1_S1_S1_S1_PKiPfP15HIP_vector_typeIfLj2EEffffjfiS5_IjLj3EEiiiiiiiiiiiliiliiiiil
	.p2align	8
	.type	_ZL18flash_attn_ext_f16ILi96ELi96ELi8ELi2ELb1ELb0EEvPKcS1_S1_S1_S1_PKiPfP15HIP_vector_typeIfLj2EEffffjfiS5_IjLj3EEiiiiiiiiiiiliiliiiiil,@function
_ZL18flash_attn_ext_f16ILi96ELi96ELi8ELi2ELb1ELb0EEvPKcS1_S1_S1_S1_PKiPfP15HIP_vector_typeIfLj2EEffffjfiS5_IjLj3EEiiiiiiiiiiiliiliiiiil: ; @_ZL18flash_attn_ext_f16ILi96ELi96ELi8ELi2ELb1ELb0EEvPKcS1_S1_S1_S1_PKiPfP15HIP_vector_typeIfLj2EEffffjfiS5_IjLj3EEiiiiiiiiiiiliiliiiiil
; %bb.0:
	v_mov_b32_e32 v0, 0x6cc
	s_add_nc_u64 s[8:9], s[0:1], 0xd0
	s_getpc_b64 s[0:1]
	s_sext_i32_i16 s1, s1
	s_add_co_u32 s0, s0, _ZL14no_device_codePKciS0_iS0_@rel32@lo+8
	s_add_co_ci_u32 s1, s1, _ZL14no_device_codePKciS0_iS0_@rel32@hi+16
	s_mov_b32 s32, 0
	s_swappc_b64 s[30:31], s[0:1]
	.section	.rodata,"a",@progbits
	.p2align	6, 0x0
	.amdhsa_kernel _ZL18flash_attn_ext_f16ILi96ELi96ELi8ELi2ELb1ELb0EEvPKcS1_S1_S1_S1_PKiPfP15HIP_vector_typeIfLj2EEffffjfiS5_IjLj3EEiiiiiiiiiiiliiliiiiil
		.amdhsa_group_segment_fixed_size 0
		.amdhsa_private_segment_fixed_size 16
		.amdhsa_kernarg_size 464
		.amdhsa_user_sgpr_count 2
		.amdhsa_user_sgpr_dispatch_ptr 0
		.amdhsa_user_sgpr_queue_ptr 0
		.amdhsa_user_sgpr_kernarg_segment_ptr 1
		.amdhsa_user_sgpr_dispatch_id 0
		.amdhsa_user_sgpr_private_segment_size 0
		.amdhsa_wavefront_size32 1
		.amdhsa_uses_dynamic_stack 0
		.amdhsa_enable_private_segment 1
		.amdhsa_system_sgpr_workgroup_id_x 1
		.amdhsa_system_sgpr_workgroup_id_y 0
		.amdhsa_system_sgpr_workgroup_id_z 0
		.amdhsa_system_sgpr_workgroup_info 0
		.amdhsa_system_vgpr_workitem_id 0
		.amdhsa_next_free_vgpr 40
		.amdhsa_next_free_sgpr 34
		.amdhsa_reserve_vcc 1
		.amdhsa_float_round_mode_32 0
		.amdhsa_float_round_mode_16_64 0
		.amdhsa_float_denorm_mode_32 3
		.amdhsa_float_denorm_mode_16_64 3
		.amdhsa_fp16_overflow 0
		.amdhsa_workgroup_processor_mode 1
		.amdhsa_memory_ordered 1
		.amdhsa_forward_progress 1
		.amdhsa_inst_pref_size 1
		.amdhsa_round_robin_scheduling 0
		.amdhsa_exception_fp_ieee_invalid_op 0
		.amdhsa_exception_fp_denorm_src 0
		.amdhsa_exception_fp_ieee_div_zero 0
		.amdhsa_exception_fp_ieee_overflow 0
		.amdhsa_exception_fp_ieee_underflow 0
		.amdhsa_exception_fp_ieee_inexact 0
		.amdhsa_exception_int_div_zero 0
	.end_amdhsa_kernel
	.section	.text._ZL18flash_attn_ext_f16ILi96ELi96ELi8ELi2ELb1ELb0EEvPKcS1_S1_S1_S1_PKiPfP15HIP_vector_typeIfLj2EEffffjfiS5_IjLj3EEiiiiiiiiiiiliiliiiiil,"axG",@progbits,_ZL18flash_attn_ext_f16ILi96ELi96ELi8ELi2ELb1ELb0EEvPKcS1_S1_S1_S1_PKiPfP15HIP_vector_typeIfLj2EEffffjfiS5_IjLj3EEiiiiiiiiiiiliiliiiiil,comdat
.Lfunc_end15:
	.size	_ZL18flash_attn_ext_f16ILi96ELi96ELi8ELi2ELb1ELb0EEvPKcS1_S1_S1_S1_PKiPfP15HIP_vector_typeIfLj2EEffffjfiS5_IjLj3EEiiiiiiiiiiiliiliiiiil, .Lfunc_end15-_ZL18flash_attn_ext_f16ILi96ELi96ELi8ELi2ELb1ELb0EEvPKcS1_S1_S1_S1_PKiPfP15HIP_vector_typeIfLj2EEffffjfiS5_IjLj3EEiiiiiiiiiiiliiliiiiil
                                        ; -- End function
	.set _ZL18flash_attn_ext_f16ILi96ELi96ELi8ELi2ELb1ELb0EEvPKcS1_S1_S1_S1_PKiPfP15HIP_vector_typeIfLj2EEffffjfiS5_IjLj3EEiiiiiiiiiiiliiliiiiil.num_vgpr, max(1, .L_ZL14no_device_codePKciS0_iS0_.num_vgpr)
	.set _ZL18flash_attn_ext_f16ILi96ELi96ELi8ELi2ELb1ELb0EEvPKcS1_S1_S1_S1_PKiPfP15HIP_vector_typeIfLj2EEffffjfiS5_IjLj3EEiiiiiiiiiiiliiliiiiil.num_agpr, max(0, .L_ZL14no_device_codePKciS0_iS0_.num_agpr)
	.set _ZL18flash_attn_ext_f16ILi96ELi96ELi8ELi2ELb1ELb0EEvPKcS1_S1_S1_S1_PKiPfP15HIP_vector_typeIfLj2EEffffjfiS5_IjLj3EEiiiiiiiiiiiliiliiiiil.numbered_sgpr, max(33, .L_ZL14no_device_codePKciS0_iS0_.numbered_sgpr)
	.set _ZL18flash_attn_ext_f16ILi96ELi96ELi8ELi2ELb1ELb0EEvPKcS1_S1_S1_S1_PKiPfP15HIP_vector_typeIfLj2EEffffjfiS5_IjLj3EEiiiiiiiiiiiliiliiiiil.num_named_barrier, max(0, .L_ZL14no_device_codePKciS0_iS0_.num_named_barrier)
	.set _ZL18flash_attn_ext_f16ILi96ELi96ELi8ELi2ELb1ELb0EEvPKcS1_S1_S1_S1_PKiPfP15HIP_vector_typeIfLj2EEffffjfiS5_IjLj3EEiiiiiiiiiiiliiliiiiil.private_seg_size, 0+max(.L_ZL14no_device_codePKciS0_iS0_.private_seg_size)
	.set _ZL18flash_attn_ext_f16ILi96ELi96ELi8ELi2ELb1ELb0EEvPKcS1_S1_S1_S1_PKiPfP15HIP_vector_typeIfLj2EEffffjfiS5_IjLj3EEiiiiiiiiiiiliiliiiiil.uses_vcc, or(1, .L_ZL14no_device_codePKciS0_iS0_.uses_vcc)
	.set _ZL18flash_attn_ext_f16ILi96ELi96ELi8ELi2ELb1ELb0EEvPKcS1_S1_S1_S1_PKiPfP15HIP_vector_typeIfLj2EEffffjfiS5_IjLj3EEiiiiiiiiiiiliiliiiiil.uses_flat_scratch, or(0, .L_ZL14no_device_codePKciS0_iS0_.uses_flat_scratch)
	.set _ZL18flash_attn_ext_f16ILi96ELi96ELi8ELi2ELb1ELb0EEvPKcS1_S1_S1_S1_PKiPfP15HIP_vector_typeIfLj2EEffffjfiS5_IjLj3EEiiiiiiiiiiiliiliiiiil.has_dyn_sized_stack, or(0, .L_ZL14no_device_codePKciS0_iS0_.has_dyn_sized_stack)
	.set _ZL18flash_attn_ext_f16ILi96ELi96ELi8ELi2ELb1ELb0EEvPKcS1_S1_S1_S1_PKiPfP15HIP_vector_typeIfLj2EEffffjfiS5_IjLj3EEiiiiiiiiiiiliiliiiiil.has_recursion, or(0, .L_ZL14no_device_codePKciS0_iS0_.has_recursion)
	.set _ZL18flash_attn_ext_f16ILi96ELi96ELi8ELi2ELb1ELb0EEvPKcS1_S1_S1_S1_PKiPfP15HIP_vector_typeIfLj2EEffffjfiS5_IjLj3EEiiiiiiiiiiiliiliiiiil.has_indirect_call, or(0, .L_ZL14no_device_codePKciS0_iS0_.has_indirect_call)
	.section	.AMDGPU.csdata,"",@progbits
; Kernel info:
; codeLenInByte = 48
; TotalNumSgprs: 36
; NumVgprs: 40
; ScratchSize: 16
; MemoryBound: 0
; FloatMode: 240
; IeeeMode: 1
; LDSByteSize: 0 bytes/workgroup (compile time only)
; SGPRBlocks: 0
; VGPRBlocks: 4
; NumSGPRsForWavesPerEU: 36
; NumVGPRsForWavesPerEU: 40
; Occupancy: 16
; WaveLimiterHint : 1
; COMPUTE_PGM_RSRC2:SCRATCH_EN: 1
; COMPUTE_PGM_RSRC2:USER_SGPR: 2
; COMPUTE_PGM_RSRC2:TRAP_HANDLER: 0
; COMPUTE_PGM_RSRC2:TGID_X_EN: 1
; COMPUTE_PGM_RSRC2:TGID_Y_EN: 0
; COMPUTE_PGM_RSRC2:TGID_Z_EN: 0
; COMPUTE_PGM_RSRC2:TIDIG_COMP_CNT: 0
	.section	.text._ZL33flash_attn_stream_k_fixup_uniformILi96ELi8ELi2EEvPfPK15HIP_vector_typeIfLj2EEiiiiiiS1_IjLj3EES5_S5_,"axG",@progbits,_ZL33flash_attn_stream_k_fixup_uniformILi96ELi8ELi2EEvPfPK15HIP_vector_typeIfLj2EEiiiiiiS1_IjLj3EES5_S5_,comdat
	.globl	_ZL33flash_attn_stream_k_fixup_uniformILi96ELi8ELi2EEvPfPK15HIP_vector_typeIfLj2EEiiiiiiS1_IjLj3EES5_S5_ ; -- Begin function _ZL33flash_attn_stream_k_fixup_uniformILi96ELi8ELi2EEvPfPK15HIP_vector_typeIfLj2EEiiiiiiS1_IjLj3EES5_S5_
	.p2align	8
	.type	_ZL33flash_attn_stream_k_fixup_uniformILi96ELi8ELi2EEvPfPK15HIP_vector_typeIfLj2EEiiiiiiS1_IjLj3EES5_S5_,@function
_ZL33flash_attn_stream_k_fixup_uniformILi96ELi8ELi2EEvPfPK15HIP_vector_typeIfLj2EEiiiiiiS1_IjLj3EES5_S5_: ; @_ZL33flash_attn_stream_k_fixup_uniformILi96ELi8ELi2EEvPfPK15HIP_vector_typeIfLj2EEiiiiiiS1_IjLj3EES5_S5_
; %bb.0:
	s_clause 0x1
	s_load_b256 s[4:11], s[0:1], 0x1c
	s_load_b128 s[12:15], s[0:1], 0x3c
	s_wait_kmcnt 0x0
	s_mul_hi_u32 s2, s7, ttmp9
	s_delay_alu instid0(SALU_CYCLE_1) | instskip(NEXT) | instid1(SALU_CYCLE_1)
	s_add_co_i32 s2, ttmp9, s2
	s_lshr_b32 s2, s2, s8
	s_delay_alu instid0(SALU_CYCLE_1) | instskip(SKIP_2) | instid1(SALU_CYCLE_1)
	s_mul_i32 s3, s2, s9
	s_load_b64 s[8:9], s[0:1], 0x10
	s_sub_co_i32 s3, ttmp9, s3
	s_mul_hi_u32 s7, s3, s10
	s_delay_alu instid0(SALU_CYCLE_1) | instskip(NEXT) | instid1(SALU_CYCLE_1)
	s_add_co_i32 s7, s3, s7
	s_lshr_b32 s7, s7, s11
	s_lshr_b32 s11, ttmp7, 16
	s_mul_i32 s10, s7, s12
	s_delay_alu instid0(SALU_CYCLE_1) | instskip(NEXT) | instid1(SALU_CYCLE_1)
	s_sub_co_i32 s3, s3, s10
	s_mul_hi_u32 s10, s3, s13
	s_delay_alu instid0(SALU_CYCLE_1) | instskip(NEXT) | instid1(SALU_CYCLE_1)
	s_add_co_i32 s10, s3, s10
	s_lshr_b32 s13, s10, s14
	s_delay_alu instid0(SALU_CYCLE_1) | instskip(SKIP_4) | instid1(SALU_CYCLE_1)
	s_mul_i32 s10, s13, s15
	s_lshl_b32 s13, s13, 1
	s_sub_co_i32 s12, s3, s10
	s_and_b32 s10, ttmp7, 0xffff
	s_lshl_b32 s3, s12, 3
	s_add_co_i32 s3, s3, s10
	s_wait_kmcnt 0x0
	s_cmp_lt_i32 s3, s8
	s_cselect_b32 s3, -1, 0
	s_add_co_i32 s13, s13, s11
	s_delay_alu instid0(SALU_CYCLE_1) | instskip(SKIP_1) | instid1(SALU_CYCLE_1)
	s_cmp_lt_i32 s13, s5
	s_cselect_b32 s14, -1, 0
	s_and_b32 s3, s3, s14
	s_delay_alu instid0(SALU_CYCLE_1)
	s_and_not1_b32 vcc_lo, exec_lo, s3
	s_cbranch_vccnz .LBB16_6
; %bb.1:
	s_mul_i32 s8, s2, s8
	s_mul_i32 s7, s7, s5
	s_add_co_i32 s8, s8, s10
	s_add_co_i32 s5, s13, s7
	s_mul_i32 s8, s8, s9
	s_load_b128 s[0:3], s[0:1], 0x0
	s_mul_i32 s7, s9, s12
	s_add_co_i32 s5, s5, s8
	s_mulk_i32 s7, 0x300
	s_mulk_i32 s5, 0x60
	s_mul_i32 s8, s6, ttmp9
	v_add3_u32 v1, s5, s7, v0
	s_lshl_b32 s5, s10, 1
	s_add_co_i32 s9, s8, s6
	s_delay_alu instid0(SALU_CYCLE_1) | instskip(NEXT) | instid1(VALU_DEP_1)
	s_add_co_i32 s7, s9, -2
	v_ashrrev_i32_e32 v2, 31, v1
	s_delay_alu instid0(VALU_DEP_1) | instskip(SKIP_1) | instid1(VALU_DEP_1)
	v_lshlrev_b64_e32 v[1:2], 2, v[1:2]
	s_wait_kmcnt 0x0
	v_add_co_u32 v1, vcc_lo, s0, v1
	s_delay_alu instid0(VALU_DEP_1)
	v_add_co_ci_u32_e64 v2, null, s1, v2, vcc_lo
	s_wait_alu 0xfffe
	s_add_co_i32 s0, s5, s11
	s_lshl_b32 s1, s9, 4
	global_load_b32 v5, v[1:2], off
	s_wait_alu 0xfffe
	s_add_co_i32 s0, s0, s1
	s_wait_alu 0xfffe
	s_add_co_i32 s0, s0, -16
	s_wait_alu 0xfffe
	s_ashr_i32 s1, s0, 31
	s_wait_alu 0xfffe
	s_lshl_b64 s[0:1], s[0:1], 3
	s_cmp_lt_i32 s7, s8
	s_wait_alu 0xfffe
	s_add_nc_u64 s[0:1], s[2:3], s[0:1]
	s_load_b32 s12, s[0:1], 0x4
	s_cbranch_scc1 .LBB16_4
; %bb.2:
	s_load_b32 s0, s[0:1], 0x0
	s_add_co_i32 s1, ttmp9, 1
	s_mulk_i32 s10, 0xc0
	s_wait_alu 0xfffe
	s_mul_i32 s1, s6, s1
	s_lshl_b32 s14, s4, 6
	s_wait_alu 0xfffe
	s_lshl_b32 s13, s1, 4
	s_mulk_i32 s1, 0x600
	s_add_co_i32 s13, s11, s13
	s_mulk_i32 s11, 0x60
	s_lshl_b32 s4, s4, 4
	s_add_co_i32 s10, s11, s10
	s_ashr_i32 s15, s14, 31
	s_wait_alu 0xfffe
	s_add_co_i32 s10, s10, s1
	s_add_co_i32 s1, s13, s4
	v_add3_u32 v3, s10, v0, 0xfffff400
	s_wait_kmcnt 0x0
	v_mov_b32_e32 v6, s12
	s_lshl_b64 s[6:7], s[14:15], 2
	s_wait_alu 0xfffe
	s_add_co_i32 s4, s1, s5
	s_add_nc_u64 s[6:7], s[2:3], s[6:7]
	s_add_co_i32 s1, s9, -1
	s_wait_alu 0xfffe
	s_sub_co_i32 s4, s4, 32
.LBB16_3:                               ; =>This Inner Loop Header: Depth=1
	v_ashrrev_i32_e32 v4, 31, v3
	s_wait_alu 0xfffe
	s_ashr_i32 s5, s4, 31
	v_mov_b32_e32 v10, v6
	s_wait_alu 0xfffe
	s_lshl_b64 s[10:11], s[4:5], 3
	s_wait_loadcnt 0x0
	v_mov_b32_e32 v9, v5
	v_lshlrev_b64_e32 v[7:8], 2, v[3:4]
	s_wait_alu 0xfffe
	s_add_nc_u64 s[10:11], s[2:3], s[10:11]
	v_max_num_f32_e64 v4, s0, s0
	s_load_b64 s[10:11], s[10:11], 0x0
	v_add_nc_u32_e32 v3, 0xfffffa00, v3
	v_add_co_u32 v7, vcc_lo, s6, v7
	s_wait_alu 0xfffd
	v_add_co_ci_u32_e64 v8, null, s7, v8, vcc_lo
	v_readfirstlane_b32 s5, v4
	global_load_b32 v0, v[7:8], off
	s_wait_kmcnt 0x0
	v_max_num_f32_e64 v4, s10, s10
	s_delay_alu instid0(VALU_DEP_1) | instskip(SKIP_2) | instid1(SALU_CYCLE_2)
	v_readfirstlane_b32 s9, v4
	s_max_num_f32 s5, s5, s9
	s_wait_alu 0xfffe
	s_sub_f32 s0, s0, s5
	s_sub_f32 s9, s10, s5
	s_wait_alu 0xfffe
	s_delay_alu instid0(SALU_CYCLE_1) | instskip(NEXT) | instid1(SALU_CYCLE_1)
	s_mul_f32 s10, s0, 0x3fb8aa3b
	s_mul_f32 s12, s9, 0x3fb8aa3b
	s_wait_alu 0xfffe
	s_delay_alu instid0(SALU_CYCLE_1)
	s_xor_b32 s13, s10, 0x80000000
	s_rndne_f32 s14, s10
	s_wait_alu 0xfffe
	s_fmamk_f32 s13, s0, 0x3fb8aa3b, s13
	s_cmp_nlt_f32 s0, 0xc2ce8ed0
	s_rndne_f32 s15, s12
	s_sub_f32 s10, s10, s14
	s_wait_alu 0xfffe
	s_fmamk_f32 s13, s0, 0x32a5705f, s13
	s_cvt_i32_f32 s14, s14
	s_cselect_b32 vcc_lo, -1, 0
	s_cmp_ngt_f32 s0, 0x42b17218
	s_wait_alu 0xfffe
	s_add_f32 s10, s10, s13
	s_sub_f32 s13, s12, s15
	s_wait_alu 0xfffe
	s_delay_alu instid0(SALU_CYCLE_1) | instskip(SKIP_1) | instid1(TRANS32_DEP_1)
	v_s_exp_f32 s10, s10
	s_wait_alu 0xf1ff
	v_ldexp_f32 v4, s10, s14
	s_cvt_i32_f32 s10, s15
	s_delay_alu instid0(VALU_DEP_1) | instskip(SKIP_3) | instid1(VALU_DEP_1)
	v_cndmask_b32_e32 v4, 0, v4, vcc_lo
	s_cselect_b32 vcc_lo, -1, 0
	s_cmp_ge_f32 s0, 0xc1a00000
	s_wait_alu 0xfffe
	v_cndmask_b32_e32 v4, 0x7f800000, v4, vcc_lo
	s_cselect_b32 vcc_lo, -1, 0
	s_xor_b32 s0, s12, 0x80000000
	s_cmp_nlt_f32 s9, 0xc2ce8ed0
	s_wait_alu 0xfffe
	s_fmamk_f32 s0, s9, 0x3fb8aa3b, s0
	s_wait_alu 0xfffe
	s_delay_alu instid0(SALU_CYCLE_2) | instskip(SKIP_1) | instid1(SALU_CYCLE_2)
	s_fmamk_f32 s0, s9, 0x32a5705f, s0
	s_wait_alu 0xfffe
	s_add_f32 s0, s13, s0
	s_wait_alu 0xfffe
	s_delay_alu instid0(SALU_CYCLE_2) | instskip(SKIP_1) | instid1(TRANS32_DEP_1)
	v_s_exp_f32 s0, s0
	s_wait_alu 0xf1ff
	v_ldexp_f32 v7, s0, s10
	s_cselect_b32 s0, -1, 0
	s_cmp_ngt_f32 s9, 0x42b17218
	s_wait_alu 0xfffe
	s_delay_alu instid0(VALU_DEP_1) | instskip(SKIP_3) | instid1(VALU_DEP_1)
	v_cndmask_b32_e64 v7, 0, v7, s0
	s_cselect_b32 s0, -1, 0
	s_cmp_ge_f32 s9, 0xc1a00000
	s_wait_alu 0xfffe
	v_cndmask_b32_e64 v7, 0x7f800000, v7, s0
	s_cselect_b32 s0, -1, 0
	s_add_co_i32 s1, s1, -1
	s_add_co_i32 s4, s4, -16
	s_wait_alu 0xfffe
	s_cmp_le_i32 s1, s8
	v_cndmask_b32_e64 v7, 0, v7, s0
	s_mov_b32 s0, s5
	s_wait_loadcnt 0x0
	s_delay_alu instid0(VALU_DEP_1) | instskip(NEXT) | instid1(VALU_DEP_1)
	v_dual_mul_f32 v5, v0, v7 :: v_dual_cndmask_b32 v4, 0, v4
	v_dual_mul_f32 v8, s11, v7 :: v_dual_fmac_f32 v5, v9, v4
	s_delay_alu instid0(VALU_DEP_1) | instskip(NEXT) | instid1(VALU_DEP_1)
	v_mov_b32_e32 v6, v8
	v_fmac_f32_e32 v6, v10, v4
	s_cbranch_scc0 .LBB16_3
	s_branch .LBB16_5
.LBB16_4:
	s_wait_kmcnt 0x0
	v_mov_b32_e32 v6, s12
.LBB16_5:
	s_wait_loadcnt 0x0
	s_delay_alu instid0(VALU_DEP_1) | instskip(NEXT) | instid1(VALU_DEP_1)
	v_div_scale_f32 v0, null, v6, v6, v5
	v_rcp_f32_e32 v3, v0
	s_delay_alu instid0(TRANS32_DEP_1) | instskip(NEXT) | instid1(VALU_DEP_1)
	v_fma_f32 v4, -v0, v3, 1.0
	v_fmac_f32_e32 v3, v4, v3
	v_div_scale_f32 v4, vcc_lo, v5, v6, v5
	s_delay_alu instid0(VALU_DEP_1) | instskip(NEXT) | instid1(VALU_DEP_1)
	v_mul_f32_e32 v7, v4, v3
	v_fma_f32 v8, -v0, v7, v4
	s_delay_alu instid0(VALU_DEP_1) | instskip(NEXT) | instid1(VALU_DEP_1)
	v_fmac_f32_e32 v7, v8, v3
	v_fma_f32 v0, -v0, v7, v4
	s_wait_alu 0xfffd
	s_delay_alu instid0(VALU_DEP_1) | instskip(NEXT) | instid1(VALU_DEP_1)
	v_div_fmas_f32 v0, v0, v3, v7
	v_div_fixup_f32 v0, v0, v6, v5
	global_store_b32 v[1:2], v0, off
.LBB16_6:
	s_endpgm
	.section	.rodata,"a",@progbits
	.p2align	6, 0x0
	.amdhsa_kernel _ZL33flash_attn_stream_k_fixup_uniformILi96ELi8ELi2EEvPfPK15HIP_vector_typeIfLj2EEiiiiiiS1_IjLj3EES5_S5_
		.amdhsa_group_segment_fixed_size 0
		.amdhsa_private_segment_fixed_size 0
		.amdhsa_kernarg_size 76
		.amdhsa_user_sgpr_count 2
		.amdhsa_user_sgpr_dispatch_ptr 0
		.amdhsa_user_sgpr_queue_ptr 0
		.amdhsa_user_sgpr_kernarg_segment_ptr 1
		.amdhsa_user_sgpr_dispatch_id 0
		.amdhsa_user_sgpr_private_segment_size 0
		.amdhsa_wavefront_size32 1
		.amdhsa_uses_dynamic_stack 0
		.amdhsa_enable_private_segment 0
		.amdhsa_system_sgpr_workgroup_id_x 1
		.amdhsa_system_sgpr_workgroup_id_y 1
		.amdhsa_system_sgpr_workgroup_id_z 1
		.amdhsa_system_sgpr_workgroup_info 0
		.amdhsa_system_vgpr_workitem_id 0
		.amdhsa_next_free_vgpr 11
		.amdhsa_next_free_sgpr 16
		.amdhsa_reserve_vcc 1
		.amdhsa_float_round_mode_32 0
		.amdhsa_float_round_mode_16_64 0
		.amdhsa_float_denorm_mode_32 3
		.amdhsa_float_denorm_mode_16_64 3
		.amdhsa_fp16_overflow 0
		.amdhsa_workgroup_processor_mode 1
		.amdhsa_memory_ordered 1
		.amdhsa_forward_progress 1
		.amdhsa_inst_pref_size 9
		.amdhsa_round_robin_scheduling 0
		.amdhsa_exception_fp_ieee_invalid_op 0
		.amdhsa_exception_fp_denorm_src 0
		.amdhsa_exception_fp_ieee_div_zero 0
		.amdhsa_exception_fp_ieee_overflow 0
		.amdhsa_exception_fp_ieee_underflow 0
		.amdhsa_exception_fp_ieee_inexact 0
		.amdhsa_exception_int_div_zero 0
	.end_amdhsa_kernel
	.section	.text._ZL33flash_attn_stream_k_fixup_uniformILi96ELi8ELi2EEvPfPK15HIP_vector_typeIfLj2EEiiiiiiS1_IjLj3EES5_S5_,"axG",@progbits,_ZL33flash_attn_stream_k_fixup_uniformILi96ELi8ELi2EEvPfPK15HIP_vector_typeIfLj2EEiiiiiiS1_IjLj3EES5_S5_,comdat
.Lfunc_end16:
	.size	_ZL33flash_attn_stream_k_fixup_uniformILi96ELi8ELi2EEvPfPK15HIP_vector_typeIfLj2EEiiiiiiS1_IjLj3EES5_S5_, .Lfunc_end16-_ZL33flash_attn_stream_k_fixup_uniformILi96ELi8ELi2EEvPfPK15HIP_vector_typeIfLj2EEiiiiiiS1_IjLj3EES5_S5_
                                        ; -- End function
	.set _ZL33flash_attn_stream_k_fixup_uniformILi96ELi8ELi2EEvPfPK15HIP_vector_typeIfLj2EEiiiiiiS1_IjLj3EES5_S5_.num_vgpr, 11
	.set _ZL33flash_attn_stream_k_fixup_uniformILi96ELi8ELi2EEvPfPK15HIP_vector_typeIfLj2EEiiiiiiS1_IjLj3EES5_S5_.num_agpr, 0
	.set _ZL33flash_attn_stream_k_fixup_uniformILi96ELi8ELi2EEvPfPK15HIP_vector_typeIfLj2EEiiiiiiS1_IjLj3EES5_S5_.numbered_sgpr, 16
	.set _ZL33flash_attn_stream_k_fixup_uniformILi96ELi8ELi2EEvPfPK15HIP_vector_typeIfLj2EEiiiiiiS1_IjLj3EES5_S5_.num_named_barrier, 0
	.set _ZL33flash_attn_stream_k_fixup_uniformILi96ELi8ELi2EEvPfPK15HIP_vector_typeIfLj2EEiiiiiiS1_IjLj3EES5_S5_.private_seg_size, 0
	.set _ZL33flash_attn_stream_k_fixup_uniformILi96ELi8ELi2EEvPfPK15HIP_vector_typeIfLj2EEiiiiiiS1_IjLj3EES5_S5_.uses_vcc, 1
	.set _ZL33flash_attn_stream_k_fixup_uniformILi96ELi8ELi2EEvPfPK15HIP_vector_typeIfLj2EEiiiiiiS1_IjLj3EES5_S5_.uses_flat_scratch, 0
	.set _ZL33flash_attn_stream_k_fixup_uniformILi96ELi8ELi2EEvPfPK15HIP_vector_typeIfLj2EEiiiiiiS1_IjLj3EES5_S5_.has_dyn_sized_stack, 0
	.set _ZL33flash_attn_stream_k_fixup_uniformILi96ELi8ELi2EEvPfPK15HIP_vector_typeIfLj2EEiiiiiiS1_IjLj3EES5_S5_.has_recursion, 0
	.set _ZL33flash_attn_stream_k_fixup_uniformILi96ELi8ELi2EEvPfPK15HIP_vector_typeIfLj2EEiiiiiiS1_IjLj3EES5_S5_.has_indirect_call, 0
	.section	.AMDGPU.csdata,"",@progbits
; Kernel info:
; codeLenInByte = 1148
; TotalNumSgprs: 18
; NumVgprs: 11
; ScratchSize: 0
; MemoryBound: 0
; FloatMode: 240
; IeeeMode: 1
; LDSByteSize: 0 bytes/workgroup (compile time only)
; SGPRBlocks: 0
; VGPRBlocks: 1
; NumSGPRsForWavesPerEU: 18
; NumVGPRsForWavesPerEU: 11
; Occupancy: 16
; WaveLimiterHint : 0
; COMPUTE_PGM_RSRC2:SCRATCH_EN: 0
; COMPUTE_PGM_RSRC2:USER_SGPR: 2
; COMPUTE_PGM_RSRC2:TRAP_HANDLER: 0
; COMPUTE_PGM_RSRC2:TGID_X_EN: 1
; COMPUTE_PGM_RSRC2:TGID_Y_EN: 1
; COMPUTE_PGM_RSRC2:TGID_Z_EN: 1
; COMPUTE_PGM_RSRC2:TIDIG_COMP_CNT: 0
	.section	.text._ZL33flash_attn_stream_k_fixup_generalILi96ELi8ELi2EEvPfPK15HIP_vector_typeIfLj2EEiiiiS1_IjLj3EES5_S5_S5_,"axG",@progbits,_ZL33flash_attn_stream_k_fixup_generalILi96ELi8ELi2EEvPfPK15HIP_vector_typeIfLj2EEiiiiS1_IjLj3EES5_S5_S5_,comdat
	.globl	_ZL33flash_attn_stream_k_fixup_generalILi96ELi8ELi2EEvPfPK15HIP_vector_typeIfLj2EEiiiiS1_IjLj3EES5_S5_S5_ ; -- Begin function _ZL33flash_attn_stream_k_fixup_generalILi96ELi8ELi2EEvPfPK15HIP_vector_typeIfLj2EEiiiiS1_IjLj3EES5_S5_S5_
	.p2align	8
	.type	_ZL33flash_attn_stream_k_fixup_generalILi96ELi8ELi2EEvPfPK15HIP_vector_typeIfLj2EEiiiiS1_IjLj3EES5_S5_S5_,@function
_ZL33flash_attn_stream_k_fixup_generalILi96ELi8ELi2EEvPfPK15HIP_vector_typeIfLj2EEiiiiS1_IjLj3EES5_S5_S5_: ; @_ZL33flash_attn_stream_k_fixup_generalILi96ELi8ELi2EEvPfPK15HIP_vector_typeIfLj2EEiiiiS1_IjLj3EES5_S5_S5_
; %bb.0:
	s_clause 0x1
	s_load_b128 s[4:7], s[0:1], 0x10
	s_load_b32 s16, s[0:1], 0x50
	s_mov_b32 s2, ttmp9
	s_ashr_i32 s3, ttmp9, 31
	s_mov_b32 s17, 0
	s_delay_alu instid0(SALU_CYCLE_1) | instskip(SKIP_3) | instid1(SALU_CYCLE_1)
	s_mov_b32 s8, s17
	s_wait_kmcnt 0x0
	s_ashr_i32 s19, s7, 31
	s_mov_b32 s18, s7
	s_mul_u64 s[2:3], s[18:19], s[2:3]
	s_delay_alu instid0(SALU_CYCLE_1) | instskip(NEXT) | instid1(SALU_CYCLE_1)
	s_mov_b32 s9, s3
	s_cmp_lg_u64 s[8:9], 0
	s_cbranch_scc0 .LBB17_21
; %bb.1:
	s_add_nc_u64 s[8:9], s[16:17], 0
	s_mov_b32 s15, s17
	s_xor_b64 s[8:9], s[8:9], 0
	s_mov_b32 s23, s17
	s_cvt_f32_u32 s7, s8
	s_cvt_f32_u32 s10, s9
	s_sub_nc_u64 s[12:13], 0, s[8:9]
	s_delay_alu instid0(SALU_CYCLE_2) | instskip(NEXT) | instid1(SALU_CYCLE_3)
	s_fmamk_f32 s7, s10, 0x4f800000, s7
	v_s_rcp_f32 s7, s7
	s_delay_alu instid0(TRANS32_DEP_1) | instskip(SKIP_1) | instid1(SALU_CYCLE_2)
	s_mul_f32 s7, s7, 0x5f7ffffc
	s_wait_alu 0xfffe
	s_mul_f32 s10, s7, 0x2f800000
	s_delay_alu instid0(SALU_CYCLE_3) | instskip(NEXT) | instid1(SALU_CYCLE_3)
	s_trunc_f32 s10, s10
	s_fmamk_f32 s7, s10, 0xcf800000, s7
	s_cvt_u32_f32 s11, s10
	s_wait_alu 0xfffe
	s_delay_alu instid0(SALU_CYCLE_1) | instskip(NEXT) | instid1(SALU_CYCLE_3)
	s_cvt_u32_f32 s10, s7
	s_mul_u64 s[20:21], s[12:13], s[10:11]
	s_delay_alu instid0(SALU_CYCLE_1)
	s_mul_hi_u32 s25, s10, s21
	s_mul_i32 s24, s10, s21
	s_mul_hi_u32 s14, s10, s20
	s_mul_i32 s22, s11, s20
	s_add_nc_u64 s[14:15], s[14:15], s[24:25]
	s_mul_hi_u32 s7, s11, s20
	s_mul_hi_u32 s26, s11, s21
	s_add_co_u32 s14, s14, s22
	s_wait_alu 0xfffe
	s_add_co_ci_u32 s22, s15, s7
	s_mul_i32 s20, s11, s21
	s_add_co_ci_u32 s21, s26, 0
	s_delay_alu instid0(SALU_CYCLE_1)
	s_add_nc_u64 s[14:15], s[22:23], s[20:21]
	s_mov_b32 s21, s17
	s_add_co_u32 s10, s10, s14
	s_cselect_b32 s7, -1, 0
	s_wait_alu 0xfffe
	s_cmp_lg_u32 s7, 0
	s_add_co_ci_u32 s11, s11, s15
	s_mov_b32 s15, s17
	s_mul_u64 s[12:13], s[12:13], s[10:11]
	s_delay_alu instid0(SALU_CYCLE_1)
	s_mul_hi_u32 s23, s10, s13
	s_mul_i32 s22, s10, s13
	s_mul_hi_u32 s14, s10, s12
	s_mul_i32 s20, s11, s12
	s_add_nc_u64 s[14:15], s[14:15], s[22:23]
	s_mul_hi_u32 s7, s11, s12
	s_mul_hi_u32 s24, s11, s13
	s_mul_i32 s12, s11, s13
	s_add_co_u32 s13, s14, s20
	s_wait_alu 0xfffe
	s_add_co_ci_u32 s20, s15, s7
	s_add_co_ci_u32 s13, s24, 0
	s_mov_b32 s15, s17
	s_add_nc_u64 s[12:13], s[20:21], s[12:13]
	s_delay_alu instid0(SALU_CYCLE_1) | instskip(SKIP_1) | instid1(SALU_CYCLE_1)
	s_add_co_u32 s7, s10, s12
	s_cselect_b32 s10, -1, 0
	s_cmp_lg_u32 s10, 0
	s_add_co_ci_u32 s20, s11, s13
	s_ashr_i32 s10, s3, 31
	s_delay_alu instid0(SALU_CYCLE_1) | instskip(NEXT) | instid1(SALU_CYCLE_1)
	s_mov_b32 s11, s10
	s_add_nc_u64 s[12:13], s[2:3], s[10:11]
	s_delay_alu instid0(SALU_CYCLE_1) | instskip(NEXT) | instid1(SALU_CYCLE_1)
	s_xor_b64 s[12:13], s[12:13], s[10:11]
	s_mul_hi_u32 s23, s12, s20
	s_mul_i32 s22, s12, s20
	s_wait_alu 0xfffe
	s_mul_hi_u32 s14, s12, s7
	s_mul_hi_u32 s24, s13, s7
	s_mul_i32 s7, s13, s7
	s_add_nc_u64 s[14:15], s[14:15], s[22:23]
	s_mul_hi_u32 s3, s13, s20
	s_wait_alu 0xfffe
	s_add_co_u32 s7, s14, s7
	s_mul_i32 s22, s13, s20
	s_add_co_ci_u32 s20, s15, s24
	s_add_co_ci_u32 s23, s3, 0
	s_delay_alu instid0(SALU_CYCLE_1) | instskip(NEXT) | instid1(SALU_CYCLE_1)
	s_add_nc_u64 s[14:15], s[20:21], s[22:23]
	s_mul_u64 s[20:21], s[8:9], s[14:15]
	s_delay_alu instid0(SALU_CYCLE_1)
	s_sub_co_u32 s3, s12, s20
	s_cselect_b32 s7, -1, 0
	s_sub_co_i32 s12, s13, s21
	s_wait_alu 0xfffe
	s_cmp_lg_u32 s7, 0
	s_sub_co_ci_u32 s12, s12, s9
	s_sub_co_u32 s20, s3, s8
	s_cselect_b32 s22, -1, 0
	s_delay_alu instid0(SALU_CYCLE_1) | instskip(SKIP_2) | instid1(SALU_CYCLE_1)
	s_cmp_lg_u32 s22, 0
	s_add_nc_u64 s[22:23], s[14:15], 1
	s_sub_co_ci_u32 s12, s12, 0
	s_cmp_ge_u32 s12, s9
	s_cselect_b32 s24, -1, 0
	s_cmp_ge_u32 s20, s8
	s_cselect_b32 s20, -1, 0
	s_cmp_eq_u32 s12, s9
	s_cselect_b32 s12, s20, s24
	s_add_nc_u64 s[24:25], s[14:15], 2
	s_cmp_lg_u32 s12, 0
	s_cselect_b32 s12, s24, s22
	s_cselect_b32 s20, s25, s23
	s_cmp_lg_u32 s7, 0
	s_sub_co_ci_u32 s7, s13, s21
	s_wait_alu 0xfffe
	s_cmp_ge_u32 s7, s9
	s_cselect_b32 s13, -1, 0
	s_cmp_ge_u32 s3, s8
	s_cselect_b32 s3, -1, 0
	s_cmp_eq_u32 s7, s9
	s_cselect_b32 s3, s3, s13
	s_delay_alu instid0(SALU_CYCLE_1) | instskip(SKIP_4) | instid1(SALU_CYCLE_1)
	s_cmp_lg_u32 s3, 0
	s_mov_b32 s3, s17
	s_cselect_b32 s9, s20, s15
	s_cselect_b32 s8, s12, s14
	s_xor_b64 s[10:11], s[10:11], 0
	s_xor_b64 s[8:9], s[8:9], s[10:11]
	s_delay_alu instid0(SALU_CYCLE_1)
	s_sub_nc_u64 s[20:21], s[8:9], s[10:11]
	s_and_not1_b32 vcc_lo, exec_lo, s3
	s_cbranch_vccnz .LBB17_3
.LBB17_2:
	v_cvt_f32_u32_e32 v1, s16
	s_sub_co_i32 s7, 0, s16
	s_delay_alu instid0(VALU_DEP_1) | instskip(NEXT) | instid1(TRANS32_DEP_1)
	v_rcp_iflag_f32_e32 v1, v1
	v_mul_f32_e32 v1, 0x4f7ffffe, v1
	s_delay_alu instid0(VALU_DEP_1) | instskip(NEXT) | instid1(VALU_DEP_1)
	v_cvt_u32_f32_e32 v1, v1
	v_readfirstlane_b32 s3, v1
	s_wait_alu 0xfffe
	s_mul_i32 s7, s7, s3
	s_wait_alu 0xfffe
	s_mul_hi_u32 s7, s3, s7
	s_wait_alu 0xfffe
	s_add_co_i32 s3, s3, s7
	s_delay_alu instid0(SALU_CYCLE_1) | instskip(NEXT) | instid1(SALU_CYCLE_1)
	s_mul_hi_u32 s3, s2, s3
	s_mul_i32 s7, s3, s16
	s_wait_alu 0xfffe
	s_sub_co_i32 s2, s2, s7
	s_add_co_i32 s7, s3, 1
	s_sub_co_i32 s8, s2, s16
	s_cmp_ge_u32 s2, s16
	s_wait_alu 0xfffe
	s_cselect_b32 s3, s7, s3
	s_cselect_b32 s2, s8, s2
	s_add_co_i32 s7, s3, 1
	s_cmp_ge_u32 s2, s16
	s_wait_alu 0xfffe
	s_cselect_b32 s20, s7, s3
.LBB17_3:
	s_add_co_i32 s2, ttmp9, 1
	s_mov_b32 s8, 0
	s_ashr_i32 s3, s2, 31
	s_delay_alu instid0(SALU_CYCLE_1) | instskip(NEXT) | instid1(SALU_CYCLE_1)
	s_mul_u64 s[2:3], s[18:19], s[2:3]
	s_mov_b32 s9, s3
	s_delay_alu instid0(SALU_CYCLE_1)
	s_cmp_lg_u64 s[8:9], 0
	s_cbranch_scc0 .LBB17_22
; %bb.4:
	s_add_nc_u64 s[10:11], s[16:17], 0
	s_mov_b32 s23, s8
	s_xor_b64 s[10:11], s[10:11], 0
	s_mov_b32 s27, s8
	s_cvt_f32_u32 s7, s10
	s_cvt_f32_u32 s9, s11
	s_sub_nc_u64 s[14:15], 0, s[10:11]
	s_wait_alu 0xfffe
	s_delay_alu instid0(SALU_CYCLE_1) | instskip(SKIP_1) | instid1(SALU_CYCLE_2)
	s_fmamk_f32 s7, s9, 0x4f800000, s7
	s_wait_alu 0xfffe
	v_s_rcp_f32 s7, s7
	s_delay_alu instid0(TRANS32_DEP_1) | instskip(SKIP_1) | instid1(SALU_CYCLE_2)
	s_mul_f32 s7, s7, 0x5f7ffffc
	s_wait_alu 0xfffe
	s_mul_f32 s9, s7, 0x2f800000
	s_delay_alu instid0(SALU_CYCLE_3) | instskip(NEXT) | instid1(SALU_CYCLE_3)
	s_trunc_f32 s9, s9
	s_fmamk_f32 s7, s9, 0xcf800000, s7
	s_cvt_u32_f32 s13, s9
	s_wait_alu 0xfffe
	s_delay_alu instid0(SALU_CYCLE_1) | instskip(NEXT) | instid1(SALU_CYCLE_3)
	s_cvt_u32_f32 s12, s7
	s_mul_u64 s[24:25], s[14:15], s[12:13]
	s_delay_alu instid0(SALU_CYCLE_1)
	s_mul_hi_u32 s29, s12, s25
	s_mul_i32 s28, s12, s25
	s_mul_hi_u32 s22, s12, s24
	s_mul_i32 s9, s13, s24
	s_add_nc_u64 s[22:23], s[22:23], s[28:29]
	s_mul_hi_u32 s7, s13, s24
	s_mul_hi_u32 s21, s13, s25
	s_add_co_u32 s9, s22, s9
	s_wait_alu 0xfffe
	s_add_co_ci_u32 s26, s23, s7
	s_mul_i32 s24, s13, s25
	s_add_co_ci_u32 s25, s21, 0
	s_delay_alu instid0(SALU_CYCLE_1)
	s_add_nc_u64 s[22:23], s[26:27], s[24:25]
	s_mov_b32 s25, s8
	s_add_co_u32 s12, s12, s22
	s_cselect_b32 s7, -1, 0
	s_wait_alu 0xfffe
	s_cmp_lg_u32 s7, 0
	s_add_co_ci_u32 s13, s13, s23
	s_mov_b32 s23, s8
	s_mul_u64 s[14:15], s[14:15], s[12:13]
	s_delay_alu instid0(SALU_CYCLE_1)
	s_mul_hi_u32 s27, s12, s15
	s_mul_i32 s26, s12, s15
	s_mul_hi_u32 s22, s12, s14
	s_mul_i32 s9, s13, s14
	s_add_nc_u64 s[22:23], s[22:23], s[26:27]
	s_mul_hi_u32 s7, s13, s14
	s_mul_hi_u32 s21, s13, s15
	s_add_co_u32 s9, s22, s9
	s_wait_alu 0xfffe
	s_add_co_ci_u32 s24, s23, s7
	s_mul_i32 s14, s13, s15
	s_add_co_ci_u32 s15, s21, 0
	s_mov_b32 s23, s8
	s_add_nc_u64 s[14:15], s[24:25], s[14:15]
	s_delay_alu instid0(SALU_CYCLE_1) | instskip(SKIP_1) | instid1(SALU_CYCLE_1)
	s_add_co_u32 s7, s12, s14
	s_cselect_b32 s9, -1, 0
	s_cmp_lg_u32 s9, 0
	s_add_co_ci_u32 s9, s13, s15
	s_ashr_i32 s12, s3, 31
	s_delay_alu instid0(SALU_CYCLE_1) | instskip(NEXT) | instid1(SALU_CYCLE_1)
	s_mov_b32 s13, s12
	s_add_nc_u64 s[14:15], s[2:3], s[12:13]
	s_delay_alu instid0(SALU_CYCLE_1) | instskip(NEXT) | instid1(SALU_CYCLE_1)
	s_xor_b64 s[14:15], s[14:15], s[12:13]
	s_mul_hi_u32 s27, s14, s9
	s_mul_i32 s26, s14, s9
	s_wait_alu 0xfffe
	s_mul_hi_u32 s22, s14, s7
	s_mul_hi_u32 s21, s15, s7
	s_mul_i32 s7, s15, s7
	s_add_nc_u64 s[22:23], s[22:23], s[26:27]
	s_mul_hi_u32 s3, s15, s9
	s_wait_alu 0xfffe
	s_add_co_u32 s7, s22, s7
	s_add_co_ci_u32 s24, s23, s21
	s_mul_i32 s26, s15, s9
	s_add_co_ci_u32 s27, s3, 0
	s_delay_alu instid0(SALU_CYCLE_1) | instskip(NEXT) | instid1(SALU_CYCLE_1)
	s_add_nc_u64 s[22:23], s[24:25], s[26:27]
	s_mul_u64 s[24:25], s[10:11], s[22:23]
	s_add_nc_u64 s[26:27], s[22:23], 1
	s_sub_co_u32 s3, s14, s24
	s_cselect_b32 s7, -1, 0
	s_sub_co_i32 s9, s15, s25
	s_wait_alu 0xfffe
	s_cmp_lg_u32 s7, 0
	s_add_nc_u64 s[28:29], s[22:23], 2
	s_sub_co_ci_u32 s9, s9, s11
	s_sub_co_u32 s14, s3, s10
	s_cselect_b32 s21, -1, 0
	s_delay_alu instid0(SALU_CYCLE_1) | instskip(SKIP_1) | instid1(SALU_CYCLE_1)
	s_cmp_lg_u32 s21, 0
	s_sub_co_ci_u32 s9, s9, 0
	s_cmp_ge_u32 s9, s11
	s_cselect_b32 s21, -1, 0
	s_cmp_ge_u32 s14, s10
	s_cselect_b32 s14, -1, 0
	s_cmp_eq_u32 s9, s11
	s_cselect_b32 s9, s14, s21
	s_delay_alu instid0(SALU_CYCLE_1)
	s_cmp_lg_u32 s9, 0
	s_cselect_b32 s9, s28, s26
	s_cselect_b32 s14, s29, s27
	s_cmp_lg_u32 s7, 0
	s_sub_co_ci_u32 s7, s15, s25
	s_wait_alu 0xfffe
	s_cmp_ge_u32 s7, s11
	s_cselect_b32 s15, -1, 0
	s_cmp_ge_u32 s3, s10
	s_cselect_b32 s3, -1, 0
	s_cmp_eq_u32 s7, s11
	s_cselect_b32 s3, s3, s15
	s_delay_alu instid0(SALU_CYCLE_1) | instskip(SKIP_3) | instid1(SALU_CYCLE_1)
	s_cmp_lg_u32 s3, 0
	s_cselect_b32 s11, s14, s23
	s_cselect_b32 s10, s9, s22
	s_xor_b64 s[12:13], s[12:13], 0
	s_xor_b64 s[10:11], s[10:11], s[12:13]
	s_delay_alu instid0(SALU_CYCLE_1)
	s_sub_nc_u64 s[10:11], s[10:11], s[12:13]
	s_load_b96 s[12:14], s[0:1], 0x44
	s_and_not1_b32 vcc_lo, exec_lo, s8
	s_cbranch_vccnz .LBB17_6
.LBB17_5:
	v_cvt_f32_u32_e32 v1, s16
	s_sub_co_i32 s7, 0, s16
	s_delay_alu instid0(VALU_DEP_1) | instskip(NEXT) | instid1(TRANS32_DEP_1)
	v_rcp_iflag_f32_e32 v1, v1
	v_mul_f32_e32 v1, 0x4f7ffffe, v1
	s_delay_alu instid0(VALU_DEP_1) | instskip(NEXT) | instid1(VALU_DEP_1)
	v_cvt_u32_f32_e32 v1, v1
	v_readfirstlane_b32 s3, v1
	s_wait_alu 0xfffe
	s_mul_i32 s7, s7, s3
	s_wait_alu 0xfffe
	s_mul_hi_u32 s7, s3, s7
	s_wait_alu 0xfffe
	s_add_co_i32 s3, s3, s7
	s_delay_alu instid0(SALU_CYCLE_1) | instskip(NEXT) | instid1(SALU_CYCLE_1)
	s_mul_hi_u32 s3, s2, s3
	s_mul_i32 s7, s3, s16
	s_wait_alu 0xfffe
	s_sub_co_i32 s2, s2, s7
	s_add_co_i32 s7, s3, 1
	s_sub_co_i32 s8, s2, s16
	s_cmp_ge_u32 s2, s16
	s_wait_alu 0xfffe
	s_cselect_b32 s3, s7, s3
	s_cselect_b32 s2, s8, s2
	s_add_co_i32 s7, s3, 1
	s_cmp_ge_u32 s2, s16
	s_wait_alu 0xfffe
	s_cselect_b32 s10, s7, s3
.LBB17_6:
	s_mov_b32 s21, 0
	s_wait_kmcnt 0x0
	s_mov_b32 s22, s12
	s_mov_b32 s23, s21
	s_cmp_eq_u32 s20, s10
	s_mul_u64 s[2:3], s[20:21], s[22:23]
	s_cselect_b32 s7, -1, 0
	s_add_co_i32 s2, s3, s20
	s_mov_b32 s11, s21
	s_lshr_b32 s12, s2, s13
	s_mul_u64 s[2:3], s[10:11], s[22:23]
	s_mul_i32 s2, s12, s14
	s_delay_alu instid0(SALU_CYCLE_1) | instskip(SKIP_2) | instid1(SALU_CYCLE_1)
	s_cmp_eq_u32 s2, s20
	s_cselect_b32 s2, -1, 0
	s_add_co_i32 s3, s3, s10
	s_lshr_b32 s3, s3, s13
	s_delay_alu instid0(SALU_CYCLE_1)
	s_cmp_eq_u32 s12, s3
	s_mul_i32 s3, s3, s14
	s_cselect_b32 s8, -1, 0
	s_cmp_lg_u32 s3, s10
	s_cselect_b32 s3, -1, 0
	s_wait_alu 0xfffe
	s_or_b32 s2, s7, s2
	s_and_b32 s3, s8, s3
	s_delay_alu instid0(SALU_CYCLE_1) | instskip(NEXT) | instid1(SALU_CYCLE_1)
	s_or_b32 s2, s2, s3
	s_and_b32 vcc_lo, exec_lo, s2
	s_cbranch_vccnz .LBB17_24
; %bb.7:
	s_load_b256 s[24:31], s[0:1], 0x20
	s_mov_b32 s3, s21
	s_wait_kmcnt 0x0
	s_mov_b32 s2, s24
	s_delay_alu instid0(SALU_CYCLE_1) | instskip(NEXT) | instid1(SALU_CYCLE_1)
	s_mul_u64 s[2:3], s[20:21], s[2:3]
	s_add_co_i32 s2, s3, s20
	s_delay_alu instid0(SALU_CYCLE_1) | instskip(SKIP_2) | instid1(SALU_CYCLE_1)
	s_lshr_b32 s7, s2, s25
	s_load_b32 s2, s[0:1], 0x40
	s_mul_i32 s3, s7, s26
	s_sub_co_i32 s3, s20, s3
	s_delay_alu instid0(SALU_CYCLE_1) | instskip(NEXT) | instid1(SALU_CYCLE_1)
	s_mul_hi_u32 s8, s3, s27
	s_add_co_i32 s8, s3, s8
	s_delay_alu instid0(SALU_CYCLE_1) | instskip(NEXT) | instid1(SALU_CYCLE_1)
	s_lshr_b32 s15, s8, s28
	s_mul_i32 s8, s15, s29
	s_delay_alu instid0(SALU_CYCLE_1) | instskip(NEXT) | instid1(SALU_CYCLE_1)
	s_sub_co_i32 s8, s3, s8
	s_mul_hi_u32 s3, s8, s30
	s_delay_alu instid0(SALU_CYCLE_1) | instskip(NEXT) | instid1(SALU_CYCLE_1)
	s_add_co_i32 s3, s8, s3
	s_lshr_b32 s10, s3, s31
	s_mov_b32 s3, s21
	s_wait_kmcnt 0x0
	s_mul_i32 s2, s10, s2
	s_lshl_b32 s24, s10, 1
	s_sub_co_i32 s2, s8, s2
	s_delay_alu instid0(SALU_CYCLE_1) | instskip(SKIP_2) | instid1(SALU_CYCLE_1)
	s_mul_u64 s[8:9], s[2:3], s[22:23]
	s_lshr_b32 s3, ttmp7, 16
	s_add_co_i32 s2, s2, s9
	s_lshr_b32 s21, s2, s13
	s_and_b32 s2, ttmp7, 0xffff
	s_lshl_b32 s8, s21, 3
	s_delay_alu instid0(SALU_CYCLE_1) | instskip(NEXT) | instid1(SALU_CYCLE_1)
	s_add_co_i32 s8, s8, s2
	s_cmp_lt_i32 s8, s4
	s_cselect_b32 s8, -1, 0
	s_add_co_i32 s24, s24, s3
	s_delay_alu instid0(SALU_CYCLE_1) | instskip(SKIP_1) | instid1(SALU_CYCLE_1)
	s_cmp_lt_i32 s24, s6
	s_cselect_b32 s9, -1, 0
	s_and_b32 s8, s8, s9
	s_delay_alu instid0(SALU_CYCLE_1)
	s_and_not1_b32 vcc_lo, exec_lo, s8
	s_cbranch_vccnz .LBB17_24
; %bb.8:
	s_mul_i32 s4, s7, s4
	s_load_b128 s[8:11], s[0:1], 0x0
	s_add_co_i32 s0, s4, s2
	s_mul_i32 s15, s15, s6
	s_mul_i32 s0, s0, s5
	s_add_co_i32 s1, s24, s15
	s_mul_i32 s4, s5, s21
	s_add_co_i32 s0, s1, s0
	s_mulk_i32 s4, 0x300
	s_mulk_i32 s0, 0x60
	s_lshl_b32 s15, s2, 1
	v_add3_u32 v1, s4, s0, v0
	s_add_nc_u64 s[0:1], s[16:17], 0
	s_add_co_i32 s15, s15, s3
	s_wait_alu 0xfffe
	s_xor_b64 s[6:7], s[0:1], 0
	s_lshl_b32 s0, ttmp9, 4
	v_ashrrev_i32_e32 v2, 31, v1
	s_wait_alu 0xfffe
	s_cvt_f32_u32 s1, s6
	s_cvt_f32_u32 s2, s7
	s_add_co_i32 s0, s15, s0
	v_cvt_f32_u32_e32 v3, s16
	v_lshlrev_b64_e32 v[1:2], 2, v[1:2]
	s_wait_alu 0xfffe
	s_fmamk_f32 s2, s2, 0x4f800000, s1
	s_ashr_i32 s1, s0, 31
	s_add_co_i32 s34, ttmp9, -1
	s_wait_alu 0xfffe
	s_lshl_b64 s[0:1], s[0:1], 3
	v_s_rcp_f32 s2, s2
	s_wait_kmcnt 0x0
	v_add_co_u32 v1, vcc_lo, s8, v1
	s_delay_alu instid0(VALU_DEP_1)
	v_add_co_ci_u32_e64 v2, null, s9, v2, vcc_lo
	s_wait_alu 0xfffe
	s_add_nc_u64 s[0:1], s[10:11], s[0:1]
	v_rcp_iflag_f32_e32 v3, v3
	s_load_b64 s[26:27], s[0:1], 0x0
	global_load_b32 v5, v[1:2], off
	s_mul_f32 s2, s2, 0x5f7ffffc
	s_mov_b32 s8, 0
	s_lshl_b32 s0, s16, 6
	s_wait_alu 0xfffe
	s_mov_b32 s1, s8
	s_mul_f32 s3, s2, 0x2f800000
	s_wait_alu 0xfffe
	s_lshl_b64 s[0:1], s[0:1], 2
	s_sub_nc_u64 s[30:31], 0, s[6:7]
	v_mul_f32_e32 v6, 0x4f7ffffe, v3
	s_trunc_f32 s3, s3
	s_wait_alu 0xfffe
	s_add_nc_u64 s[24:25], s[10:11], s[0:1]
	v_mad_co_u64_u32 v[3:4], null, 0x60, s15, v[0:1]
	s_fmamk_f32 s0, s3, 0xcf800000, s2
	v_cvt_u32_f32_e32 v0, v6
	s_cvt_u32_f32 s29, s3
	s_wait_alu 0xfffe
	s_cvt_u32_f32 s28, s0
	s_wait_kmcnt 0x0
	v_mov_b32_e32 v4, s27
.LBB17_9:                               ; =>This Inner Loop Header: Depth=1
	s_wait_alu 0xfffe
	s_ashr_i32 s35, s34, 31
	s_mov_b32 s2, -1
	s_wait_alu 0xfffe
	s_mul_u64 s[0:1], s[34:35], s[18:19]
                                        ; implicit-def: $sgpr38_sgpr39
	s_wait_alu 0xfffe
	s_mov_b32 s9, s1
	s_wait_alu 0xfffe
	s_cmp_lg_u64 s[8:9], 0
	s_cbranch_scc0 .LBB17_11
; %bb.10:                               ;   in Loop: Header=BB17_9 Depth=1
	s_mul_u64 s[2:3], s[30:31], s[28:29]
	s_mov_b32 s37, s8
	s_wait_alu 0xfffe
	s_mul_hi_u32 s5, s28, s3
	s_mul_i32 s4, s28, s3
	s_mul_hi_u32 s36, s28, s2
	s_mul_hi_u32 s9, s29, s2
	s_wait_alu 0xfffe
	s_add_nc_u64 s[4:5], s[36:37], s[4:5]
	s_mul_i32 s2, s29, s2
	s_mul_hi_u32 s17, s29, s3
	s_wait_alu 0xfffe
	s_add_co_u32 s2, s4, s2
	s_add_co_ci_u32 s2, s5, s9
	s_add_co_ci_u32 s5, s17, 0
	s_mul_i32 s4, s29, s3
	s_mov_b32 s3, s8
	s_mov_b32 s39, s8
	s_wait_alu 0xfffe
	s_add_nc_u64 s[2:3], s[2:3], s[4:5]
	s_wait_alu 0xfffe
	s_add_co_u32 s2, s28, s2
	s_cselect_b32 s4, -1, 0
	s_wait_alu 0xfffe
	s_cmp_lg_u32 s4, 0
	s_add_co_ci_u32 s3, s29, s3
	s_wait_alu 0xfffe
	s_mul_u64 s[4:5], s[30:31], s[2:3]
	s_wait_alu 0xfffe
	s_mul_hi_u32 s37, s2, s5
	s_mul_i32 s36, s2, s5
	s_mul_hi_u32 s38, s2, s4
	s_mul_hi_u32 s9, s3, s4
	s_mul_i32 s4, s3, s4
	s_wait_alu 0xfffe
	s_add_nc_u64 s[36:37], s[38:39], s[36:37]
	s_mul_hi_u32 s17, s3, s5
	s_wait_alu 0xfffe
	s_add_co_u32 s4, s36, s4
	s_add_co_ci_u32 s4, s37, s9
	s_add_co_ci_u32 s37, s17, 0
	s_mul_i32 s36, s3, s5
	s_mov_b32 s5, s8
	s_wait_alu 0xfffe
	s_add_nc_u64 s[4:5], s[4:5], s[36:37]
	s_mov_b32 s37, s8
	s_wait_alu 0xfffe
	s_add_co_u32 s9, s2, s4
	s_cselect_b32 s2, -1, 0
	s_wait_alu 0xfffe
	s_cmp_lg_u32 s2, 0
	s_add_co_ci_u32 s17, s3, s5
	s_ashr_i32 s2, s1, 31
	s_wait_alu 0xfffe
	s_mov_b32 s3, s2
	s_wait_alu 0xfffe
	s_add_nc_u64 s[4:5], s[0:1], s[2:3]
	s_wait_alu 0xfffe
	s_xor_b64 s[4:5], s[4:5], s[2:3]
	s_wait_alu 0xfffe
	s_mul_hi_u32 s39, s4, s17
	s_mul_i32 s38, s4, s17
	s_mul_hi_u32 s36, s4, s9
	s_mul_i32 s21, s5, s9
	s_wait_alu 0xfffe
	s_add_nc_u64 s[36:37], s[36:37], s[38:39]
	s_mul_hi_u32 s9, s5, s9
	s_mul_hi_u32 s1, s5, s17
	s_wait_alu 0xfffe
	s_add_co_u32 s21, s36, s21
	s_add_co_ci_u32 s36, s37, s9
	s_add_co_ci_u32 s39, s1, 0
	s_mul_i32 s38, s5, s17
	s_mov_b32 s37, s8
	s_wait_alu 0xfffe
	s_add_nc_u64 s[36:37], s[36:37], s[38:39]
	s_wait_alu 0xfffe
	s_mul_u64 s[38:39], s[6:7], s[36:37]
	s_add_nc_u64 s[40:41], s[36:37], 1
	s_sub_co_u32 s1, s4, s38
	s_cselect_b32 s4, -1, 0
	s_sub_co_i32 s9, s5, s39
	s_wait_alu 0xfffe
	s_cmp_lg_u32 s4, 0
	s_add_nc_u64 s[42:43], s[36:37], 2
	s_sub_co_ci_u32 s9, s9, s7
	s_sub_co_u32 s17, s1, s6
	s_cselect_b32 s21, -1, 0
	s_delay_alu instid0(SALU_CYCLE_1)
	s_cmp_lg_u32 s21, 0
	s_wait_alu 0xfffe
	s_sub_co_ci_u32 s9, s9, 0
	s_wait_alu 0xfffe
	s_cmp_ge_u32 s9, s7
	s_cselect_b32 s21, -1, 0
	s_cmp_ge_u32 s17, s6
	s_cselect_b32 s17, -1, 0
	s_cmp_eq_u32 s9, s7
	s_wait_alu 0xfffe
	s_cselect_b32 s9, s17, s21
	s_wait_alu 0xfffe
	s_cmp_lg_u32 s9, 0
	s_cselect_b32 s9, s42, s40
	s_cselect_b32 s17, s43, s41
	s_cmp_lg_u32 s4, 0
	s_sub_co_ci_u32 s4, s5, s39
	s_wait_alu 0xfffe
	s_cmp_ge_u32 s4, s7
	s_cselect_b32 s5, -1, 0
	s_cmp_ge_u32 s1, s6
	s_cselect_b32 s1, -1, 0
	s_cmp_eq_u32 s4, s7
	s_wait_alu 0xfffe
	s_cselect_b32 s1, s1, s5
	s_wait_alu 0xfffe
	s_cmp_lg_u32 s1, 0
	s_cselect_b32 s5, s17, s37
	s_cselect_b32 s4, s9, s36
	s_xor_b64 s[2:3], s[2:3], 0
	s_wait_alu 0xfffe
	s_xor_b64 s[4:5], s[4:5], s[2:3]
	s_wait_alu 0xfffe
	s_sub_nc_u64 s[38:39], s[4:5], s[2:3]
	s_mov_b32 s2, 0
.LBB17_11:                              ;   in Loop: Header=BB17_9 Depth=1
	s_wait_alu 0xfffe
	s_and_not1_b32 vcc_lo, exec_lo, s2
	s_wait_alu 0xfffe
	s_cbranch_vccnz .LBB17_13
; %bb.12:                               ;   in Loop: Header=BB17_9 Depth=1
	v_readfirstlane_b32 s1, v0
	s_sub_co_i32 s2, 0, s16
	s_wait_alu 0xfffe
	s_mul_i32 s2, s2, s1
	s_wait_alu 0xfffe
	s_mul_hi_u32 s2, s1, s2
	s_wait_alu 0xfffe
	s_add_co_i32 s1, s1, s2
	s_wait_alu 0xfffe
	s_mul_hi_u32 s1, s0, s1
	s_wait_alu 0xfffe
	s_mul_i32 s2, s1, s16
	s_wait_alu 0xfffe
	s_sub_co_i32 s0, s0, s2
	s_add_co_i32 s2, s1, 1
	s_wait_alu 0xfffe
	s_sub_co_i32 s3, s0, s16
	s_cmp_ge_u32 s0, s16
	s_cselect_b32 s1, s2, s1
	s_wait_alu 0xfffe
	s_cselect_b32 s0, s3, s0
	s_add_co_i32 s2, s1, 1
	s_wait_alu 0xfffe
	s_cmp_ge_u32 s0, s16
	s_cselect_b32 s38, s2, s1
.LBB17_13:                              ;   in Loop: Header=BB17_9 Depth=1
	v_readfirstlane_b32 s9, v0
	s_cmp_lg_u32 s20, s38
	s_mov_b32 s0, -1
                                        ; implicit-def: $sgpr21
                                        ; implicit-def: $vgpr6
                                        ; implicit-def: $vgpr7
                                        ; implicit-def: $sgpr17
                                        ; implicit-def: $sgpr27
	s_cbranch_scc1 .LBB17_16
; %bb.14:                               ;   in Loop: Header=BB17_9 Depth=1
	s_wait_alu 0xfffe
	s_and_not1_b32 vcc_lo, exec_lo, s0
	s_wait_alu 0xfffe
	s_cbranch_vccz .LBB17_19
.LBB17_15:                              ;   in Loop: Header=BB17_9 Depth=1
	s_and_not1_b32 vcc_lo, exec_lo, s21
	s_wait_alu 0xfffe
	s_cbranch_vccnz .LBB17_20
	s_branch .LBB17_23
.LBB17_16:                              ;   in Loop: Header=BB17_9 Depth=1
	s_add_co_i32 s0, s34, s16
	s_mov_b32 s1, s8
	s_wait_alu 0xfffe
	s_lshl_b32 s0, s0, 4
	v_max_num_f32_e64 v6, s26, s26
	s_wait_alu 0xfffe
	s_add_co_i32 s0, s0, s15
	s_mov_b32 s39, s8
	s_wait_alu 0xfffe
	s_lshl_b64 s[0:1], s[0:1], 3
	s_mul_u64 s[40:41], s[38:39], s[22:23]
	s_wait_alu 0xfffe
	s_add_nc_u64 s[0:1], s[10:11], s[0:1]
	s_mov_b32 s27, s20
	s_load_b64 s[36:37], s[0:1], 0x0
	v_readfirstlane_b32 s0, v6
	s_wait_kmcnt 0x0
	v_max_num_f32_e64 v7, s36, s36
	s_delay_alu instid0(VALU_DEP_1) | instskip(SKIP_2) | instid1(SALU_CYCLE_2)
	v_readfirstlane_b32 s1, v7
	s_max_num_f32 s9, s0, s1
	s_wait_alu 0xfffe
	s_sub_f32 s33, s26, s9
	s_sub_f32 s35, s36, s9
	s_wait_alu 0xfffe
	s_delay_alu instid0(SALU_CYCLE_1)
	s_cmp_nlt_f32 s33, 0xc2ce8ed0
	s_cselect_b32 s0, -1, 0
	s_cmp_ngt_f32 s33, 0x42b17218
	s_cselect_b32 s1, -1, 0
	s_cmp_ge_f32 s33, 0xc1a00000
	s_cselect_b32 s2, -1, 0
	s_cmp_nlt_f32 s35, 0xc2ce8ed0
	s_cselect_b32 s3, -1, 0
	s_cmp_ngt_f32 s35, 0x42b17218
	s_cselect_b32 s4, -1, 0
	s_cmp_ge_f32 s35, 0xc1a00000
	s_cselect_b32 s5, -1, 0
	s_add_co_i32 s17, s41, s38
	s_wait_alu 0xfffe
	s_lshr_b32 s17, s17, s13
	s_wait_alu 0xfffe
	s_mul_i32 s21, s17, s14
	s_delay_alu instid0(SALU_CYCLE_1)
	s_cmp_eq_u32 s21, s38
	s_cselect_b32 s21, -1, 0
	s_cmp_lt_u32 s17, s12
	s_cselect_b32 s17, -1, 0
	s_wait_alu 0xfffe
	s_or_b32 s17, s17, s21
	s_mov_b32 s21, -1
	s_wait_alu 0xfffe
	s_and_b32 vcc_lo, exec_lo, s17
	s_mov_b32 s17, s34
	s_wait_alu 0xfffe
	s_cbranch_vccnz .LBB17_18
; %bb.17:                               ;   in Loop: Header=BB17_9 Depth=1
	s_add_co_i32 s17, s34, -1
	s_mov_b32 s21, 0
	s_mov_b32 s27, s38
.LBB17_18:                              ;   in Loop: Header=BB17_9 Depth=1
	v_mad_co_u64_u32 v[6:7], null, 0x600, s34, v[3:4]
	s_mul_f32 s36, s35, 0x3fb8aa3b
	s_mul_f32 s38, s33, 0x3fb8aa3b
	s_wait_alu 0xfffe
	s_delay_alu instid0(SALU_CYCLE_1)
	s_xor_b32 s39, s36, 0x80000000
	s_rndne_f32 s40, s36
	v_ashrrev_i32_e32 v7, 31, v6
	s_fmamk_f32 s39, s35, 0x3fb8aa3b, s39
	s_xor_b32 s41, s38, 0x80000000
	s_sub_f32 s36, s36, s40
	s_rndne_f32 s42, s38
	v_lshlrev_b64_e32 v[6:7], 2, v[6:7]
	s_fmamk_f32 s35, s35, 0x32a5705f, s39
	s_fmamk_f32 s39, s33, 0x3fb8aa3b, s41
	s_sub_f32 s38, s38, s42
	s_wait_alu 0xfffe
	s_add_f32 s35, s36, s35
	v_add_co_u32 v6, vcc_lo, s24, v6
	s_wait_alu 0xfffd
	v_add_co_ci_u32_e64 v7, null, s25, v7, vcc_lo
	s_fmamk_f32 s33, s33, 0x32a5705f, s39
	s_wait_alu 0xfffe
	v_s_exp_f32 s35, s35
	s_cvt_i32_f32 s36, s40
	global_load_b32 v6, v[6:7], off
	s_add_f32 s33, s38, s33
	s_wait_alu 0xfffe
	s_delay_alu instid0(SALU_CYCLE_2) | instskip(SKIP_2) | instid1(VALU_DEP_1)
	v_s_exp_f32 s33, s33
	v_ldexp_f32 v7, s35, s36
	s_cvt_i32_f32 s35, s42
	v_cndmask_b32_e64 v7, 0, v7, s3
	s_wait_alu 0xf1fe
	s_delay_alu instid0(TRANS32_DEP_1) | instid1(SALU_CYCLE_1)
	v_ldexp_f32 v8, s33, s35
	s_delay_alu instid0(VALU_DEP_2) | instskip(NEXT) | instid1(VALU_DEP_2)
	v_cndmask_b32_e64 v7, 0x7f800000, v7, s4
	v_cndmask_b32_e64 v8, 0, v8, s0
	s_delay_alu instid0(VALU_DEP_2) | instskip(NEXT) | instid1(VALU_DEP_2)
	v_cndmask_b32_e64 v7, 0, v7, s5
	v_cndmask_b32_e64 v8, 0x7f800000, v8, s1
	s_delay_alu instid0(VALU_DEP_1) | instskip(SKIP_1) | instid1(VALU_DEP_3)
	v_cndmask_b32_e64 v8, 0, v8, s2
	s_wait_loadcnt 0x0
	v_mul_f32_e32 v6, v6, v7
	v_mul_f32_e32 v7, s37, v7
	s_delay_alu instid0(VALU_DEP_1) | instskip(NEXT) | instid1(VALU_DEP_3)
	v_fmac_f32_e32 v7, v4, v8
	v_fmac_f32_e32 v6, v5, v8
	s_cbranch_execnz .LBB17_15
.LBB17_19:                              ;   in Loop: Header=BB17_9 Depth=1
	s_wait_loadcnt 0x0
	v_dual_mov_b32 v7, v4 :: v_dual_mov_b32 v6, v5
	s_add_co_i32 s17, s34, -1
	s_mov_b32 s27, s20
	s_mov_b32 s9, s26
	s_cbranch_execz .LBB17_23
.LBB17_20:                              ;   in Loop: Header=BB17_9 Depth=1
	s_wait_loadcnt 0x0
	v_dual_mov_b32 v4, v7 :: v_dual_mov_b32 v5, v6
	s_wait_alu 0xfffe
	s_mov_b32 s20, s27
	s_mov_b32 s34, s17
	;; [unrolled: 1-line block ×3, first 2 shown]
	s_branch .LBB17_9
.LBB17_21:
                                        ; implicit-def: $sgpr20_sgpr21
	s_branch .LBB17_2
.LBB17_22:
                                        ; implicit-def: $sgpr10_sgpr11
	s_load_b96 s[12:14], s[0:1], 0x44
	s_branch .LBB17_5
.LBB17_23:
	v_div_scale_f32 v0, null, v7, v7, v6
	s_delay_alu instid0(VALU_DEP_1) | instskip(NEXT) | instid1(TRANS32_DEP_1)
	v_rcp_f32_e32 v3, v0
	v_fma_f32 v4, -v0, v3, 1.0
	s_delay_alu instid0(VALU_DEP_1) | instskip(SKIP_2) | instid1(VALU_DEP_1)
	v_fmac_f32_e32 v3, v4, v3
	v_div_scale_f32 v4, vcc_lo, v6, v7, v6
	s_wait_loadcnt 0x0
	v_mul_f32_e32 v5, v4, v3
	s_delay_alu instid0(VALU_DEP_1) | instskip(NEXT) | instid1(VALU_DEP_1)
	v_fma_f32 v8, -v0, v5, v4
	v_fmac_f32_e32 v5, v8, v3
	s_delay_alu instid0(VALU_DEP_1) | instskip(SKIP_1) | instid1(VALU_DEP_1)
	v_fma_f32 v0, -v0, v5, v4
	s_wait_alu 0xfffd
	v_div_fmas_f32 v0, v0, v3, v5
	s_delay_alu instid0(VALU_DEP_1)
	v_div_fixup_f32 v0, v0, v7, v6
	global_store_b32 v[1:2], v0, off
.LBB17_24:
	s_endpgm
	.section	.rodata,"a",@progbits
	.p2align	6, 0x0
	.amdhsa_kernel _ZL33flash_attn_stream_k_fixup_generalILi96ELi8ELi2EEvPfPK15HIP_vector_typeIfLj2EEiiiiS1_IjLj3EES5_S5_S5_
		.amdhsa_group_segment_fixed_size 0
		.amdhsa_private_segment_fixed_size 0
		.amdhsa_kernarg_size 336
		.amdhsa_user_sgpr_count 2
		.amdhsa_user_sgpr_dispatch_ptr 0
		.amdhsa_user_sgpr_queue_ptr 0
		.amdhsa_user_sgpr_kernarg_segment_ptr 1
		.amdhsa_user_sgpr_dispatch_id 0
		.amdhsa_user_sgpr_private_segment_size 0
		.amdhsa_wavefront_size32 1
		.amdhsa_uses_dynamic_stack 0
		.amdhsa_enable_private_segment 0
		.amdhsa_system_sgpr_workgroup_id_x 1
		.amdhsa_system_sgpr_workgroup_id_y 1
		.amdhsa_system_sgpr_workgroup_id_z 1
		.amdhsa_system_sgpr_workgroup_info 0
		.amdhsa_system_vgpr_workitem_id 0
		.amdhsa_next_free_vgpr 9
		.amdhsa_next_free_sgpr 44
		.amdhsa_reserve_vcc 1
		.amdhsa_float_round_mode_32 0
		.amdhsa_float_round_mode_16_64 0
		.amdhsa_float_denorm_mode_32 3
		.amdhsa_float_denorm_mode_16_64 3
		.amdhsa_fp16_overflow 0
		.amdhsa_workgroup_processor_mode 1
		.amdhsa_memory_ordered 1
		.amdhsa_forward_progress 1
		.amdhsa_inst_pref_size 28
		.amdhsa_round_robin_scheduling 0
		.amdhsa_exception_fp_ieee_invalid_op 0
		.amdhsa_exception_fp_denorm_src 0
		.amdhsa_exception_fp_ieee_div_zero 0
		.amdhsa_exception_fp_ieee_overflow 0
		.amdhsa_exception_fp_ieee_underflow 0
		.amdhsa_exception_fp_ieee_inexact 0
		.amdhsa_exception_int_div_zero 0
	.end_amdhsa_kernel
	.section	.text._ZL33flash_attn_stream_k_fixup_generalILi96ELi8ELi2EEvPfPK15HIP_vector_typeIfLj2EEiiiiS1_IjLj3EES5_S5_S5_,"axG",@progbits,_ZL33flash_attn_stream_k_fixup_generalILi96ELi8ELi2EEvPfPK15HIP_vector_typeIfLj2EEiiiiS1_IjLj3EES5_S5_S5_,comdat
.Lfunc_end17:
	.size	_ZL33flash_attn_stream_k_fixup_generalILi96ELi8ELi2EEvPfPK15HIP_vector_typeIfLj2EEiiiiS1_IjLj3EES5_S5_S5_, .Lfunc_end17-_ZL33flash_attn_stream_k_fixup_generalILi96ELi8ELi2EEvPfPK15HIP_vector_typeIfLj2EEiiiiS1_IjLj3EES5_S5_S5_
                                        ; -- End function
	.set _ZL33flash_attn_stream_k_fixup_generalILi96ELi8ELi2EEvPfPK15HIP_vector_typeIfLj2EEiiiiS1_IjLj3EES5_S5_S5_.num_vgpr, 9
	.set _ZL33flash_attn_stream_k_fixup_generalILi96ELi8ELi2EEvPfPK15HIP_vector_typeIfLj2EEiiiiS1_IjLj3EES5_S5_S5_.num_agpr, 0
	.set _ZL33flash_attn_stream_k_fixup_generalILi96ELi8ELi2EEvPfPK15HIP_vector_typeIfLj2EEiiiiS1_IjLj3EES5_S5_S5_.numbered_sgpr, 44
	.set _ZL33flash_attn_stream_k_fixup_generalILi96ELi8ELi2EEvPfPK15HIP_vector_typeIfLj2EEiiiiS1_IjLj3EES5_S5_S5_.num_named_barrier, 0
	.set _ZL33flash_attn_stream_k_fixup_generalILi96ELi8ELi2EEvPfPK15HIP_vector_typeIfLj2EEiiiiS1_IjLj3EES5_S5_S5_.private_seg_size, 0
	.set _ZL33flash_attn_stream_k_fixup_generalILi96ELi8ELi2EEvPfPK15HIP_vector_typeIfLj2EEiiiiS1_IjLj3EES5_S5_S5_.uses_vcc, 1
	.set _ZL33flash_attn_stream_k_fixup_generalILi96ELi8ELi2EEvPfPK15HIP_vector_typeIfLj2EEiiiiS1_IjLj3EES5_S5_S5_.uses_flat_scratch, 0
	.set _ZL33flash_attn_stream_k_fixup_generalILi96ELi8ELi2EEvPfPK15HIP_vector_typeIfLj2EEiiiiS1_IjLj3EES5_S5_S5_.has_dyn_sized_stack, 0
	.set _ZL33flash_attn_stream_k_fixup_generalILi96ELi8ELi2EEvPfPK15HIP_vector_typeIfLj2EEiiiiS1_IjLj3EES5_S5_S5_.has_recursion, 0
	.set _ZL33flash_attn_stream_k_fixup_generalILi96ELi8ELi2EEvPfPK15HIP_vector_typeIfLj2EEiiiiS1_IjLj3EES5_S5_S5_.has_indirect_call, 0
	.section	.AMDGPU.csdata,"",@progbits
; Kernel info:
; codeLenInByte = 3540
; TotalNumSgprs: 46
; NumVgprs: 9
; ScratchSize: 0
; MemoryBound: 0
; FloatMode: 240
; IeeeMode: 1
; LDSByteSize: 0 bytes/workgroup (compile time only)
; SGPRBlocks: 0
; VGPRBlocks: 1
; NumSGPRsForWavesPerEU: 46
; NumVGPRsForWavesPerEU: 9
; Occupancy: 16
; WaveLimiterHint : 0
; COMPUTE_PGM_RSRC2:SCRATCH_EN: 0
; COMPUTE_PGM_RSRC2:USER_SGPR: 2
; COMPUTE_PGM_RSRC2:TRAP_HANDLER: 0
; COMPUTE_PGM_RSRC2:TGID_X_EN: 1
; COMPUTE_PGM_RSRC2:TGID_Y_EN: 1
; COMPUTE_PGM_RSRC2:TGID_Z_EN: 1
; COMPUTE_PGM_RSRC2:TIDIG_COMP_CNT: 0
	.section	.text._ZL26flash_attn_combine_resultsILi96EEvPKfPK15HIP_vector_typeIfLj2EEPfi,"axG",@progbits,_ZL26flash_attn_combine_resultsILi96EEvPKfPK15HIP_vector_typeIfLj2EEPfi,comdat
	.globl	_ZL26flash_attn_combine_resultsILi96EEvPKfPK15HIP_vector_typeIfLj2EEPfi ; -- Begin function _ZL26flash_attn_combine_resultsILi96EEvPKfPK15HIP_vector_typeIfLj2EEPfi
	.p2align	8
	.type	_ZL26flash_attn_combine_resultsILi96EEvPKfPK15HIP_vector_typeIfLj2EEPfi,@function
_ZL26flash_attn_combine_resultsILi96EEvPKfPK15HIP_vector_typeIfLj2EEPfi: ; @_ZL26flash_attn_combine_resultsILi96EEvPKfPK15HIP_vector_typeIfLj2EEPfi
; %bb.0:
	s_clause 0x2
	s_load_b64 s[2:3], s[0:1], 0x20
	s_load_b96 s[12:14], s[0:1], 0x10
	s_load_b128 s[8:11], s[0:1], 0x0
	s_lshr_b32 s0, ttmp7, 16
	v_lshlrev_b32_e32 v7, 2, v0
	s_mov_b32 s4, exec_lo
	s_wait_kmcnt 0x0
	s_mul_i32 s0, s2, s0
	s_and_b32 s2, ttmp7, 0xffff
	s_add_co_i32 s0, s0, ttmp9
	s_lshl_b32 s1, s14, 1
	s_mul_i32 s7, s0, s3
	s_delay_alu instid0(SALU_CYCLE_1) | instskip(NEXT) | instid1(SALU_CYCLE_1)
	s_add_co_i32 s7, s7, s2
	s_mul_i32 s2, s7, s14
	v_cmpx_gt_i32_e64 s1, v0
	s_cbranch_execz .LBB18_3
; %bb.1:
	s_ashr_i32 s3, s2, 31
	v_dual_mov_b32 v4, v0 :: v_dual_add_nc_u32 v3, 0, v7
	s_lshl_b64 s[16:17], s[2:3], 3
	s_mov_b32 s3, 0
	s_add_nc_u64 s[10:11], s[10:11], s[16:17]
	s_delay_alu instid0(SALU_CYCLE_1)
	v_add_co_u32 v1, s0, s10, v7
	s_wait_alu 0xf1ff
	v_add_co_ci_u32_e64 v2, null, s11, 0, s0
.LBB18_2:                               ; =>This Inner Loop Header: Depth=1
	global_load_b32 v5, v[1:2], off
	v_add_nc_u32_e32 v4, 0x60, v4
	v_add_co_u32 v1, vcc_lo, 0x180, v1
	s_wait_alu 0xfffd
	v_add_co_ci_u32_e64 v2, null, 0, v2, vcc_lo
	s_delay_alu instid0(VALU_DEP_3)
	v_cmp_le_i32_e64 s0, s1, v4
	s_or_b32 s3, s0, s3
	s_wait_loadcnt 0x0
	ds_store_b32 v3, v5
	v_add_nc_u32_e32 v3, 0x180, v3
	s_and_not1_b32 exec_lo, exec_lo, s3
	s_cbranch_execnz .LBB18_2
.LBB18_3:
	s_or_b32 exec_lo, exec_lo, s4
	v_mov_b32_e32 v1, 0
	s_wait_dscnt 0x0
	s_barrier_signal -1
	s_barrier_wait -1
	global_inv scope:SCOPE_SE
	ds_load_b32 v8, v1
	s_cmp_lt_i32 s14, 2
	s_cbranch_scc1 .LBB18_11
; %bb.4:
	s_add_co_i32 s1, s14, -2
	s_add_co_i32 s0, s14, -1
	s_wait_alu 0xfffe
	s_cmp_lt_u32 s1, 7
	s_cbranch_scc1 .LBB18_8
; %bb.5:
	s_mov_b32 s3, 0
	s_add_co_i32 s1, 0, 8
	s_and_b32 s4, s0, -8
.LBB18_6:                               ; =>This Inner Loop Header: Depth=1
	s_wait_alu 0xfffe
	v_mov_b32_e32 v9, s1
	s_mov_b32 s5, s3
	s_add_co_i32 s3, s3, 8
	s_add_co_i32 s1, s1, 64
	s_cmp_eq_u32 s4, s3
	ds_load_2addr_b32 v[1:2], v9 offset1:2
	ds_load_2addr_b32 v[3:4], v9 offset0:4 offset1:6
	ds_load_2addr_b32 v[5:6], v9 offset0:8 offset1:10
	;; [unrolled: 1-line block ×3, first 2 shown]
	s_wait_dscnt 0x3
	v_max3_num_f32 v1, v8, v1, v2
	s_wait_dscnt 0x2
	s_delay_alu instid0(VALU_DEP_1) | instskip(SKIP_1) | instid1(VALU_DEP_1)
	v_max3_num_f32 v1, v1, v3, v4
	s_wait_dscnt 0x1
	v_max3_num_f32 v1, v1, v5, v6
	s_wait_dscnt 0x0
	s_delay_alu instid0(VALU_DEP_1)
	v_max3_num_f32 v8, v1, v9, v10
	s_cbranch_scc0 .LBB18_6
; %bb.7:
	s_add_co_i32 s1, s5, 9
	s_and_b32 s0, s0, 7
	s_wait_alu 0xfffe
	s_cmp_eq_u32 s0, 0
	s_cbranch_scc0 .LBB18_9
	s_branch .LBB18_11
.LBB18_8:
	s_mov_b32 s1, 1
	s_and_b32 s0, s0, 7
	s_wait_alu 0xfffe
	s_cmp_eq_u32 s0, 0
	s_cbranch_scc1 .LBB18_11
.LBB18_9:
	s_lshl_b32 s1, s1, 3
	s_wait_alu 0xfffe
	s_add_co_i32 s1, s1, 0
.LBB18_10:                              ; =>This Inner Loop Header: Depth=1
	s_wait_dscnt 0x0
	s_wait_alu 0xfffe
	s_delay_alu instid0(VALU_DEP_1)
	v_dual_mov_b32 v1, s1 :: v_dual_max_num_f32 v2, v8, v8
	s_add_co_i32 s0, s0, -1
	s_add_co_i32 s1, s1, 8
	s_wait_alu 0xfffe
	s_cmp_lg_u32 s0, 0
	ds_load_b32 v1, v1
	s_wait_dscnt 0x0
	v_max_num_f32_e32 v1, v1, v1
	s_delay_alu instid0(VALU_DEP_1)
	v_max_num_f32_e32 v8, v2, v1
	s_cbranch_scc1 .LBB18_10
.LBB18_11:
	s_cmp_lt_i32 s14, 1
	s_cbranch_scc1 .LBB18_16
; %bb.12:
	s_mul_i32 s10, s2, 0x60
	s_wait_alu 0xfffe
	s_ashr_i32 s11, s10, 31
	s_cmp_lt_u32 s14, 8
	s_cbranch_scc1 .LBB18_17
; %bb.13:
	s_wait_alu 0xfffe
	s_lshl_b64 s[0:1], s[10:11], 2
	v_dual_mov_b32 v2, 0 :: v_dual_add_nc_u32 v5, 0x2a0, v0
	s_wait_alu 0xfffe
	s_add_nc_u64 s[16:17], s[8:9], s[0:1]
	v_dual_mov_b32 v9, 0 :: v_dual_mov_b32 v10, 0
	v_add_co_u32 v1, s0, s16, v7
	s_wait_alu 0xf1ff
	v_add_co_ci_u32_e64 v4, null, s17, 0, s0
	s_and_b32 s15, s14, 0x7ffffff8
	v_add_co_u32 v3, vcc_lo, 0x180, v1
	s_wait_alu 0xfffd
	v_add_co_ci_u32_e64 v4, null, 0, v4, vcc_lo
	s_mov_b32 s18, 0
	s_mov_b32 s19, 0
.LBB18_14:                              ; =>This Inner Loop Header: Depth=1
	v_dual_mov_b32 v6, v2 :: v_dual_add_nc_u32 v1, 0xfffffd60, v5
	global_load_b32 v27, v[3:4], off
	v_mov_b32_e32 v23, s19
	s_add_co_i32 s18, s18, 8
	v_lshlrev_b64_e32 v[11:12], 2, v[1:2]
	v_lshlrev_b64_e32 v[13:14], 2, v[5:6]
	v_add_nc_u32_e32 v1, 0xfffffe20, v5
	s_add_co_i32 s19, s19, 64
	s_wait_alu 0xfffe
	s_cmp_eq_u32 s15, s18
	v_add_co_u32 v11, vcc_lo, s16, v11
	s_wait_alu 0xfffd
	v_add_co_ci_u32_e64 v12, null, s17, v12, vcc_lo
	v_lshlrev_b64_e32 v[15:16], 2, v[1:2]
	v_add_nc_u32_e32 v1, 0xfffffe80, v5
	global_load_b32 v6, v[11:12], off
	v_lshlrev_b64_e32 v[17:18], 2, v[1:2]
	v_add_co_u32 v11, vcc_lo, s16, v15
	s_wait_alu 0xfffd
	v_add_co_ci_u32_e64 v12, null, s17, v16, vcc_lo
	v_add_nc_u32_e32 v1, 0xfffffee0, v5
	s_delay_alu instid0(VALU_DEP_4)
	v_add_co_u32 v17, vcc_lo, s16, v17
	s_wait_alu 0xfffd
	v_add_co_ci_u32_e64 v18, null, s17, v18, vcc_lo
	global_load_b32 v28, v[11:12], off
	v_lshlrev_b64_e32 v[15:16], 2, v[1:2]
	v_add_nc_u32_e32 v1, 0xffffff40, v5
	global_load_b32 v29, v[17:18], off
	v_lshlrev_b64_e32 v[11:12], 2, v[1:2]
	v_add_co_u32 v15, vcc_lo, s16, v15
	s_wait_alu 0xfffd
	v_add_co_ci_u32_e64 v16, null, s17, v16, vcc_lo
	v_add_nc_u32_e32 v1, 0xffffffa0, v5
	s_delay_alu instid0(VALU_DEP_4) | instskip(SKIP_2) | instid1(VALU_DEP_3)
	v_add_co_u32 v11, vcc_lo, s16, v11
	s_wait_alu 0xfffd
	v_add_co_ci_u32_e64 v12, null, s17, v12, vcc_lo
	v_lshlrev_b64_e32 v[17:18], 2, v[1:2]
	s_clause 0x1
	global_load_b32 v1, v[15:16], off
	global_load_b32 v30, v[11:12], off
	v_add_nc_u32_e32 v5, 0x300, v5
	v_add_co_u32 v11, vcc_lo, s16, v17
	s_wait_alu 0xfffd
	v_add_co_ci_u32_e64 v12, null, s17, v18, vcc_lo
	v_add_co_u32 v13, vcc_lo, s16, v13
	s_wait_alu 0xfffd
	v_add_co_ci_u32_e64 v14, null, s17, v14, vcc_lo
	s_clause 0x1
	global_load_b32 v31, v[11:12], off
	global_load_b32 v32, v[13:14], off
	ds_load_2addr_b64 v[11:14], v23 offset1:1
	ds_load_2addr_b64 v[15:18], v23 offset0:2 offset1:3
	ds_load_2addr_b64 v[19:22], v23 offset0:4 offset1:5
	;; [unrolled: 1-line block ×3, first 2 shown]
	s_wait_dscnt 0x2
	v_sub_f32_e32 v17, v17, v8
	v_sub_f32_e32 v11, v11, v8
	s_wait_dscnt 0x0
	v_sub_f32_e32 v25, v25, v8
	s_delay_alu instid0(VALU_DEP_3) | instskip(NEXT) | instid1(VALU_DEP_2)
	v_dual_sub_f32 v15, v15, v8 :: v_dual_mul_f32 v36, 0x3fb8aa3b, v17
	v_dual_mul_f32 v33, 0x3fb8aa3b, v11 :: v_dual_mul_f32 v40, 0x3fb8aa3b, v25
	v_cmp_ngt_f32_e64 s6, 0xc2ce8ed0, v11
	s_delay_alu instid0(VALU_DEP_3) | instskip(NEXT) | instid1(VALU_DEP_4)
	v_cmp_ngt_f32_e64 s0, 0xc2ce8ed0, v15
	v_xor_b32_e32 v47, 0x80000000, v36
	s_delay_alu instid0(VALU_DEP_4)
	v_xor_b32_e32 v41, 0x80000000, v33
	v_xor_b32_e32 v55, 0x80000000, v40
	v_rndne_f32_e32 v56, v40
	v_rndne_f32_e32 v42, v33
	v_rndne_f32_e32 v48, v36
	v_fmac_f32_e32 v41, 0x3fb8aa3b, v11
	s_delay_alu instid0(VALU_DEP_4) | instskip(NEXT) | instid1(VALU_DEP_4)
	v_dual_fmac_f32 v55, 0x3fb8aa3b, v25 :: v_dual_sub_f32 v40, v40, v56
	v_sub_f32_e32 v33, v33, v42
	v_cvt_i32_f32_e32 v42, v42
	s_delay_alu instid0(VALU_DEP_4) | instskip(NEXT) | instid1(VALU_DEP_4)
	v_fmac_f32_e32 v41, 0x32a5705f, v11
	v_fmac_f32_e32 v55, 0x32a5705f, v25
	v_sub_f32_e32 v21, v21, v8
	v_dual_fmac_f32 v47, 0x3fb8aa3b, v17 :: v_dual_sub_f32 v36, v36, v48
	s_delay_alu instid0(VALU_DEP_3) | instskip(NEXT) | instid1(VALU_DEP_3)
	v_dual_add_f32 v33, v33, v41 :: v_dual_add_f32 v40, v40, v55
	v_dual_sub_f32 v13, v13, v8 :: v_dual_mul_f32 v38, 0x3fb8aa3b, v21
	s_delay_alu instid0(VALU_DEP_3) | instskip(NEXT) | instid1(VALU_DEP_3)
	v_fmac_f32_e32 v47, 0x32a5705f, v17
	v_exp_f32_e32 v33, v33
	v_cvt_i32_f32_e32 v48, v48
	s_delay_alu instid0(VALU_DEP_3)
	v_mul_f32_e32 v34, 0x3fb8aa3b, v13
	v_cmp_ngt_f32_e32 vcc_lo, 0xc2ce8ed0, v13
	v_add_f32_e32 v36, v36, v47
	v_xor_b32_e32 v51, 0x80000000, v38
	v_cmp_ngt_f32_e64 s1, 0xc2ce8ed0, v17
	v_xor_b32_e32 v43, 0x80000000, v34
	v_rndne_f32_e32 v44, v34
	v_exp_f32_e32 v36, v36
	v_ldexp_f32 v33, v33, v42
	v_rndne_f32_e32 v52, v38
	s_delay_alu instid0(VALU_DEP_3)
	v_dual_fmac_f32 v43, 0x3fb8aa3b, v13 :: v_dual_sub_f32 v34, v34, v44
	v_cvt_i32_f32_e32 v44, v44
	s_wait_alu 0xf1ff
	v_cndmask_b32_e64 v33, 0, v33, s6
	v_fmac_f32_e32 v51, 0x3fb8aa3b, v21
	v_dual_fmac_f32 v43, 0x32a5705f, v13 :: v_dual_sub_f32 v38, v38, v52
	s_delay_alu instid0(TRANS32_DEP_1) | instskip(SKIP_1) | instid1(VALU_DEP_3)
	v_ldexp_f32 v36, v36, v48
	v_cvt_i32_f32_e32 v52, v52
	v_dual_fmac_f32 v51, 0x32a5705f, v21 :: v_dual_add_f32 v34, v34, v43
	v_sub_f32_e32 v19, v19, v8
	s_delay_alu instid0(VALU_DEP_4) | instskip(SKIP_1) | instid1(VALU_DEP_4)
	v_cndmask_b32_e64 v36, 0, v36, s1
	v_cmp_ngt_f32_e64 s3, 0xc2ce8ed0, v21
	v_add_f32_e32 v38, v38, v51
	v_exp_f32_e32 v34, v34
	v_cmp_ngt_f32_e64 s2, 0xc2ce8ed0, v19
	v_exp_f32_e32 v40, v40
	v_cvt_i32_f32_e32 v56, v56
	v_exp_f32_e32 v38, v38
	s_delay_alu instid0(TRANS32_DEP_3)
	v_ldexp_f32 v34, v34, v44
	v_sub_f32_e32 v23, v23, v8
	s_delay_alu instid0(TRANS32_DEP_2) | instid1(VALU_DEP_3)
	v_ldexp_f32 v40, v40, v56
	s_delay_alu instid0(TRANS32_DEP_1)
	v_ldexp_f32 v38, v38, v52
	s_wait_alu 0xfffd
	v_cndmask_b32_e32 v34, 0, v34, vcc_lo
	v_cmp_nlt_f32_e32 vcc_lo, 0x42b17218, v11
	v_cmp_ngt_f32_e64 s4, 0xc2ce8ed0, v23
	s_wait_alu 0xf1ff
	v_cndmask_b32_e64 v38, 0, v38, s3
	s_wait_alu 0xfffd
	v_cndmask_b32_e32 v11, 0x7f800000, v33, vcc_lo
	v_cmp_nlt_f32_e32 vcc_lo, 0x42b17218, v13
	s_delay_alu instid0(VALU_DEP_2) | instskip(SKIP_4) | instid1(VALU_DEP_2)
	v_fmac_f32_e32 v9, v11, v12
	s_wait_alu 0xfffd
	v_cndmask_b32_e32 v13, 0x7f800000, v34, vcc_lo
	v_cmp_nlt_f32_e32 vcc_lo, 0x42b17218, v15
	s_wait_loadcnt 0x6
	v_dual_fmac_f32 v9, v13, v14 :: v_dual_fmac_f32 v10, v6, v11
	v_cmp_ngt_f32_e64 s5, 0xc2ce8ed0, v25
	s_delay_alu instid0(VALU_DEP_2) | instskip(SKIP_1) | instid1(VALU_DEP_2)
	v_dual_fmac_f32 v10, v27, v13 :: v_dual_mul_f32 v35, 0x3fb8aa3b, v15
	s_wait_alu 0xf1ff
	v_cndmask_b32_e64 v40, 0, v40, s5
	s_delay_alu instid0(VALU_DEP_2) | instskip(SKIP_1) | instid1(VALU_DEP_2)
	v_xor_b32_e32 v45, 0x80000000, v35
	v_rndne_f32_e32 v46, v35
	v_fmac_f32_e32 v45, 0x3fb8aa3b, v15
	s_delay_alu instid0(VALU_DEP_2) | instskip(SKIP_1) | instid1(VALU_DEP_3)
	v_sub_f32_e32 v35, v35, v46
	v_cvt_i32_f32_e32 v46, v46
	v_fmac_f32_e32 v45, 0x32a5705f, v15
	s_delay_alu instid0(VALU_DEP_1) | instskip(NEXT) | instid1(VALU_DEP_1)
	v_add_f32_e32 v35, v35, v45
	v_exp_f32_e32 v35, v35
	s_delay_alu instid0(TRANS32_DEP_1) | instskip(NEXT) | instid1(VALU_DEP_1)
	v_ldexp_f32 v35, v35, v46
	v_cndmask_b32_e64 v35, 0, v35, s0
	v_cmp_nlt_f32_e64 s0, 0x42b17218, v25
	s_wait_alu 0xfffd
	s_delay_alu instid0(VALU_DEP_2) | instskip(SKIP_3) | instid1(VALU_DEP_2)
	v_cndmask_b32_e32 v6, 0x7f800000, v35, vcc_lo
	v_cmp_nlt_f32_e32 vcc_lo, 0x42b17218, v17
	s_wait_loadcnt 0x5
	s_wait_alu 0xfffd
	v_dual_fmac_f32 v10, v28, v6 :: v_dual_cndmask_b32 v11, 0x7f800000, v36
	v_cmp_nlt_f32_e32 vcc_lo, 0x42b17218, v19
	s_wait_loadcnt 0x4
	s_delay_alu instid0(VALU_DEP_2) | instskip(SKIP_1) | instid1(VALU_DEP_2)
	v_dual_fmac_f32 v9, v6, v16 :: v_dual_fmac_f32 v10, v29, v11
	v_mul_f32_e32 v37, 0x3fb8aa3b, v19
	v_fmac_f32_e32 v9, v11, v18
	s_delay_alu instid0(VALU_DEP_2) | instskip(SKIP_1) | instid1(VALU_DEP_2)
	v_xor_b32_e32 v49, 0x80000000, v37
	v_rndne_f32_e32 v50, v37
	v_fmac_f32_e32 v49, 0x3fb8aa3b, v19
	s_delay_alu instid0(VALU_DEP_2) | instskip(SKIP_1) | instid1(VALU_DEP_3)
	v_sub_f32_e32 v37, v37, v50
	v_cvt_i32_f32_e32 v50, v50
	v_fmac_f32_e32 v49, 0x32a5705f, v19
	s_delay_alu instid0(VALU_DEP_1) | instskip(NEXT) | instid1(VALU_DEP_1)
	v_add_f32_e32 v37, v37, v49
	v_exp_f32_e32 v37, v37
	s_delay_alu instid0(TRANS32_DEP_1) | instskip(NEXT) | instid1(VALU_DEP_1)
	v_ldexp_f32 v37, v37, v50
	v_cndmask_b32_e64 v37, 0, v37, s2
	s_wait_alu 0xfffd
	s_delay_alu instid0(VALU_DEP_1) | instskip(SKIP_2) | instid1(VALU_DEP_2)
	v_cndmask_b32_e32 v6, 0x7f800000, v37, vcc_lo
	v_cmp_nlt_f32_e32 vcc_lo, 0x42b17218, v21
	s_wait_loadcnt 0x3
	v_fmac_f32_e32 v10, v1, v6
	s_wait_alu 0xfffd
	v_cndmask_b32_e32 v11, 0x7f800000, v38, vcc_lo
	v_fmac_f32_e32 v9, v6, v20
	v_cmp_nlt_f32_e32 vcc_lo, 0x42b17218, v23
	s_wait_alu 0xf1ff
	v_cndmask_b32_e64 v6, 0x7f800000, v40, s0
	s_wait_loadcnt 0x2
	v_fmac_f32_e32 v10, v30, v11
	v_mul_f32_e32 v39, 0x3fb8aa3b, v23
	v_fmac_f32_e32 v9, v11, v22
	s_delay_alu instid0(VALU_DEP_2) | instskip(SKIP_1) | instid1(VALU_DEP_2)
	v_xor_b32_e32 v53, 0x80000000, v39
	v_rndne_f32_e32 v54, v39
	v_fmac_f32_e32 v53, 0x3fb8aa3b, v23
	s_delay_alu instid0(VALU_DEP_2) | instskip(SKIP_1) | instid1(VALU_DEP_3)
	v_sub_f32_e32 v39, v39, v54
	v_cvt_i32_f32_e32 v54, v54
	v_fmac_f32_e32 v53, 0x32a5705f, v23
	s_delay_alu instid0(VALU_DEP_1) | instskip(NEXT) | instid1(VALU_DEP_1)
	v_add_f32_e32 v39, v39, v53
	v_exp_f32_e32 v39, v39
	s_delay_alu instid0(TRANS32_DEP_1) | instskip(NEXT) | instid1(VALU_DEP_1)
	v_ldexp_f32 v39, v39, v54
	v_cndmask_b32_e64 v39, 0, v39, s4
	s_wait_alu 0xfffd
	s_delay_alu instid0(VALU_DEP_1)
	v_cndmask_b32_e32 v1, 0x7f800000, v39, vcc_lo
	v_add_co_u32 v3, vcc_lo, 0xc00, v3
	s_wait_alu 0xfffd
	v_add_co_ci_u32_e64 v4, null, 0, v4, vcc_lo
	s_wait_loadcnt 0x1
	v_dual_fmac_f32 v9, v1, v24 :: v_dual_fmac_f32 v10, v31, v1
	s_delay_alu instid0(VALU_DEP_1) | instskip(SKIP_1) | instid1(VALU_DEP_2)
	v_fmac_f32_e32 v9, v6, v26
	s_wait_loadcnt 0x0
	v_fmac_f32_e32 v10, v32, v6
	s_cbranch_scc0 .LBB18_14
; %bb.15:
	s_and_b32 s1, s14, 7
	s_wait_alu 0xfffe
	s_cmp_eq_u32 s1, 0
	s_cbranch_scc0 .LBB18_18
	s_branch .LBB18_20
.LBB18_16:
	v_mov_b32_e32 v0, 0x7fc00000
	s_branch .LBB18_21
.LBB18_17:
	v_dual_mov_b32 v10, 0 :: v_dual_mov_b32 v9, 0
	s_mov_b32 s15, 0
	s_and_b32 s1, s14, 7
	s_wait_alu 0xfffe
	s_cmp_eq_u32 s1, 0
	s_cbranch_scc1 .LBB18_20
.LBB18_18:
	v_mad_co_u64_u32 v[0:1], null, 0x60, s15, v[0:1]
	v_mov_b32_e32 v1, 0
	s_lshl_b64 s[2:3], s[10:11], 2
	s_lshl_b32 s0, s15, 3
	s_wait_alu 0xfffe
	s_add_nc_u64 s[2:3], s[8:9], s[2:3]
	s_delay_alu instid0(VALU_DEP_2) | instskip(SKIP_1) | instid1(VALU_DEP_1)
	v_lshlrev_b64_e32 v[0:1], 2, v[0:1]
	s_wait_alu 0xfffe
	v_add_co_u32 v0, vcc_lo, s2, v0
	s_wait_alu 0xfffd
	s_delay_alu instid0(VALU_DEP_2)
	v_add_co_ci_u32_e64 v1, null, s3, v1, vcc_lo
	s_add_co_i32 s2, s0, 0
.LBB18_19:                              ; =>This Inner Loop Header: Depth=1
	global_load_b32 v4, v[0:1], off
	s_wait_alu 0xfffe
	v_mov_b32_e32 v2, s2
	s_add_co_i32 s1, s1, -1
	s_add_co_i32 s2, s2, 8
	s_wait_alu 0xfffe
	s_cmp_lg_u32 s1, 0
	ds_load_b64 v[2:3], v2
	s_wait_dscnt 0x0
	v_sub_f32_e32 v2, v2, v8
	s_delay_alu instid0(VALU_DEP_1) | instskip(NEXT) | instid1(VALU_DEP_1)
	v_mul_f32_e32 v5, 0x3fb8aa3b, v2
	v_xor_b32_e32 v6, 0x80000000, v5
	v_rndne_f32_e32 v11, v5
	s_delay_alu instid0(VALU_DEP_1) | instskip(NEXT) | instid1(VALU_DEP_1)
	v_dual_fmac_f32 v6, 0x3fb8aa3b, v2 :: v_dual_sub_f32 v5, v5, v11
	v_fmac_f32_e32 v6, 0x32a5705f, v2
	s_delay_alu instid0(VALU_DEP_1) | instskip(SKIP_3) | instid1(VALU_DEP_4)
	v_add_f32_e32 v5, v5, v6
	v_cvt_i32_f32_e32 v6, v11
	v_cmp_ngt_f32_e32 vcc_lo, 0xc2ce8ed0, v2
	v_cmp_nlt_f32_e64 s0, 0x42b17218, v2
	v_exp_f32_e32 v5, v5
	s_delay_alu instid0(TRANS32_DEP_1) | instskip(SKIP_1) | instid1(VALU_DEP_1)
	v_ldexp_f32 v5, v5, v6
	s_wait_alu 0xfffd
	v_cndmask_b32_e32 v5, 0, v5, vcc_lo
	v_add_co_u32 v0, vcc_lo, 0x180, v0
	s_wait_alu 0xfffd
	v_add_co_ci_u32_e64 v1, null, 0, v1, vcc_lo
	s_wait_alu 0xf1ff
	v_cndmask_b32_e64 v2, 0x7f800000, v5, s0
	s_wait_loadcnt 0x0
	s_delay_alu instid0(VALU_DEP_1)
	v_dual_fmac_f32 v9, v2, v3 :: v_dual_fmac_f32 v10, v4, v2
	s_cbranch_scc1 .LBB18_19
.LBB18_20:
	s_delay_alu instid0(VALU_DEP_1) | instskip(NEXT) | instid1(VALU_DEP_1)
	v_div_scale_f32 v0, null, v9, v9, v10
	v_rcp_f32_e32 v1, v0
	s_delay_alu instid0(TRANS32_DEP_1) | instskip(NEXT) | instid1(VALU_DEP_1)
	v_fma_f32 v2, -v0, v1, 1.0
	v_fmac_f32_e32 v1, v2, v1
	v_div_scale_f32 v2, vcc_lo, v10, v9, v10
	s_delay_alu instid0(VALU_DEP_1) | instskip(NEXT) | instid1(VALU_DEP_1)
	v_mul_f32_e32 v3, v2, v1
	v_fma_f32 v4, -v0, v3, v2
	s_delay_alu instid0(VALU_DEP_1) | instskip(NEXT) | instid1(VALU_DEP_1)
	v_fmac_f32_e32 v3, v4, v1
	v_fma_f32 v0, -v0, v3, v2
	s_wait_alu 0xfffd
	s_delay_alu instid0(VALU_DEP_1) | instskip(NEXT) | instid1(VALU_DEP_1)
	v_div_fmas_f32 v0, v0, v1, v3
	v_div_fixup_f32 v0, v0, v9, v10
.LBB18_21:
	s_mul_i32 s0, s7, 0x60
	s_wait_alu 0xfffe
	s_ashr_i32 s1, s0, 31
	s_wait_alu 0xfffe
	s_lshl_b64 s[0:1], s[0:1], 2
	s_wait_alu 0xfffe
	s_add_nc_u64 s[0:1], s[12:13], s[0:1]
	global_store_b32 v7, v0, s[0:1]
	s_endpgm
	.section	.rodata,"a",@progbits
	.p2align	6, 0x0
	.amdhsa_kernel _ZL26flash_attn_combine_resultsILi96EEvPKfPK15HIP_vector_typeIfLj2EEPfi
		.amdhsa_group_segment_fixed_size 0
		.amdhsa_private_segment_fixed_size 0
		.amdhsa_kernarg_size 288
		.amdhsa_user_sgpr_count 2
		.amdhsa_user_sgpr_dispatch_ptr 0
		.amdhsa_user_sgpr_queue_ptr 0
		.amdhsa_user_sgpr_kernarg_segment_ptr 1
		.amdhsa_user_sgpr_dispatch_id 0
		.amdhsa_user_sgpr_private_segment_size 0
		.amdhsa_wavefront_size32 1
		.amdhsa_uses_dynamic_stack 0
		.amdhsa_enable_private_segment 0
		.amdhsa_system_sgpr_workgroup_id_x 1
		.amdhsa_system_sgpr_workgroup_id_y 1
		.amdhsa_system_sgpr_workgroup_id_z 1
		.amdhsa_system_sgpr_workgroup_info 0
		.amdhsa_system_vgpr_workitem_id 0
		.amdhsa_next_free_vgpr 57
		.amdhsa_next_free_sgpr 20
		.amdhsa_reserve_vcc 1
		.amdhsa_float_round_mode_32 0
		.amdhsa_float_round_mode_16_64 0
		.amdhsa_float_denorm_mode_32 3
		.amdhsa_float_denorm_mode_16_64 3
		.amdhsa_fp16_overflow 0
		.amdhsa_workgroup_processor_mode 1
		.amdhsa_memory_ordered 1
		.amdhsa_forward_progress 1
		.amdhsa_inst_pref_size 21
		.amdhsa_round_robin_scheduling 0
		.amdhsa_exception_fp_ieee_invalid_op 0
		.amdhsa_exception_fp_denorm_src 0
		.amdhsa_exception_fp_ieee_div_zero 0
		.amdhsa_exception_fp_ieee_overflow 0
		.amdhsa_exception_fp_ieee_underflow 0
		.amdhsa_exception_fp_ieee_inexact 0
		.amdhsa_exception_int_div_zero 0
	.end_amdhsa_kernel
	.section	.text._ZL26flash_attn_combine_resultsILi96EEvPKfPK15HIP_vector_typeIfLj2EEPfi,"axG",@progbits,_ZL26flash_attn_combine_resultsILi96EEvPKfPK15HIP_vector_typeIfLj2EEPfi,comdat
.Lfunc_end18:
	.size	_ZL26flash_attn_combine_resultsILi96EEvPKfPK15HIP_vector_typeIfLj2EEPfi, .Lfunc_end18-_ZL26flash_attn_combine_resultsILi96EEvPKfPK15HIP_vector_typeIfLj2EEPfi
                                        ; -- End function
	.set _ZL26flash_attn_combine_resultsILi96EEvPKfPK15HIP_vector_typeIfLj2EEPfi.num_vgpr, 57
	.set _ZL26flash_attn_combine_resultsILi96EEvPKfPK15HIP_vector_typeIfLj2EEPfi.num_agpr, 0
	.set _ZL26flash_attn_combine_resultsILi96EEvPKfPK15HIP_vector_typeIfLj2EEPfi.numbered_sgpr, 20
	.set _ZL26flash_attn_combine_resultsILi96EEvPKfPK15HIP_vector_typeIfLj2EEPfi.num_named_barrier, 0
	.set _ZL26flash_attn_combine_resultsILi96EEvPKfPK15HIP_vector_typeIfLj2EEPfi.private_seg_size, 0
	.set _ZL26flash_attn_combine_resultsILi96EEvPKfPK15HIP_vector_typeIfLj2EEPfi.uses_vcc, 1
	.set _ZL26flash_attn_combine_resultsILi96EEvPKfPK15HIP_vector_typeIfLj2EEPfi.uses_flat_scratch, 0
	.set _ZL26flash_attn_combine_resultsILi96EEvPKfPK15HIP_vector_typeIfLj2EEPfi.has_dyn_sized_stack, 0
	.set _ZL26flash_attn_combine_resultsILi96EEvPKfPK15HIP_vector_typeIfLj2EEPfi.has_recursion, 0
	.set _ZL26flash_attn_combine_resultsILi96EEvPKfPK15HIP_vector_typeIfLj2EEPfi.has_indirect_call, 0
	.section	.AMDGPU.csdata,"",@progbits
; Kernel info:
; codeLenInByte = 2660
; TotalNumSgprs: 22
; NumVgprs: 57
; ScratchSize: 0
; MemoryBound: 0
; FloatMode: 240
; IeeeMode: 1
; LDSByteSize: 0 bytes/workgroup (compile time only)
; SGPRBlocks: 0
; VGPRBlocks: 7
; NumSGPRsForWavesPerEU: 22
; NumVGPRsForWavesPerEU: 57
; Occupancy: 16
; WaveLimiterHint : 0
; COMPUTE_PGM_RSRC2:SCRATCH_EN: 0
; COMPUTE_PGM_RSRC2:USER_SGPR: 2
; COMPUTE_PGM_RSRC2:TRAP_HANDLER: 0
; COMPUTE_PGM_RSRC2:TGID_X_EN: 1
; COMPUTE_PGM_RSRC2:TGID_Y_EN: 1
; COMPUTE_PGM_RSRC2:TGID_Z_EN: 1
; COMPUTE_PGM_RSRC2:TIDIG_COMP_CNT: 0
	.section	.text._ZL18flash_attn_ext_f16ILi112ELi112ELi8ELi2ELb0ELb0EEvPKcS1_S1_S1_S1_PKiPfP15HIP_vector_typeIfLj2EEffffjfiS5_IjLj3EEiiiiiiiiiiiliiliiiiil,"axG",@progbits,_ZL18flash_attn_ext_f16ILi112ELi112ELi8ELi2ELb0ELb0EEvPKcS1_S1_S1_S1_PKiPfP15HIP_vector_typeIfLj2EEffffjfiS5_IjLj3EEiiiiiiiiiiiliiliiiiil,comdat
	.globl	_ZL18flash_attn_ext_f16ILi112ELi112ELi8ELi2ELb0ELb0EEvPKcS1_S1_S1_S1_PKiPfP15HIP_vector_typeIfLj2EEffffjfiS5_IjLj3EEiiiiiiiiiiiliiliiiiil ; -- Begin function _ZL18flash_attn_ext_f16ILi112ELi112ELi8ELi2ELb0ELb0EEvPKcS1_S1_S1_S1_PKiPfP15HIP_vector_typeIfLj2EEffffjfiS5_IjLj3EEiiiiiiiiiiiliiliiiiil
	.p2align	8
	.type	_ZL18flash_attn_ext_f16ILi112ELi112ELi8ELi2ELb0ELb0EEvPKcS1_S1_S1_S1_PKiPfP15HIP_vector_typeIfLj2EEffffjfiS5_IjLj3EEiiiiiiiiiiiliiliiiiil,@function
_ZL18flash_attn_ext_f16ILi112ELi112ELi8ELi2ELb0ELb0EEvPKcS1_S1_S1_S1_PKiPfP15HIP_vector_typeIfLj2EEffffjfiS5_IjLj3EEiiiiiiiiiiiliiliiiiil: ; @_ZL18flash_attn_ext_f16ILi112ELi112ELi8ELi2ELb0ELb0EEvPKcS1_S1_S1_S1_PKiPfP15HIP_vector_typeIfLj2EEffffjfiS5_IjLj3EEiiiiiiiiiiiliiliiiiil
; %bb.0:
	s_clause 0x1
	s_load_b64 s[2:3], s[0:1], 0x80
	s_load_b128 s[24:27], s[0:1], 0x64
	s_mov_b32 s42, ttmp9
	s_mov_b32 s43, 0
                                        ; implicit-def: $vgpr255 : SGPR spill to VGPR lane
	s_wait_kmcnt 0x0
	s_abs_i32 s4, s3
	s_abs_i32 s7, s25
	s_cvt_f32_u32 s5, s4
	s_sub_co_i32 s6, 0, s4
	s_delay_alu instid0(SALU_CYCLE_2) | instskip(NEXT) | instid1(TRANS32_DEP_1)
	v_rcp_iflag_f32_e32 v1, s5
	v_readfirstlane_b32 s5, v1
	s_mul_f32 s5, s5, 0x4f7ffffe
	s_wait_alu 0xfffe
	s_delay_alu instid0(SALU_CYCLE_2) | instskip(SKIP_1) | instid1(SALU_CYCLE_2)
	s_cvt_u32_f32 s5, s5
	s_wait_alu 0xfffe
	s_mul_i32 s6, s6, s5
	s_delay_alu instid0(SALU_CYCLE_1) | instskip(NEXT) | instid1(SALU_CYCLE_1)
	s_mul_hi_u32 s6, s5, s6
	s_add_co_i32 s5, s5, s6
	s_xor_b32 s6, s25, s3
	s_wait_alu 0xfffe
	s_mul_hi_u32 s5, s7, s5
	s_ashr_i32 s6, s6, 31
	s_wait_alu 0xfffe
	s_mul_i32 s8, s5, s4
	s_delay_alu instid0(SALU_CYCLE_1)
	s_sub_co_i32 s7, s7, s8
	s_add_co_i32 s8, s5, 1
	s_sub_co_i32 s9, s7, s4
	s_cmp_ge_u32 s7, s4
	s_cselect_b32 s5, s8, s5
	s_cselect_b32 s7, s9, s7
	s_wait_alu 0xfffe
	s_add_co_i32 s8, s5, 1
	s_cmp_ge_u32 s7, s4
	s_cselect_b32 s4, s8, s5
	s_add_co_i32 s2, s2, 31
	s_wait_alu 0xfffe
	s_xor_b32 s4, s4, s6
	s_add_co_i32 s5, s24, 7
	s_ashr_i32 s7, s2, 31
	s_wait_alu 0xfffe
	s_sub_co_i32 s33, s4, s6
	s_lshr_b32 s8, s5, 3
	s_lshr_b32 s4, s7, 27
	s_add_co_i32 s5, s33, 1
	s_wait_alu 0xfffe
	s_add_co_i32 s2, s2, s4
	s_lshr_b32 s4, s5, 31
	s_ashr_i32 s100, s2, 5
	s_wait_alu 0xfffe
	s_add_co_i32 s5, s5, s4
	s_mul_i32 s97, s8, s100
	s_wait_alu 0xfffe
	s_ashr_i32 s2, s5, 1
	v_writelane_b32 v255, s8, 0
	s_mul_i32 s98, s97, s2
	s_mov_b32 s4, s43
	s_mul_i32 s99, s98, s3
	s_delay_alu instid0(SALU_CYCLE_1) | instskip(NEXT) | instid1(SALU_CYCLE_1)
	s_mul_i32 s2, s99, s26
	s_ashr_i32 s3, s2, 31
	s_delay_alu instid0(SALU_CYCLE_1)
	s_mul_u64 s[6:7], s[2:3], s[42:43]
	s_load_b32 s42, s[0:1], 0xd0
	s_mov_b32 s5, s7
	s_wait_alu 0xfffe
	s_cmp_lg_u64 s[4:5], 0
	s_wait_kmcnt 0x0
	s_add_nc_u64 s[4:5], s[42:43], 0
	s_cbranch_scc0 .LBB19_485
; %bb.1:
	s_wait_alu 0xfffe
	s_xor_b64 s[8:9], s[4:5], 0
	s_mov_b32 s15, s43
	s_wait_alu 0xfffe
	s_cvt_f32_u32 s10, s8
	s_cvt_f32_u32 s11, s9
	s_sub_nc_u64 s[12:13], 0, s[8:9]
	s_mov_b32 s19, s43
	s_delay_alu instid0(SALU_CYCLE_1) | instskip(NEXT) | instid1(SALU_CYCLE_3)
	s_fmamk_f32 s10, s11, 0x4f800000, s10
	v_s_rcp_f32 s10, s10
	s_delay_alu instid0(TRANS32_DEP_1) | instskip(SKIP_1) | instid1(SALU_CYCLE_2)
	s_mul_f32 s10, s10, 0x5f7ffffc
	s_wait_alu 0xfffe
	s_mul_f32 s11, s10, 0x2f800000
	s_wait_alu 0xfffe
	s_delay_alu instid0(SALU_CYCLE_2) | instskip(SKIP_1) | instid1(SALU_CYCLE_2)
	s_trunc_f32 s11, s11
	s_wait_alu 0xfffe
	s_fmamk_f32 s10, s11, 0xcf800000, s10
	s_cvt_u32_f32 s11, s11
	s_wait_alu 0xfffe
	s_delay_alu instid0(SALU_CYCLE_1) | instskip(SKIP_1) | instid1(SALU_CYCLE_2)
	s_cvt_u32_f32 s10, s10
	s_wait_alu 0xfffe
	s_mul_u64 s[16:17], s[12:13], s[10:11]
	s_delay_alu instid0(SALU_CYCLE_1)
	s_mul_hi_u32 s21, s10, s17
	s_mul_i32 s20, s10, s17
	s_mul_hi_u32 s14, s10, s16
	s_mul_i32 s22, s11, s16
	s_add_nc_u64 s[14:15], s[14:15], s[20:21]
	s_mul_hi_u32 s18, s11, s16
	s_mul_hi_u32 s23, s11, s17
	s_add_co_u32 s14, s14, s22
	s_add_co_ci_u32 s18, s15, s18
	s_mul_i32 s16, s11, s17
	s_add_co_ci_u32 s17, s23, 0
	s_delay_alu instid0(SALU_CYCLE_1) | instskip(SKIP_3) | instid1(SALU_CYCLE_1)
	s_add_nc_u64 s[14:15], s[18:19], s[16:17]
	s_mov_b32 s17, s43
	s_add_co_u32 s10, s10, s14
	s_cselect_b32 s14, -1, 0
	s_cmp_lg_u32 s14, 0
	s_add_co_ci_u32 s11, s11, s15
	s_mov_b32 s15, s43
	s_wait_alu 0xfffe
	s_mul_u64 s[12:13], s[12:13], s[10:11]
	s_delay_alu instid0(SALU_CYCLE_1)
	s_mul_hi_u32 s19, s10, s13
	s_mul_i32 s18, s10, s13
	s_mul_hi_u32 s14, s10, s12
	s_mul_i32 s20, s11, s12
	s_add_nc_u64 s[14:15], s[14:15], s[18:19]
	s_mul_hi_u32 s16, s11, s12
	s_mul_hi_u32 s21, s11, s13
	s_mul_i32 s12, s11, s13
	s_add_co_u32 s13, s14, s20
	s_add_co_ci_u32 s16, s15, s16
	s_add_co_ci_u32 s13, s21, 0
	s_mov_b32 s15, s43
	s_add_nc_u64 s[12:13], s[16:17], s[12:13]
	s_delay_alu instid0(SALU_CYCLE_1)
	s_add_co_u32 s16, s10, s12
	s_cselect_b32 s10, -1, 0
	s_wait_alu 0xfffe
	s_cmp_lg_u32 s10, 0
	s_add_co_ci_u32 s20, s11, s13
	s_ashr_i32 s10, s7, 31
	s_wait_alu 0xfffe
	s_mov_b32 s11, s10
	s_wait_alu 0xfffe
	s_add_nc_u64 s[12:13], s[6:7], s[10:11]
	s_delay_alu instid0(SALU_CYCLE_1) | instskip(NEXT) | instid1(SALU_CYCLE_1)
	s_xor_b64 s[12:13], s[12:13], s[10:11]
	s_mul_hi_u32 s19, s12, s20
	s_mul_i32 s18, s12, s20
	s_mul_hi_u32 s14, s12, s16
	s_mul_hi_u32 s21, s13, s16
	s_mul_i32 s16, s13, s16
	s_add_nc_u64 s[14:15], s[14:15], s[18:19]
	s_mul_hi_u32 s7, s13, s20
	s_add_co_u32 s14, s14, s16
	s_add_co_ci_u32 s16, s15, s21
	s_mul_i32 s18, s13, s20
	s_add_co_ci_u32 s19, s7, 0
	s_delay_alu instid0(SALU_CYCLE_1) | instskip(NEXT) | instid1(SALU_CYCLE_1)
	s_add_nc_u64 s[14:15], s[16:17], s[18:19]
	s_mul_u64 s[16:17], s[8:9], s[14:15]
	s_delay_alu instid0(SALU_CYCLE_1)
	s_sub_co_u32 s7, s12, s16
	s_cselect_b32 s12, -1, 0
	s_sub_co_i32 s16, s13, s17
	s_cmp_lg_u32 s12, 0
	s_sub_co_ci_u32 s16, s16, s9
	s_sub_co_u32 s18, s7, s8
	s_cselect_b32 s19, -1, 0
	s_delay_alu instid0(SALU_CYCLE_1) | instskip(SKIP_1) | instid1(SALU_CYCLE_1)
	s_cmp_lg_u32 s19, 0
	s_sub_co_ci_u32 s16, s16, 0
	s_cmp_ge_u32 s16, s9
	s_cselect_b32 s20, -1, 0
	s_cmp_ge_u32 s18, s8
	s_add_nc_u64 s[18:19], s[14:15], 1
	s_cselect_b32 s21, -1, 0
	s_cmp_eq_u32 s16, s9
	s_cselect_b32 s16, s21, s20
	s_add_nc_u64 s[20:21], s[14:15], 2
	s_cmp_lg_u32 s16, 0
	s_cselect_b32 s16, s20, s18
	s_cselect_b32 s18, s21, s19
	s_cmp_lg_u32 s12, 0
	s_sub_co_ci_u32 s12, s13, s17
	s_delay_alu instid0(SALU_CYCLE_1)
	s_cmp_ge_u32 s12, s9
	s_cselect_b32 s13, -1, 0
	s_cmp_ge_u32 s7, s8
	s_cselect_b32 s7, -1, 0
	s_cmp_eq_u32 s12, s9
	s_cselect_b32 s7, s7, s13
	s_delay_alu instid0(SALU_CYCLE_1)
	s_cmp_lg_u32 s7, 0
	s_cselect_b32 s9, s18, s15
	s_cselect_b32 s8, s16, s14
	s_xor_b64 s[10:11], s[10:11], 0
	s_wait_alu 0xfffe
	s_xor_b64 s[8:9], s[8:9], s[10:11]
	s_wait_alu 0xfffe
	s_sub_nc_u64 s[48:49], s[8:9], s[10:11]
	s_load_b64 s[46:47], s[0:1], 0x74
	v_cvt_f32_u32_e32 v1, s42
	s_and_not1_b32 vcc_lo, exec_lo, s43
	s_cbranch_vccnz .LBB19_3
.LBB19_2:
	s_delay_alu instid0(VALU_DEP_1) | instskip(SKIP_1) | instid1(TRANS32_DEP_1)
	v_rcp_iflag_f32_e32 v2, v1
	s_sub_co_i32 s8, 0, s42
	v_mul_f32_e32 v2, 0x4f7ffffe, v2
	s_delay_alu instid0(VALU_DEP_1) | instskip(NEXT) | instid1(VALU_DEP_1)
	v_cvt_u32_f32_e32 v2, v2
	v_readfirstlane_b32 s7, v2
	s_wait_alu 0xfffe
	s_mul_i32 s8, s8, s7
	s_wait_alu 0xfffe
	s_mul_hi_u32 s8, s7, s8
	s_wait_alu 0xfffe
	s_add_co_i32 s7, s7, s8
	s_delay_alu instid0(SALU_CYCLE_1) | instskip(NEXT) | instid1(SALU_CYCLE_1)
	s_mul_hi_u32 s7, s6, s7
	s_mul_i32 s8, s7, s42
	s_wait_alu 0xfffe
	s_sub_co_i32 s6, s6, s8
	s_add_co_i32 s8, s7, 1
	s_sub_co_i32 s9, s6, s42
	s_cmp_ge_u32 s6, s42
	s_wait_alu 0xfffe
	s_cselect_b32 s7, s8, s7
	s_cselect_b32 s6, s9, s6
	s_add_co_i32 s8, s7, 1
	s_cmp_ge_u32 s6, s42
	s_wait_alu 0xfffe
	s_cselect_b32 s48, s8, s7
.LBB19_3:
	s_add_co_i32 s6, ttmp9, 1
	s_mov_b32 s7, 0
	s_delay_alu instid0(SALU_CYCLE_1)
	s_mul_u64 s[2:3], s[2:3], s[6:7]
	s_mov_b32 s8, s7
	s_mov_b32 s9, s3
	s_wait_alu 0xfffe
	s_cmp_lg_u64 s[8:9], 0
	s_cbranch_scc0 .LBB19_486
; %bb.4:
	s_xor_b64 s[4:5], s[4:5], 0
	s_wait_alu 0xfffe
	s_cvt_f32_u32 s6, s4
	s_cvt_f32_u32 s8, s5
	s_sub_nc_u64 s[10:11], 0, s[4:5]
	s_wait_alu 0xfffe
	s_delay_alu instid0(SALU_CYCLE_1) | instskip(NEXT) | instid1(SALU_CYCLE_3)
	s_fmamk_f32 s6, s8, 0x4f800000, s6
	v_s_rcp_f32 s6, s6
	s_delay_alu instid0(TRANS32_DEP_1) | instskip(SKIP_1) | instid1(SALU_CYCLE_2)
	s_mul_f32 s6, s6, 0x5f7ffffc
	s_wait_alu 0xfffe
	s_mul_f32 s8, s6, 0x2f800000
	s_wait_alu 0xfffe
	s_delay_alu instid0(SALU_CYCLE_2) | instskip(SKIP_1) | instid1(SALU_CYCLE_2)
	s_trunc_f32 s8, s8
	s_wait_alu 0xfffe
	s_fmamk_f32 s6, s8, 0xcf800000, s6
	s_cvt_u32_f32 s9, s8
	s_wait_alu 0xfffe
	s_delay_alu instid0(SALU_CYCLE_1) | instskip(SKIP_1) | instid1(SALU_CYCLE_2)
	s_cvt_u32_f32 s8, s6
	s_wait_alu 0xfffe
	s_mul_u64 s[12:13], s[10:11], s[8:9]
	s_delay_alu instid0(SALU_CYCLE_1)
	s_mul_hi_u32 s15, s8, s13
	s_mul_i32 s14, s8, s13
	s_mul_hi_u32 s6, s8, s12
	s_mul_i32 s17, s9, s12
	s_wait_alu 0xfffe
	s_add_nc_u64 s[14:15], s[6:7], s[14:15]
	s_mul_hi_u32 s16, s9, s12
	s_mul_hi_u32 s18, s9, s13
	s_add_co_u32 s6, s14, s17
	s_add_co_ci_u32 s6, s15, s16
	s_mul_i32 s12, s9, s13
	s_add_co_ci_u32 s13, s18, 0
	s_wait_alu 0xfffe
	s_add_nc_u64 s[12:13], s[6:7], s[12:13]
	s_delay_alu instid0(SALU_CYCLE_1)
	s_add_co_u32 s8, s8, s12
	s_cselect_b32 s6, -1, 0
	s_wait_alu 0xfffe
	s_cmp_lg_u32 s6, 0
	s_add_co_ci_u32 s9, s9, s13
	s_wait_alu 0xfffe
	s_mul_u64 s[10:11], s[10:11], s[8:9]
	s_wait_alu 0xfffe
	s_mul_hi_u32 s13, s8, s11
	s_mul_i32 s12, s8, s11
	s_mul_hi_u32 s6, s8, s10
	s_mul_i32 s15, s9, s10
	s_wait_alu 0xfffe
	s_add_nc_u64 s[12:13], s[6:7], s[12:13]
	s_mul_hi_u32 s14, s9, s10
	s_mul_hi_u32 s16, s9, s11
	s_add_co_u32 s6, s12, s15
	s_add_co_ci_u32 s6, s13, s14
	s_mul_i32 s10, s9, s11
	s_add_co_ci_u32 s11, s16, 0
	s_wait_alu 0xfffe
	s_add_nc_u64 s[10:11], s[6:7], s[10:11]
	s_wait_alu 0xfffe
	s_add_co_u32 s14, s8, s10
	s_cselect_b32 s6, -1, 0
	s_wait_alu 0xfffe
	s_cmp_lg_u32 s6, 0
	s_add_co_ci_u32 s15, s9, s11
	s_ashr_i32 s8, s3, 31
	s_wait_alu 0xfffe
	s_mov_b32 s9, s8
	s_wait_alu 0xfffe
	s_add_nc_u64 s[10:11], s[2:3], s[8:9]
	s_wait_alu 0xfffe
	s_xor_b64 s[10:11], s[10:11], s[8:9]
	s_wait_alu 0xfffe
	s_mul_hi_u32 s13, s10, s15
	s_mul_i32 s12, s10, s15
	s_mul_hi_u32 s6, s10, s14
	s_mul_i32 s17, s11, s14
	s_wait_alu 0xfffe
	s_add_nc_u64 s[12:13], s[6:7], s[12:13]
	s_mul_hi_u32 s16, s11, s14
	s_mul_hi_u32 s3, s11, s15
	s_add_co_u32 s6, s12, s17
	s_add_co_ci_u32 s6, s13, s16
	s_mul_i32 s14, s11, s15
	s_add_co_ci_u32 s15, s3, 0
	s_wait_alu 0xfffe
	s_add_nc_u64 s[12:13], s[6:7], s[14:15]
	s_delay_alu instid0(SALU_CYCLE_1) | instskip(NEXT) | instid1(SALU_CYCLE_1)
	s_mul_u64 s[14:15], s[4:5], s[12:13]
	s_sub_co_u32 s3, s10, s14
	s_cselect_b32 s6, -1, 0
	s_sub_co_i32 s10, s11, s15
	s_wait_alu 0xfffe
	s_cmp_lg_u32 s6, 0
	s_sub_co_ci_u32 s10, s10, s5
	s_sub_co_u32 s14, s3, s4
	s_cselect_b32 s16, -1, 0
	s_delay_alu instid0(SALU_CYCLE_1)
	s_cmp_lg_u32 s16, 0
	s_add_nc_u64 s[16:17], s[12:13], 1
	s_wait_alu 0xfffe
	s_sub_co_ci_u32 s10, s10, 0
	s_wait_alu 0xfffe
	s_cmp_ge_u32 s10, s5
	s_cselect_b32 s18, -1, 0
	s_cmp_ge_u32 s14, s4
	s_cselect_b32 s14, -1, 0
	s_cmp_eq_u32 s10, s5
	s_cselect_b32 s10, s14, s18
	s_add_nc_u64 s[18:19], s[12:13], 2
	s_wait_alu 0xfffe
	s_cmp_lg_u32 s10, 0
	s_cselect_b32 s10, s18, s16
	s_cselect_b32 s14, s19, s17
	s_cmp_lg_u32 s6, 0
	s_sub_co_ci_u32 s6, s11, s15
	s_wait_alu 0xfffe
	s_cmp_ge_u32 s6, s5
	s_cselect_b32 s11, -1, 0
	s_cmp_ge_u32 s3, s4
	s_cselect_b32 s3, -1, 0
	s_cmp_eq_u32 s6, s5
	s_wait_alu 0xfffe
	s_cselect_b32 s3, s3, s11
	s_delay_alu instid0(SALU_CYCLE_1)
	s_cmp_lg_u32 s3, 0
	s_cselect_b32 s5, s14, s13
	s_cselect_b32 s4, s10, s12
	s_xor_b64 s[8:9], s[8:9], 0
	s_wait_alu 0xfffe
	s_xor_b64 s[4:5], s[4:5], s[8:9]
	s_wait_alu 0xfffe
	s_sub_nc_u64 s[54:55], s[4:5], s[8:9]
	s_load_b64 s[38:39], s[0:1], 0x5c
	s_and_not1_b32 vcc_lo, exec_lo, s7
	s_cbranch_vccnz .LBB19_6
.LBB19_5:
	v_rcp_iflag_f32_e32 v1, v1
	s_sub_co_i32 s4, 0, s42
	s_delay_alu instid0(TRANS32_DEP_1) | instskip(NEXT) | instid1(VALU_DEP_1)
	v_mul_f32_e32 v1, 0x4f7ffffe, v1
	v_cvt_u32_f32_e32 v1, v1
	s_delay_alu instid0(VALU_DEP_1)
	v_readfirstlane_b32 s3, v1
	s_wait_alu 0xfffe
	s_mul_i32 s4, s4, s3
	s_wait_alu 0xfffe
	s_mul_hi_u32 s4, s3, s4
	s_wait_alu 0xfffe
	s_add_co_i32 s3, s3, s4
	s_delay_alu instid0(SALU_CYCLE_1) | instskip(NEXT) | instid1(SALU_CYCLE_1)
	s_mul_hi_u32 s3, s2, s3
	s_mul_i32 s4, s3, s42
	s_wait_alu 0xfffe
	s_sub_co_i32 s2, s2, s4
	s_add_co_i32 s4, s3, 1
	s_sub_co_i32 s5, s2, s42
	s_cmp_ge_u32 s2, s42
	s_wait_alu 0xfffe
	s_cselect_b32 s3, s4, s3
	s_cselect_b32 s2, s5, s2
	s_add_co_i32 s4, s3, 1
	s_cmp_ge_u32 s2, s42
	s_wait_alu 0xfffe
	s_cselect_b32 s54, s4, s3
.LBB19_6:
	s_abs_i32 s55, s100
	s_ashr_i32 s35, s27, 3
	s_cvt_f32_u32 s2, s55
	s_wait_kmcnt 0x0
	s_ashr_i32 s68, s46, 3
	s_ashr_i32 s101, s100, 31
	v_bfe_u32 v116, v0, 10, 10
	v_rcp_iflag_f32_e32 v1, s2
	s_clause 0x6
	s_load_b512 s[8:23], s[0:1], 0x0
	s_load_b32 s2, s[0:1], 0x40
	s_load_b64 s[6:7], s[0:1], 0x8c
	s_load_b128 s[28:31], s[0:1], 0x98
	s_load_b64 s[4:5], s[0:1], 0xa8
	s_load_b64 s[50:51], s[0:1], 0xb8
	;; [unrolled: 1-line block ×3, first 2 shown]
	s_ashr_i32 s1, s48, 31
	v_bfe_u32 v118, v0, 10, 1
	v_and_b32_e32 v60, 0x3ff, v0
	v_lshrrev_b32_e32 v99, 10, v0
	v_lshlrev_b32_e32 v220, 1, v116
	v_lshlrev_b32_e32 v93, 2, v116
	;; [unrolled: 1-line block ×3, first 2 shown]
	v_readfirstlane_b32 s3, v1
	v_add_nc_u32_e32 v103, 2, v116
	v_add_nc_u32_e32 v102, 4, v116
	;; [unrolled: 1-line block ×4, first 2 shown]
	s_mul_f32 s0, s3, 0x4f7ffffe
	s_abs_i32 s3, s48
	v_add_nc_u32_e32 v97, 10, v116
	v_add_nc_u32_e32 v96, 12, v116
	s_cvt_u32_f32 s0, s0
	s_wait_kmcnt 0x0
	s_ashr_i32 s26, s6, 2
	v_writelane_b32 v255, s4, 1
	s_ashr_i32 s40, s51, 1
	s_ashr_i32 s36, s30, 2
	v_add_nc_u32_e32 v95, 14, v116
	s_mov_b32 s57, 0
	v_writelane_b32 v255, s5, 2
	s_sub_co_i32 s4, 0, s55
	s_cvt_f16_f32 s27, s2
	s_wait_alu 0xfffe
	s_mul_i32 s4, s4, s0
	s_mov_b32 s53, s57
	s_wait_alu 0xfffe
	s_mul_hi_u32 s4, s0, s4
	s_wait_alu 0xfffe
	s_add_co_i32 s52, s0, s4
	s_delay_alu instid0(SALU_CYCLE_1) | instskip(NEXT) | instid1(SALU_CYCLE_1)
	s_mul_hi_u32 s0, s3, s52
	s_mul_i32 s0, s0, s55
	s_delay_alu instid0(SALU_CYCLE_1) | instskip(NEXT) | instid1(SALU_CYCLE_1)
	s_sub_co_i32 s0, s3, s0
	s_sub_co_i32 s3, s0, s55
	s_cmp_ge_u32 s0, s55
	s_wait_alu 0xfffe
	s_cselect_b32 s0, s3, s0
	s_delay_alu instid0(SALU_CYCLE_1)
	s_sub_co_i32 s3, s0, s55
	s_cmp_ge_u32 s0, s55
	s_wait_alu 0xfffe
	s_cselect_b32 s0, s3, s0
	s_sub_co_i32 s3, s54, s48
	s_xor_b32 s0, s0, s1
	s_delay_alu instid0(SALU_CYCLE_1) | instskip(SKIP_3) | instid1(SALU_CYCLE_1)
	s_sub_co_i32 s34, s0, s1
	v_cmp_eq_u32_e64 s0, 0, v118
	s_wait_alu 0xfffe
	s_add_co_i32 s1, s3, s34
	s_min_i32 s96, s100, s1
	s_cmp_gt_i32 s54, s48
	s_cselect_b32 s3, -1, 0
	s_cmp_le_i32 s54, s48
	s_cselect_b32 s4, -1, 0
	s_cmp_gt_i32 s100, s1
	s_cselect_b32 s1, -1, 0
	s_wait_alu 0xfffe
	s_or_b32 s1, s1, s4
	s_delay_alu instid0(SALU_CYCLE_1)
	s_and_b32 vcc_lo, exec_lo, s1
	s_cbranch_vccz .LBB19_9
; %bb.7:
	s_and_not1_b32 vcc_lo, exec_lo, s3
	s_cbranch_vccz .LBB19_425
.LBB19_8:
	s_endpgm
.LBB19_9:
	v_lshlrev_b32_e32 v8, 4, v116
	v_bfe_u32 v2, v0, 1, 9
	v_and_b32_e32 v1, 0x1f0, v221
	v_and_b32_e32 v128, 15, v0
	;; [unrolled: 1-line block ×5, first 2 shown]
	v_mad_u32_u24 v4, 0xf0, v1, 0
	v_mul_u32_u24_e32 v5, 0xf0, v128
	v_dual_mov_b32 v219, 0 :: v_dual_lshlrev_b32 v16, 2, v60
	s_delay_alu instid0(VALU_DEP_4) | instskip(SKIP_1) | instid1(VALU_DEP_4)
	v_add_nc_u16 v7, v6, v7
	v_bfe_u32 v10, v0, 2, 8
	v_add3_u32 v129, v4, v5, v11
	v_and_or_b32 v4, v0, 14, v1
	v_add_nc_u32_e32 v17, v2, v8
	v_lshrrev_b16 v7, 1, v7
	v_add_nc_u32_e32 v18, v10, v221
	v_and_b32_e32 v1, 4, v16
	v_lshrrev_b32_e32 v4, 1, v4
	v_lshlrev_b32_e32 v10, 1, v10
	v_and_b32_e32 v7, 0xffff, v7
	v_and_b32_e32 v2, 12, v16
	v_mad_u32_u24 v15, 0xf0, v17, 0
	v_mul_u32_u24_e32 v4, 0x50, v4
	v_and_b32_e32 v13, 24, v10
	v_or_b32_e32 v14, 6, v10
	v_or_b32_e32 v10, 7, v10
	v_lshlrev_b32_e32 v19, 2, v1
	v_mad_u32_u24 v6, 0xf0, v6, 0
	v_lshlrev_b32_e32 v7, 2, v7
	v_bfe_u32 v131, v99, 1, 9
	v_mul_u32_u24_e32 v12, 0xf0, v18
	v_mul_u32_u24_e32 v13, 0xf0, v13
	;; [unrolled: 1-line block ×4, first 2 shown]
	v_lshlrev_b32_e32 v20, 2, v2
	v_add3_u32 v130, v15, v19, 0xc0
	v_lshlrev_b32_e32 v15, 1, v128
	v_add3_u32 v132, v6, v5, v11
	v_add3_u32 v133, 0, v4, v7
	v_and_b32_e32 v5, 0x400, v0
	v_add_nc_u32_e32 v4, 1, v131
	v_add_nc_u32_e32 v46, 2, v131
	v_add3_u32 v45, 0, v12, v20
	v_add3_u32 v134, v6, v13, v15
	;; [unrolled: 1-line block ×4, first 2 shown]
	v_cmp_ne_u32_e64 s1, 0, v5
	v_lshlrev_b32_e32 v6, 1, v4
	v_and_b32_e32 v10, 15, v4
	v_lshlrev_b32_e32 v12, 1, v46
	v_and_b32_e32 v13, 15, v46
	v_add_nc_u32_e32 v5, 3, v131
	v_bfe_u32 v3, v0, 4, 6
	v_bfe_u32 v9, v0, 3, 7
	v_and_or_b32 v47, 0x60, v6, v10
	v_and_or_b32 v48, 0x60, v12, v13
	v_add_nc_u32_e32 v49, 4, v131
	v_lshlrev_b32_e32 v10, 1, v5
	v_and_b32_e32 v12, 15, v5
	v_add_nc_u32_e32 v6, 5, v131
	v_add_nc_u32_e32 v50, 6, v131
	v_lshlrev_b32_e32 v13, 1, v49
	v_and_b32_e32 v14, 15, v49
	v_and_or_b32 v51, 0x60, v10, v12
	v_add_nc_u32_e32 v10, 7, v131
	v_add_nc_u32_e32 v30, v93, v9
	v_add_nc_u16 v91, v220, v3
	v_add_nc_u16 v93, v93, v9
	v_add_nc_u32_e32 v7, v3, v116
	v_lshlrev_b32_e32 v15, 1, v6
	v_and_b32_e32 v20, 15, v6
	v_lshlrev_b32_e32 v21, 1, v50
	v_and_b32_e32 v22, 15, v50
	v_and_or_b32 v52, 0x60, v13, v14
	v_add_nc_u32_e32 v55, 8, v131
	v_lshlrev_b32_e32 v13, 1, v10
	v_add_nc_u32_e32 v12, 9, v131
	v_and_b32_e32 v14, 15, v10
	v_add_nc_u32_e32 v63, 14, v131
	v_lshrrev_b16 v91, 1, v91
	v_add_nc_u32_e32 v149, 0, v11
	v_lshrrev_b16 v11, 1, v93
	v_and_or_b32 v53, 0x60, v15, v20
	v_and_or_b32 v54, 0x60, v21, v22
	v_lshlrev_b32_e32 v15, 1, v55
	v_and_b32_e32 v20, 15, v55
	v_lshlrev_b32_e32 v21, 1, v12
	v_and_b32_e32 v22, 15, v12
	v_and_or_b32 v57, 0x60, v13, v14
	v_add_nc_u32_e32 v13, 11, v131
	v_lshlrev_b32_e32 v26, 1, v63
	v_and_b32_e32 v27, 15, v63
	v_add_nc_u32_e32 v69, 4, v7
	v_add_nc_u32_e32 v148, v220, v3
	v_and_b32_e32 v150, 0xffff, v91
	v_and_b32_e32 v153, 0xffff, v11
	v_or_b32_e32 v11, v8, v60
	v_add_nc_u32_e32 v91, v8, v60
	v_or_b32_e32 v8, v8, v128
	v_add_nc_u16 v3, v3, v116
	v_and_or_b32 v58, 0x60, v15, v20
	v_and_or_b32 v59, 0x60, v21, v22
	v_lshlrev_b32_e32 v20, 1, v13
	v_and_b32_e32 v21, 15, v13
	v_add_nc_u32_e32 v15, 15, v131
	v_and_or_b32 v67, 0x60, v26, v27
	v_lshlrev_b32_e32 v26, 1, v69
	v_and_b32_e32 v27, 15, v69
	v_mul_u32_u24_e32 v157, 0xf0, v8
	v_lshrrev_b32_e32 v8, 1, v46
	v_lshrrev_b16 v3, 1, v3
	v_and_or_b32 v64, 0x60, v20, v21
	v_lshlrev_b32_e32 v20, 1, v15
	v_and_b32_e32 v21, 15, v15
	v_add_nc_u32_e32 v71, 6, v7
	v_and_or_b32 v74, 0x1e0, v26, v27
	v_and_b32_e32 v181, 0xffff, v3
	v_lshrrev_b32_e32 v3, 1, v69
	scratch_store_b32 off, v8, off offset:92 ; 4-byte Folded Spill
	v_mul_u32_u24_e32 v8, 0xf0, v48
	v_add_nc_u32_e32 v56, 10, v131
	v_and_or_b32 v70, 0x60, v20, v21
	v_lshlrev_b32_e32 v20, 1, v71
	v_and_b32_e32 v21, 15, v71
	s_clause 0x1
	scratch_store_b32 off, v8, off offset:112
	scratch_store_b32 off, v3, off offset:96
	v_mul_u32_u24_e32 v3, 0xf0, v74
	v_lshlrev_b32_e32 v23, 1, v56
	v_and_b32_e32 v24, 15, v56
	v_add_nc_u32_e32 v62, 12, v131
	v_and_or_b32 v79, 0x1e0, v20, v21
	scratch_store_b32 off, v3, off offset:116 ; 4-byte Folded Spill
	v_lshrrev_b32_e32 v3, 1, v71
	v_add_nc_u32_e32 v19, v220, v9
	v_and_or_b32 v61, 0x60, v23, v24
	v_lshlrev_b32_e32 v22, 1, v62
	v_and_b32_e32 v23, 15, v62
	v_add_nc_u32_e32 v78, 14, v7
	scratch_store_b32 off, v3, off offset:120 ; 4-byte Folded Spill
	v_mul_u32_u24_e32 v3, 0xf0, v79
	v_add_nc_u32_e32 v75, 8, v7
	v_and_or_b32 v65, 0x60, v22, v23
	v_lshlrev_b32_e32 v22, 1, v7
	v_and_b32_e32 v23, 15, v7
	v_lshlrev_b32_e32 v20, 1, v78
	v_and_b32_e32 v21, 15, v78
	v_add_nc_u32_e32 v84, 8, v19
	scratch_store_b32 off, v3, off offset:144 ; 4-byte Folded Spill
	v_add_nc_u16 v3, v220, v9
	v_and_or_b32 v72, 0xe0, v22, v23
	v_lshlrev_b32_e32 v22, 1, v75
	v_and_b32_e32 v23, 15, v75
	v_and_or_b32 v85, 0x1e0, v20, v21
	v_lshlrev_b32_e32 v20, 1, v84
	v_and_b32_e32 v21, 15, v84
	v_mul_u32_u24_e32 v8, 0xf0, v51
	v_lshrrev_b16 v3, 1, v3
	v_and_or_b32 v80, 0x1e0, v22, v23
	v_lshlrev_b32_e32 v22, 1, v19
	v_and_b32_e32 v23, 15, v19
	v_add_nc_u32_e32 v86, 12, v19
	v_and_or_b32 v89, 0x3e0, v20, v21
	v_and_b32_e32 v197, 0xffff, v3
	v_lshrrev_b32_e32 v3, 1, v84
	scratch_store_b32 off, v8, off offset:136 ; 4-byte Folded Spill
	v_lshrrev_b32_e32 v8, 1, v49
	v_add_nc_u32_e32 v83, 4, v19
	v_and_or_b32 v87, 0x1e0, v22, v23
	v_lshlrev_b32_e32 v19, 1, v86
	v_and_b32_e32 v23, 15, v86
	scratch_store_b32 off, v3, off offset:100 ; 4-byte Folded Spill
	v_mul_u32_u24_e32 v3, 0xf0, v89
	scratch_store_b32 off, v8, off offset:140 ; 4-byte Folded Spill
	v_mul_u32_u24_e32 v8, 0xf0, v52
	v_and_or_b32 v90, 0x3e0, v19, v23
	v_mul_lo_u32 v35, s36, v17
	scratch_store_b32 off, v3, off offset:124 ; 4-byte Folded Spill
	v_lshrrev_b32_e32 v3, 1, v86
	scratch_store_b32 off, v8, off offset:168 ; 4-byte Folded Spill
	v_mul_u32_u24_e32 v8, 0xf0, v53
	v_writelane_b32 v255, s42, 3
	v_and_b32_e32 v205, 1, v0
	scratch_store_b32 off, v3, off offset:128 ; 4-byte Folded Spill
	v_mul_u32_u24_e32 v3, 0xf0, v90
	scratch_store_b32 off, v8, off offset:184 ; 4-byte Folded Spill
	v_lshrrev_b32_e32 v8, 1, v50
	v_writelane_b32 v255, s43, 4
	v_ashrrev_i32_e32 v36, 31, v35
	s_mov_b32 s4, s50
	s_cmp_eq_u64 s[16:17], 0
	scratch_store_b32 off, v8, off offset:188 ; 4-byte Folded Spill
	v_mul_u32_u24_e32 v8, 0xf0, v54
	v_add_nc_u32_e32 v146, 0x80, v45
	v_add_nc_u32_e32 v147, 0xf80, v45
	v_or_b32_e32 v45, v221, v60
	s_wait_alu 0xfffe
	v_writelane_b32 v255, s4, 5
	scratch_store_b32 off, v8, off offset:208 ; 4-byte Folded Spill
	v_mul_u32_u24_e32 v8, 0xf0, v57
	s_cselect_b32 s51, -1, 0
	s_cmp_lg_u64 s[18:19], 0
	scratch_store_b32 off, v3, off offset:152 ; 4-byte Folded Spill
	v_lshlrev_b32_e32 v3, 4, v205
	scratch_store_b32 off, v8, off offset:224 ; 4-byte Folded Spill
	v_lshrrev_b32_e32 v8, 1, v55
	s_cselect_b32 s102, -1, 0
	s_lshl_b32 s56, ttmp9, 4
	v_lshlrev_b32_e32 v45, 3, v45
	v_writelane_b32 v255, s5, 6
	scratch_store_b32 off, v8, off offset:228 ; 4-byte Folded Spill
	v_mul_u32_u24_e32 v8, 0xf0, v58
	s_lshl_b64 s[4:5], s[56:57], 3
	v_mul_u32_u24_e32 v155, 0xf0, v11
	s_wait_alu 0xfffe
	s_add_nc_u64 s[4:5], s[22:23], s[4:5]
	v_add_nc_u32_e32 v14, 13, v131
	scratch_store_b32 off, v8, off offset:244 ; 4-byte Folded Spill
	v_mul_u32_u24_e32 v8, 0xf0, v59
	v_lshlrev_b64_e32 v[58:59], 2, v[35:36]
	s_wait_alu 0xfffe
	v_add_co_u32 v104, s4, s4, v45
	s_wait_alu 0xf1ff
	v_add_co_ci_u32_e64 v105, null, s5, 0, s4
	scratch_store_b32 off, v8, off offset:252 ; 4-byte Folded Spill
	v_add_co_u32 v9, vcc_lo, v3, v58
	s_delay_alu instid0(VALU_DEP_1) | instskip(SKIP_1) | instid1(VALU_DEP_3)
	v_add_co_ci_u32_e64 v11, null, 0, v59, vcc_lo
	v_lshrrev_b32_e32 v8, 1, v56
	v_add_co_u32 v9, vcc_lo, s12, v9
	s_wait_alu 0xfffd
	s_delay_alu instid0(VALU_DEP_3) | instskip(SKIP_1) | instid1(VALU_DEP_3)
	v_add_co_ci_u32_e64 v11, null, s13, v11, vcc_lo
	v_lshlrev_b32_e32 v24, 1, v14
	v_add_co_u32 v9, vcc_lo, 0xc0, v9
	scratch_store_b64 off, v[104:105], off offset:84 ; 8-byte Folded Spill
	v_and_b32_e32 v25, 15, v14
	v_add_nc_u32_e32 v68, 2, v7
	scratch_store_b32 off, v8, off offset:256 ; 4-byte Folded Spill
	v_mul_u32_u24_e32 v8, 0xf0, v61
	s_abs_i32 s103, s99
	v_and_or_b32 v66, 0x60, v24, v25
	v_lshlrev_b32_e32 v24, 1, v68
	v_and_b32_e32 v25, 15, v68
	v_add_nc_u32_e32 v76, 10, v7
	scratch_store_b32 off, v8, off offset:268 ; 4-byte Folded Spill
	v_mul_u32_u24_e32 v8, 0xf0, v64
	v_add_nc_u32_e32 v77, 12, v7
	s_cvt_f32_u32 s2, s103
	v_and_or_b32 v73, 0x1e0, v24, v25
	v_lshlrev_b32_e32 v24, 1, v76
	v_and_b32_e32 v25, 15, v76
	s_abs_i32 s104, s98
	s_wait_alu 0xfffe
	v_rcp_iflag_f32_e32 v22, s2
	v_mul_lo_u32 v31, s36, v18
	scratch_store_b32 off, v8, off offset:276 ; 4-byte Folded Spill
	v_lshrrev_b32_e32 v8, 1, v62
	v_lshlrev_b32_e32 v26, 1, v77
	v_and_b32_e32 v27, 15, v77
	s_cvt_f32_u32 s3, s104
	s_abs_i32 s30, s50
	v_and_or_b32 v81, 0x1e0, v24, v25
	v_lshlrev_b32_e32 v24, 1, v83
	v_and_b32_e32 v25, 15, v83
	v_mad_u32_u24 v21, 0xf0, v30, 0
	v_and_b32_e32 v137, 7, v0
	scratch_store_b32 off, v8, off offset:280 ; 4-byte Folded Spill
	v_mul_u32_u24_e32 v8, 0xf0, v65
	v_and_or_b32 v82, 0x1e0, v26, v27
	s_abs_i32 vcc_hi, s97
	s_wait_alu 0xfffe
	v_rcp_iflag_f32_e32 v26, s3
	s_cvt_f32_u32 s3, s30
	v_mul_lo_u32 v23, s26, v17
	s_cvt_f32_u32 s2, vcc_hi
	v_lshl_add_u32 v39, s36, 4, v31
	v_and_or_b32 v88, 0x3e0, v24, v25
	s_wait_alu 0xfffe
	v_rcp_iflag_f32_e32 v19, s3
	v_readfirstlane_b32 s3, v22
	v_add_nc_u32_e32 v22, 0x780, v21
	v_lshlrev_b32_e32 v24, 2, v137
	scratch_store_b32 off, v8, off offset:292 ; 4-byte Folded Spill
	v_mul_u32_u24_e32 v8, 0xf0, v66
	v_ashrrev_i32_e32 v32, 31, v31
	v_rcp_iflag_f32_e32 v20, s2
	v_ashrrev_i32_e32 v40, 31, v39
	v_add_nc_u32_e32 v141, v21, v24
	v_add_nc_u32_e32 v142, v22, v24
	;; [unrolled: 1-line block ×3, first 2 shown]
	v_ashrrev_i32_e32 v24, 31, v23
	scratch_store_b32 off, v8, off offset:300 ; 4-byte Folded Spill
	v_lshrrev_b32_e32 v8, 1, v63
	v_lshlrev_b64_e32 v[61:62], 2, v[31:32]
	v_and_b32_e32 v92, 28, v16
	v_lshlrev_b64_e32 v[63:64], 2, v[39:40]
	v_lshrrev_b32_e32 v117, 1, v68
	scratch_store_b32 off, v8, off offset:304 ; 4-byte Folded Spill
	v_mul_u32_u24_e32 v8, 0xf0, v67
	v_lshlrev_b64_e32 v[67:68], 2, v[23:24]
	v_and_b32_e32 v0, 3, v0
	v_readfirstlane_b32 s42, v20
	v_lshlrev_b32_e32 v20, 2, v92
	scratch_store_b32 off, v9, off          ; 4-byte Folded Spill
	v_add_co_ci_u32_e64 v9, null, 0, v11, vcc_lo
	v_add_co_u32 v65, vcc_lo, s12, v61
	s_wait_alu 0xfffd
	v_add_co_ci_u32_e64 v66, null, s13, v62, vcc_lo
	v_add_co_u32 v69, vcc_lo, s12, v63
	scratch_store_b32 off, v8, off offset:316 ; 4-byte Folded Spill
	v_mul_u32_u24_e32 v8, 0xf0, v70
	v_lshlrev_b32_e32 v209, 4, v0
	s_wait_alu 0xfffd
	v_add_co_ci_u32_e64 v70, null, s13, v64, vcc_lo
	v_add_co_u32 v0, vcc_lo, v3, v67
	v_add_nc_u32_e32 v139, v21, v20
	v_mul_lo_u32 v21, s26, v18
	s_wait_alu 0xfffd
	v_add_co_ci_u32_e64 v3, null, 0, v68, vcc_lo
	v_add_co_u32 v0, vcc_lo, s10, v0
	v_add_nc_u32_e32 v140, v22, v20
	scratch_store_b32 off, v8, off offset:324 ; 4-byte Folded Spill
	v_lshrrev_b32_e32 v8, 1, v75
	v_ashrrev_i32_e32 v22, 31, v21
	s_wait_alu 0xfffd
	v_add_co_ci_u32_e64 v3, null, s11, v3, vcc_lo
	v_add_co_u32 v0, vcc_lo, 0xc0, v0
	s_clause 0x1
	scratch_store_b32 off, v9, off offset:4
	scratch_store_b32 off, v8, off offset:148
	v_mul_u32_u24_e32 v8, 0xf0, v80
	v_lshlrev_b64_e32 v[79:80], 2, v[21:22]
	scratch_store_b32 off, v0, off offset:8 ; 4-byte Folded Spill
	s_wait_alu 0xfffd
	v_add_co_ci_u32_e64 v0, null, 0, v3, vcc_lo
	v_lshl_add_u32 v25, s26, 4, v21
	v_readfirstlane_b32 s6, v26
	v_lshrrev_b32_e32 v252, 1, v83
	scratch_store_b32 off, v0, off offset:12 ; 4-byte Folded Spill
	v_add_co_u32 v0, vcc_lo, s10, v79
	s_wait_alu 0xfffd
	v_add_co_ci_u32_e64 v3, null, s11, v80, vcc_lo
	v_ashrrev_i32_e32 v26, 31, v25
	s_delay_alu instid0(VALU_DEP_3)
	v_add_co_u32 v0, vcc_lo, 0x80, v0
	scratch_store_b32 off, v8, off offset:172 ; 4-byte Folded Spill
	v_lshrrev_b32_e32 v8, 1, v76
	v_bfe_u32 v83, v60, 3, 1
	scratch_store_b32 off, v0, off offset:16 ; 4-byte Folded Spill
	s_wait_alu 0xfffd
	v_add_co_ci_u32_e64 v0, null, 0, v3, vcc_lo
	scratch_store_b32 off, v8, off offset:176 ; 4-byte Folded Spill
	v_mul_u32_u24_e32 v8, 0xf0, v81
	v_bfe_u32 v225, v60, 4, 1
	scratch_store_b32 off, v0, off offset:20 ; 4-byte Folded Spill
	v_lshlrev_b32_e32 v218, 2, v92
	v_add_nc_u32_e32 v94, 12, v148
	scratch_store_b32 off, v8, off offset:192 ; 4-byte Folded Spill
	v_lshrrev_b32_e32 v8, 1, v77
	v_readfirstlane_b32 s43, v19
	v_mul_lo_u32 v19, s26, v30
	v_lshrrev_b32_e32 v152, 1, v94
	v_add_nc_u32_e32 v138, 0, v16
	scratch_store_b32 off, v8, off offset:196 ; 4-byte Folded Spill
	v_mul_u32_u24_e32 v8, 0xf0, v82
	v_lshlrev_b64_e32 v[81:82], 2, v[25:26]
	v_lshlrev_b32_e32 v16, 1, v60
	s_lshl_b32 s2, s26, 3
	v_mul_lo_u32 v29, s36, v30
	v_mul_u32_u24_e32 v145, 0xf0, v30
	v_add_nc_u32_e32 v18, 8, v30
	v_add_co_u32 v0, vcc_lo, s10, v81
	s_wait_alu 0xfffd
	v_add_co_ci_u32_e64 v3, null, s11, v82, vcc_lo
	v_and_b32_e32 v144, 30, v16
	s_delay_alu instid0(VALU_DEP_3)
	v_add_co_u32 v0, vcc_lo, 0x80, v0
	scratch_store_b32 off, v8, off offset:212 ; 4-byte Folded Spill
	v_lshrrev_b32_e32 v8, 1, v78
	s_wait_alu 0xfffe
	v_add_nc_u32_e32 v16, s2, v19
	scratch_store_b32 off, v0, off offset:24 ; 4-byte Folded Spill
	s_wait_alu 0xfffd
	v_add_co_ci_u32_e64 v0, null, 0, v3, vcc_lo
	scratch_store_b32 off, v8, off offset:216 ; 4-byte Folded Spill
	v_add_nc_u32_e32 v27, s2, v16
	v_ashrrev_i32_e32 v30, 31, v29
	scratch_store_b32 off, v0, off offset:28 ; 4-byte Folded Spill
	v_mul_lo_u32 v0, s68, v83
	v_mul_u32_u24_e32 v182, 0xf0, v72
	v_add_nc_u32_e32 v33, s2, v27
	s_lshl_b32 s2, s36, 3
	v_lshlrev_b64_e32 v[71:72], 2, v[29:30]
	s_wait_alu 0xfffe
	v_add_nc_u32_e32 v37, s2, v29
	v_mul_u32_u24_e32 v8, 0xf0, v85
	v_mul_u32_u24_e32 v160, 0xf0, v73
	v_add3_u32 v92, v0, v137, 48
	v_mul_lo_u32 v0, v225, s68
	v_ashrrev_i32_e32 v38, 31, v37
	v_add_nc_u32_e32 v41, s2, v37
	s_mul_f32 s3, s3, 0x4f7ffffe
	s_sub_co_i32 s4, 0, s103
	s_mul_f32 s5, s6, 0x4f7ffffe
	v_lshlrev_b64_e32 v[73:74], 2, v[37:38]
	v_ashrrev_i32_e32 v42, 31, v41
	v_add3_u32 v94, v0, v128, 32
	v_lshrrev_b32_e32 v0, 1, v5
	v_add_nc_u32_e32 v43, s2, v41
	s_wait_alu 0xfffe
	s_cvt_u32_f32 s3, s3
	v_lshlrev_b64_e32 v[75:76], 2, v[41:42]
	v_ashrrev_i32_e32 v20, 31, v19
	scratch_store_b32 off, v0, off offset:132 ; 4-byte Folded Spill
	v_and_b32_e32 v0, 1, v5
	v_ashrrev_i32_e32 v44, 31, v43
	s_wait_alu 0xfffe
	s_mul_i32 s4, s4, s3
	s_cvt_u32_f32 s5, s5
	s_wait_alu 0xfffe
	s_mul_hi_u32 s4, s3, s4
	scratch_store_b64 off, v[0:1], off offset:104 ; 8-byte Folded Spill
	v_lshrrev_b32_e32 v0, 1, v6
	v_lshlrev_b64_e32 v[77:78], 2, v[43:44]
	s_wait_alu 0xfffe
	s_add_co_i32 s58, s3, s4
	s_sub_co_i32 s3, 0, s104
	v_lshlrev_b64_e32 v[84:85], 2, v[19:20]
	scratch_store_b32 off, v0, off offset:180 ; 4-byte Folded Spill
	v_and_b32_e32 v0, 1, v6
	scratch_store_b32 off, v99, off offset:156 ; 4-byte Folded Spill
	s_wait_alu 0xfffe
	s_mul_i32 s3, s3, s5
	s_mul_f32 s4, s42, 0x4f7ffffe
	s_wait_alu 0xfffe
	s_mul_hi_u32 s3, s5, s3
	scratch_store_b64 off, v[0:1], off offset:160 ; 8-byte Folded Spill
	v_lshrrev_b32_e32 v0, 1, v10
	v_ashrrev_i32_e32 v17, 31, v16
	s_wait_alu 0xfffe
	s_add_co_i32 s60, s5, s3
	s_mul_f32 s3, s43, 0x4f7ffffe
	s_cvt_u32_f32 s4, s4
	scratch_store_b32 off, v0, off offset:220 ; 4-byte Folded Spill
	v_and_b32_e32 v0, 1, v10
	v_mul_u32_u24_e32 v198, 0xf0, v87
	s_sub_co_i32 s5, 0, vcc_hi
	s_wait_alu 0xfffe
	s_cvt_u32_f32 s3, s3
	v_lshlrev_b64_e32 v[86:87], 2, v[16:17]
	scratch_store_b64 off, v[0:1], off offset:200 ; 8-byte Folded Spill
	v_lshrrev_b32_e32 v0, 1, v12
	s_mul_i32 s5, s5, s4
	s_sub_co_i32 s6, 0, s30
	s_wait_alu 0xfffe
	s_mul_hi_u32 s5, s4, s5
	s_mul_i32 s6, s6, s3
	scratch_store_b32 off, v0, off offset:248 ; 4-byte Folded Spill
	v_and_b32_e32 v0, 1, v12
	v_writelane_b32 v255, s27, 7
	v_ashrrev_i32_e32 v28, 31, v27
	v_add_nc_u32_e32 v45, 8, v148
	s_ashr_i32 s41, s40, 31
	scratch_store_b64 off, v[0:1], off offset:236 ; 8-byte Folded Spill
	v_lshrrev_b32_e32 v0, 1, v13
	s_wait_alu 0xfffe
	s_add_co_i32 s62, s4, s5
	s_mul_hi_u32 s4, s3, s6
	v_ashrrev_i32_e32 v34, 31, v33
	s_wait_alu 0xfffe
	s_add_co_i32 s64, s3, s4
	scratch_store_b32 off, v0, off offset:272 ; 4-byte Folded Spill
	v_and_b32_e32 v0, 1, v13
	s_lshl_b64 s[4:5], s[40:41], 1
	v_lshrrev_b32_e32 v151, 1, v45
	v_bfe_u32 v45, v116, 1, 4
	v_mul_u32_u24_e32 v253, 0xf0, v88
	scratch_store_b64 off, v[0:1], off offset:260 ; 8-byte Folded Spill
	v_lshrrev_b32_e32 v0, 1, v14
	v_lshlrev_b64_e32 v[88:89], 2, v[27:28]
	s_wait_alu 0xfffe
	v_writelane_b32 v255, s4, 8
	v_mul_u32_u24_e32 v156, 0xf0, v91
	v_lshlrev_b64_e32 v[90:91], 2, v[33:34]
	scratch_store_b32 off, v0, off offset:296 ; 4-byte Folded Spill
	v_and_b32_e32 v0, 1, v14
	v_and_or_b32 v45, v99, 32, v45
	v_add_nc_u32_e32 v221, 4, v148
	v_writelane_b32 v255, s5, 9
	v_lshrrev_b32_e32 v227, 1, v103
	scratch_store_b64 off, v[0:1], off offset:284 ; 8-byte Folded Spill
	v_lshrrev_b32_e32 v0, 1, v15
	v_cmp_gt_u32_e64 s2, 16, v60
	v_lshrrev_b32_e32 v154, 1, v18
	v_mul_u32_u24_e32 v158, 0xf0, v45
	v_mul_u32_u24_e32 v159, 0xf0, v47
	scratch_store_b32 off, v0, off offset:320 ; 4-byte Folded Spill
	v_and_b32_e32 v0, 1, v15
	v_lshlrev_b32_e32 v216, 2, v1
	v_lshlrev_b32_e32 v217, 2, v2
	v_mul_u32_u24_e32 v220, 0x50, v148
	v_lshl_add_u32 v222, v144, 1, 0
	scratch_store_b64 off, v[0:1], off offset:308 ; 8-byte Folded Spill
	v_add_co_u32 v0, vcc_lo, s12, v71
	scratch_store_b32 off, v8, off offset:232 ; 4-byte Folded Spill
	v_lshlrev_b32_e32 v8, 2, v128
	v_add_nc_u32_e32 v223, 0x780, v140
	scratch_store_b32 off, v0, off offset:32 ; 4-byte Folded Spill
	s_wait_alu 0xfffd
	v_add_co_ci_u32_e64 v0, null, s13, v72, vcc_lo
	v_add_nc_u32_e32 v206, 0, v8
	v_add_co_u32 v249, s3, s14, v8
	scratch_store_b32 off, v0, off offset:36 ; 4-byte Folded Spill
	v_add_co_u32 v0, vcc_lo, s12, v73
	v_mad_u32_u24 v233, 0xf0, v148, v206
	s_wait_alu 0xf1ff
	v_add_co_ci_u32_e64 v250, null, s15, 0, s3
	scratch_store_b32 off, v0, off offset:40 ; 4-byte Folded Spill
	s_wait_alu 0xfffd
	v_add_co_ci_u32_e64 v0, null, s13, v74, vcc_lo
	s_mov_b32 s3, s68
	v_add_nc_u32_e32 v224, 0xf00, v140
	s_wait_alu 0xfffe
	v_mad_co_u64_u32 v[103:104], null, v118, s3, v[60:61]
	scratch_store_b32 off, v0, off offset:44 ; 4-byte Folded Spill
	v_add_co_u32 v0, vcc_lo, s12, v75
	v_and_b32_e32 v93, 1, v7
	v_mul_u32_u24_e32 v226, 0xf0, v116
	v_lshrrev_b32_e32 v228, 1, v102
	scratch_store_b32 off, v0, off offset:48 ; 4-byte Folded Spill
	s_wait_alu 0xfffd
	v_add_co_ci_u32_e64 v0, null, s13, v76, vcc_lo
	v_lshrrev_b32_e32 v229, 1, v101
	v_lshrrev_b32_e32 v230, 1, v98
	;; [unrolled: 1-line block ×3, first 2 shown]
	scratch_store_b32 off, v0, off offset:52 ; 4-byte Folded Spill
	v_add_co_u32 v0, vcc_lo, s12, v77
	v_lshrrev_b32_e32 v232, 1, v96
	v_lshrrev_b32_e32 v234, 1, v95
	v_mul_u32_u24_e32 v235, 0xf0, v148
	scratch_store_b32 off, v0, off offset:56 ; 4-byte Folded Spill
	s_wait_alu 0xfffd
	v_add_co_ci_u32_e64 v0, null, s13, v78, vcc_lo
	v_lshrrev_b32_e32 v236, 1, v221
	v_add_nc_u32_e32 v207, 0x3c0, v233
	v_add_nc_u32_e32 v208, 0x780, v233
	scratch_store_b32 off, v0, off offset:60 ; 4-byte Folded Spill
	v_add_co_u32 v0, vcc_lo, s10, v84
	v_add_nc_u32_e32 v242, 0xb40, v233
	v_bfe_u32 v96, v99, 2, 8
	v_lshrrev_b32_e32 v241, 1, v4
	scratch_store_b32 off, v0, off offset:64 ; 4-byte Folded Spill
	s_wait_alu 0xfffd
	v_add_co_ci_u32_e64 v0, null, s11, v85, vcc_lo
	v_and_b32_e32 v95, 1, v4
	v_lshlrev_b32_e32 v251, 4, v137
	v_mbcnt_lo_u32_b32 v246, -1, 0
	scratch_store_b32 off, v0, off offset:68 ; 4-byte Folded Spill
	v_add_co_u32 v0, vcc_lo, s10, v86
	v_writelane_b32 v255, s3, 10
	v_bfe_u32 v104, v116, 1, 1
	s_and_b32 s50, 0xffff, s27
	scratch_store_b32 off, v0, off offset:72 ; 4-byte Folded Spill
	s_wait_alu 0xfffd
	v_add_co_ci_u32_e64 v0, null, s11, v87, vcc_lo
	s_ashr_i32 s27, s26, 31
	s_ashr_i32 s37, s36, 31
	s_mul_i32 s50, s50, 0x10001
	scratch_store_b32 off, v0, off offset:76 ; 4-byte Folded Spill
	v_add_co_u32 v0, vcc_lo, s10, v88
	s_wait_alu 0xfffd
	v_add_co_ci_u32_e64 v57, null, s11, v89, vcc_lo
	v_add_co_u32 v247, vcc_lo, s10, v90
	s_wait_alu 0xfffd
	v_add_co_ci_u32_e64 v101, null, s11, v91, vcc_lo
	s_ashr_i32 s49, s99, 31
	s_mov_b32 s59, s57
	s_ashr_i32 s66, s98, 31
	s_mov_b32 s61, s57
	s_ashr_i32 s67, s97, 31
	s_mov_b32 s63, s57
	s_mov_b32 s65, s57
	s_wait_alu 0xfffe
	s_lshl_b64 s[68:69], s[36:37], 7
	s_lshl_b64 s[70:71], s[26:27], 7
	scratch_store_b32 off, v0, off offset:80 ; 4-byte Folded Spill
	s_branch .LBB19_12
.LBB19_10:                              ;   in Loop: Header=BB19_12 Depth=1
	s_wait_alu 0xfffe
	s_or_b32 exec_lo, exec_lo, s34
	s_wait_loadcnt 0x0
	s_wait_storecnt 0x0
	s_barrier_signal -1
	s_barrier_wait -1
.LBB19_11:                              ;   in Loop: Header=BB19_12 Depth=1
	s_add_co_i32 s3, s48, s100
	s_mov_b32 s34, 0
	s_wait_alu 0xfffe
	s_abs_i32 s56, s3
	s_wait_storecnt 0x0
	global_inv scope:SCOPE_SE
	s_mul_u64 s[4:5], s[56:57], s[52:53]
	s_wait_alu 0xfffe
	s_mul_i32 s4, s5, s55
	s_ashr_i32 s5, s3, 31
	s_wait_alu 0xfffe
	s_sub_co_i32 s4, s56, s4
	s_wait_alu 0xfffe
	s_sub_co_i32 s6, s4, s55
	s_cmp_ge_u32 s4, s55
	s_wait_alu 0xfffe
	s_cselect_b32 s4, s6, s4
	s_wait_alu 0xfffe
	s_sub_co_i32 s6, s4, s55
	s_cmp_ge_u32 s4, s55
	s_wait_alu 0xfffe
	s_cselect_b32 s4, s6, s4
	s_wait_alu 0xfffe
	s_xor_b32 s4, s4, s5
	s_wait_alu 0xfffe
	s_sub_co_i32 s4, s5, s4
	s_wait_alu 0xfffe
	s_add_co_i32 s48, s3, s4
	s_delay_alu instid0(SALU_CYCLE_1)
	s_sub_co_i32 s4, s54, s48
	s_wait_alu 0xfffe
	s_min_i32 s96, s100, s4
	s_cmp_gt_i32 s54, s48
	s_cselect_b32 s3, -1, 0
	s_cmp_le_i32 s100, s4
	s_cselect_b32 s4, -1, 0
	s_wait_alu 0xfffe
	s_and_b32 s4, s4, s3
	s_wait_alu 0xfffe
	s_and_b32 vcc_lo, exec_lo, s4
	s_wait_alu 0xfffe
	s_cbranch_vccz .LBB19_424
.LBB19_12:                              ; =>This Loop Header: Depth=1
                                        ;     Child Loop BB19_281 Depth 2
                                        ;     Child Loop BB19_75 Depth 2
	s_abs_i32 s56, s48
	s_ashr_i32 s3, s48, 31
	s_mul_u64 s[4:5], s[56:57], s[58:59]
	s_wait_alu 0xfffe
	s_xor_b32 s3, s3, s49
	s_mul_i32 s4, s5, s103
	s_add_co_i32 s6, s5, 1
	s_wait_alu 0xfffe
	s_sub_co_i32 s4, s56, s4
	s_wait_alu 0xfffe
	s_sub_co_i32 s41, s4, s103
	s_cmp_ge_u32 s4, s103
	s_cselect_b32 s5, s6, s5
	s_wait_alu 0xfffe
	s_cselect_b32 s4, s41, s4
	s_add_co_i32 s6, s5, 1
	s_wait_alu 0xfffe
	s_cmp_ge_u32 s4, s103
	s_cselect_b32 s4, s6, s5
	s_wait_alu 0xfffe
	s_xor_b32 s4, s4, s3
	s_wait_alu 0xfffe
	s_sub_co_i32 s4, s4, s3
	s_wait_alu 0xfffe
	s_mul_i32 s3, s4, s99
	s_wait_alu 0xfffe
	s_sub_co_i32 s5, s48, s3
	s_wait_alu 0xfffe
	s_abs_i32 s56, s5
	s_ashr_i32 s3, s5, 31
	s_mul_u64 s[42:43], s[56:57], s[60:61]
	s_wait_alu 0xfffe
	s_xor_b32 s3, s3, s66
	s_mul_i32 s6, s43, s104
	s_add_co_i32 s41, s43, 1
	s_wait_alu 0xfffe
	s_sub_co_i32 s6, s56, s6
	s_wait_alu 0xfffe
	s_sub_co_i32 s42, s6, s104
	s_cmp_ge_u32 s6, s104
	s_cselect_b32 s41, s41, s43
	s_wait_alu 0xfffe
	s_cselect_b32 s6, s42, s6
	s_add_co_i32 s42, s41, 1
	s_wait_alu 0xfffe
	s_cmp_ge_u32 s6, s104
	s_cselect_b32 s6, s42, s41
	s_wait_alu 0xfffe
	s_xor_b32 s6, s6, s3
	s_wait_alu 0xfffe
	s_sub_co_i32 s3, s6, s3
	s_wait_alu 0xfffe
	s_mul_i32 s6, s3, s98
	s_wait_alu 0xfffe
	s_sub_co_i32 s6, s5, s6
	s_wait_alu 0xfffe
	s_abs_i32 s56, s6
	s_ashr_i32 s5, s6, 31
	s_mul_u64 s[42:43], s[56:57], s[62:63]
	s_wait_alu 0xfffe
	s_xor_b32 s5, s5, s67
	s_mul_i32 s41, s43, vcc_hi
	s_add_co_i32 s42, s43, 1
	s_wait_alu 0xfffe
	s_sub_co_i32 s41, s56, s41
	s_wait_alu 0xfffe
	s_sub_co_i32 s56, s41, vcc_hi
	s_cmp_ge_u32 s41, vcc_hi
	s_cselect_b32 s42, s42, s43
	s_cselect_b32 s41, s56, s41
	s_wait_alu 0xfffe
	s_add_co_i32 s43, s42, 1
	s_cmp_ge_u32 s41, vcc_hi
	s_wait_alu 0xfffe
	s_cselect_b32 s41, s43, s42
	s_wait_alu 0xfffe
	s_xor_b32 s41, s41, s5
	s_wait_alu 0xfffe
	s_sub_co_i32 s5, s41, s5
	s_wait_alu 0xfffe
	s_mul_i32 s41, s5, s97
	s_wait_alu 0xfffe
	s_sub_co_i32 s6, s6, s41
	s_wait_alu 0xfffe
	s_abs_i32 s56, s6
	s_ashr_i32 s6, s6, 31
	s_mul_u64 s[42:43], s[56:57], s[52:53]
	s_wait_alu 0xfffe
	s_xor_b32 s6, s6, s101
	s_mul_i32 s41, s43, s55
	s_add_co_i32 s42, s43, 1
	s_wait_alu 0xfffe
	s_sub_co_i32 s41, s56, s41
	s_wait_alu 0xfffe
	s_sub_co_i32 s56, s41, s55
	s_cmp_ge_u32 s41, s55
	s_cselect_b32 s42, s42, s43
	s_cselect_b32 s41, s56, s41
	s_wait_alu 0xfffe
	s_add_co_i32 s43, s42, 1
	s_cmp_ge_u32 s41, s55
	s_wait_alu 0xfffe
	s_cselect_b32 s41, s43, s42
	s_and_not1_b32 vcc_lo, exec_lo, s102
	s_wait_alu 0xfffe
	s_xor_b32 s41, s41, s6
	s_wait_alu 0xfffe
	s_sub_co_i32 s42, s41, s6
	s_cbranch_vccnz .LBB19_14
; %bb.13:                               ;   in Loop: Header=BB19_12 Depth=1
	v_readlane_b32 s6, v255, 0
	s_mul_i32 s6, s4, s6
	s_wait_alu 0xfffe
	s_add_co_i32 s72, s42, s6
	s_wait_alu 0xfffe
	s_ashr_i32 s73, s72, 31
	s_wait_alu 0xfffe
	s_lshl_b64 s[72:73], s[72:73], 2
	s_wait_alu 0xfffe
	s_add_nc_u64 s[72:73], s[18:19], s[72:73]
	global_load_b32 v0, v219, s[72:73]
	s_wait_loadcnt 0x0
	v_readfirstlane_b32 s6, v0
	s_ashr_i32 s41, s6, 31
	s_wait_alu 0xfffe
	s_lshr_b32 s41, s41, 27
	s_wait_alu 0xfffe
	s_add_co_i32 s6, s6, s41
	s_wait_alu 0xfffe
	s_ashr_i32 s6, s6, 5
	s_wait_alu 0xfffe
	s_min_i32 s96, s96, s6
.LBB19_14:                              ;   in Loop: Header=BB19_12 Depth=1
	s_abs_i32 s56, s4
	s_mul_i32 s6, s3, s33
	s_lshl_b32 s41, s5, 1
	s_mul_u64 s[76:77], s[56:57], s[64:65]
	s_wait_alu 0xfffe
	s_add_co_i32 s74, s41, s6
	s_mul_i32 s6, s77, s30
	s_mul_i32 s72, s4, s47
	;; [unrolled: 1-line block ×4, first 2 shown]
	s_wait_alu 0xfffe
	s_sub_co_i32 s6, s56, s6
	s_ashr_i32 s73, s72, 31
	s_ashr_i32 s79, s78, 31
	;; [unrolled: 1-line block ×4, first 2 shown]
	s_wait_alu 0xfffe
	s_sub_co_i32 s43, s6, s30
	s_cmp_ge_u32 s6, s30
	s_add_nc_u64 s[72:73], s[8:9], s[72:73]
	s_wait_alu 0xfffe
	s_cselect_b32 s6, s43, s6
	s_mul_u64 s[88:89], s[28:29], s[4:5]
	s_wait_alu 0xfffe
	s_sub_co_i32 s43, s6, s30
	s_cmp_ge_u32 s6, s30
	v_readlane_b32 s76, v255, 1
	s_wait_alu 0xfffe
	s_cselect_b32 s6, s43, s6
	s_mul_i32 s43, s24, s25
	v_readlane_b32 s77, v255, 2
	s_add_nc_u64 s[92:93], s[72:73], s[78:79]
	s_add_nc_u64 s[72:73], s[10:11], s[88:89]
	s_wait_alu 0xfffe
	s_xor_b32 s6, s6, s5
	s_mul_i32 s43, s43, s4
	s_add_nc_u64 s[78:79], s[72:73], s[86:87]
	s_wait_alu 0xfffe
	s_sub_co_i32 s72, s6, s5
	s_add_co_i32 s6, s74, s43
	s_ashr_i32 s75, s74, 31
	s_wait_alu 0xfffe
	s_ashr_i32 s73, s72, 31
	s_mul_i32 s56, s6, 56
	s_mul_u64 s[82:83], s[76:77], s[4:5]
	s_mul_i32 s84, s3, s31
	s_lshl_b64 s[74:75], s[74:75], 2
	v_or_b32_e32 v109, s41, v118
	s_wait_alu 0xfffe
	s_mul_u64 s[90:91], s[44:45], s[72:73]
	s_lshl_b64 s[72:73], s[56:57], 3
	s_add_nc_u64 s[4:5], s[12:13], s[82:83]
	s_ashr_i32 s85, s84, 31
	s_add_nc_u64 s[74:75], s[16:17], s[74:75]
	s_and_b32 s3, s51, exec_lo
	s_wait_alu 0xfffe
	s_add_nc_u64 s[80:81], s[14:15], s[90:91]
	s_add_nc_u64 s[72:73], s[20:21], s[72:73]
	s_cselect_b32 s75, 0, s75
	s_cselect_b32 s74, 0, s74
	s_cmp_lg_u32 s34, 0
	s_add_nc_u64 s[76:77], s[4:5], s[84:85]
	s_cbranch_scc0 .LBB19_76
; %bb.15:                               ;   in Loop: Header=BB19_12 Depth=1
	s_lshl_b32 s43, s42, 3
	v_cmp_le_i32_e64 s4, s33, v109
	s_wait_alu 0xfffe
	v_add_nc_u32_e32 v0, s43, v131
	v_cmp_gt_i32_e32 vcc_lo, s33, v109
	s_delay_alu instid0(VALU_DEP_2)
	v_cmp_le_i32_e64 s3, s24, v0
	s_or_b32 s3, s3, s4
	s_wait_alu 0xfffe
	s_and_saveexec_b32 s4, s3
	s_wait_alu 0xfffe
	s_xor_b32 s3, exec_lo, s4
; %bb.16:                               ;   in Loop: Header=BB19_12 Depth=1
	v_add_nc_u32_e32 v0, v138, v226
	ds_store_b32 v0, v219
                                        ; implicit-def: $vgpr0
; %bb.17:                               ;   in Loop: Header=BB19_12 Depth=1
	s_wait_alu 0xfffe
	s_and_not1_saveexec_b32 s4, s3
	s_cbranch_execz .LBB19_19
; %bb.18:                               ;   in Loop: Header=BB19_12 Depth=1
	v_mad_co_u64_u32 v[0:1], null, v0, s35, v[103:104]
	s_delay_alu instid0(VALU_DEP_1) | instskip(NEXT) | instid1(VALU_DEP_1)
	v_ashrrev_i32_e32 v1, 31, v0
	v_lshlrev_b64_e32 v[0:1], 3, v[0:1]
	s_delay_alu instid0(VALU_DEP_1) | instskip(SKIP_1) | instid1(VALU_DEP_2)
	v_add_co_u32 v0, s3, s92, v0
	s_wait_alu 0xf1ff
	v_add_co_ci_u32_e64 v1, null, s93, v1, s3
	global_load_b64 v[0:1], v[0:1], off
	s_wait_loadcnt 0x0
	v_cvt_f16_f32_e32 v0, v0
	v_cvt_f16_f32_e32 v1, v1
	s_delay_alu instid0(VALU_DEP_1) | instskip(SKIP_1) | instid1(VALU_DEP_2)
	v_pack_b32_f16 v0, v0, v1
	v_add_nc_u32_e32 v1, v138, v226
	v_pk_mul_f16 v0, v0, s50
	ds_store_b32 v1, v0
.LBB19_19:                              ;   in Loop: Header=BB19_12 Depth=1
	s_wait_alu 0xfffe
	s_or_b32 exec_lo, exec_lo, s4
	v_add_nc_u32_e32 v0, s43, v227
	s_xor_b32 s4, vcc_lo, -1
	s_delay_alu instid0(VALU_DEP_1)
	v_cmp_le_i32_e64 s3, s24, v0
	s_wait_alu 0xfffe
	s_or_b32 s3, s3, s4
	s_wait_alu 0xfffe
	s_and_saveexec_b32 s5, s3
	s_wait_alu 0xfffe
	s_xor_b32 s3, exec_lo, s5
; %bb.20:                               ;   in Loop: Header=BB19_12 Depth=1
	v_add_nc_u32_e32 v0, v138, v226
	ds_store_b32 v0, v219 offset:480
                                        ; implicit-def: $vgpr0
; %bb.21:                               ;   in Loop: Header=BB19_12 Depth=1
	s_wait_alu 0xfffe
	s_and_not1_saveexec_b32 s3, s3
	s_cbranch_execz .LBB19_23
; %bb.22:                               ;   in Loop: Header=BB19_12 Depth=1
	v_mad_co_u64_u32 v[0:1], null, v0, s35, v[103:104]
	s_delay_alu instid0(VALU_DEP_1) | instskip(NEXT) | instid1(VALU_DEP_1)
	v_ashrrev_i32_e32 v1, 31, v0
	v_lshlrev_b64_e32 v[0:1], 3, v[0:1]
	s_delay_alu instid0(VALU_DEP_1) | instskip(SKIP_1) | instid1(VALU_DEP_2)
	v_add_co_u32 v0, vcc_lo, s92, v0
	s_wait_alu 0xfffd
	v_add_co_ci_u32_e64 v1, null, s93, v1, vcc_lo
	global_load_b64 v[0:1], v[0:1], off
	s_wait_loadcnt 0x0
	v_cvt_f16_f32_e32 v0, v0
	v_cvt_f16_f32_e32 v1, v1
	s_delay_alu instid0(VALU_DEP_1) | instskip(SKIP_1) | instid1(VALU_DEP_2)
	v_pack_b32_f16 v0, v0, v1
	v_add_nc_u32_e32 v1, v138, v226
	v_pk_mul_f16 v0, v0, s50
	ds_store_b32 v1, v0 offset:480
.LBB19_23:                              ;   in Loop: Header=BB19_12 Depth=1
	s_wait_alu 0xfffe
	s_or_b32 exec_lo, exec_lo, s3
	v_add_nc_u32_e32 v0, s43, v228
	s_delay_alu instid0(VALU_DEP_1)
	v_cmp_le_i32_e32 vcc_lo, s24, v0
	s_or_b32 s3, vcc_lo, s4
	s_wait_alu 0xfffe
	s_and_saveexec_b32 s5, s3
	s_wait_alu 0xfffe
	s_xor_b32 s3, exec_lo, s5
; %bb.24:                               ;   in Loop: Header=BB19_12 Depth=1
	v_add_nc_u32_e32 v0, v138, v226
	ds_store_b32 v0, v219 offset:960
                                        ; implicit-def: $vgpr0
; %bb.25:                               ;   in Loop: Header=BB19_12 Depth=1
	s_wait_alu 0xfffe
	s_and_not1_saveexec_b32 s3, s3
	s_cbranch_execz .LBB19_27
; %bb.26:                               ;   in Loop: Header=BB19_12 Depth=1
	v_mad_co_u64_u32 v[0:1], null, v0, s35, v[103:104]
	s_delay_alu instid0(VALU_DEP_1) | instskip(NEXT) | instid1(VALU_DEP_1)
	v_ashrrev_i32_e32 v1, 31, v0
	v_lshlrev_b64_e32 v[0:1], 3, v[0:1]
	s_delay_alu instid0(VALU_DEP_1) | instskip(SKIP_1) | instid1(VALU_DEP_2)
	v_add_co_u32 v0, vcc_lo, s92, v0
	s_wait_alu 0xfffd
	v_add_co_ci_u32_e64 v1, null, s93, v1, vcc_lo
	global_load_b64 v[0:1], v[0:1], off
	s_wait_loadcnt 0x0
	v_cvt_f16_f32_e32 v0, v0
	v_cvt_f16_f32_e32 v1, v1
	s_delay_alu instid0(VALU_DEP_1) | instskip(SKIP_1) | instid1(VALU_DEP_2)
	v_pack_b32_f16 v0, v0, v1
	v_add_nc_u32_e32 v1, v138, v226
	v_pk_mul_f16 v0, v0, s50
	ds_store_b32 v1, v0 offset:960
.LBB19_27:                              ;   in Loop: Header=BB19_12 Depth=1
	s_wait_alu 0xfffe
	s_or_b32 exec_lo, exec_lo, s3
	v_add_nc_u32_e32 v0, s43, v229
	s_delay_alu instid0(VALU_DEP_1)
	v_cmp_le_i32_e32 vcc_lo, s24, v0
	s_or_b32 s3, vcc_lo, s4
	;; [unrolled: 37-line block ×6, first 2 shown]
	s_wait_alu 0xfffe
	s_and_saveexec_b32 s4, s3
	s_wait_alu 0xfffe
	s_xor_b32 s3, exec_lo, s4
; %bb.44:                               ;   in Loop: Header=BB19_12 Depth=1
	v_add_nc_u32_e32 v0, v138, v226
	ds_store_b32 v0, v219 offset:3360
                                        ; implicit-def: $vgpr0
; %bb.45:                               ;   in Loop: Header=BB19_12 Depth=1
	s_wait_alu 0xfffe
	s_and_not1_saveexec_b32 s3, s3
	s_cbranch_execz .LBB19_47
; %bb.46:                               ;   in Loop: Header=BB19_12 Depth=1
	v_mad_co_u64_u32 v[0:1], null, v0, s35, v[103:104]
	s_delay_alu instid0(VALU_DEP_1) | instskip(NEXT) | instid1(VALU_DEP_1)
	v_ashrrev_i32_e32 v1, 31, v0
	v_lshlrev_b64_e32 v[0:1], 3, v[0:1]
	s_delay_alu instid0(VALU_DEP_1) | instskip(SKIP_1) | instid1(VALU_DEP_2)
	v_add_co_u32 v0, vcc_lo, s92, v0
	s_wait_alu 0xfffd
	v_add_co_ci_u32_e64 v1, null, s93, v1, vcc_lo
	global_load_b64 v[0:1], v[0:1], off
	s_wait_loadcnt 0x0
	v_cvt_f16_f32_e32 v0, v0
	v_cvt_f16_f32_e32 v1, v1
	s_delay_alu instid0(VALU_DEP_1) | instskip(SKIP_1) | instid1(VALU_DEP_2)
	v_pack_b32_f16 v0, v0, v1
	v_add_nc_u32_e32 v1, v138, v226
	v_pk_mul_f16 v0, v0, s50
	ds_store_b32 v1, v0 offset:3360
.LBB19_47:                              ;   in Loop: Header=BB19_12 Depth=1
	s_wait_alu 0xfffe
	s_or_b32 exec_lo, exec_lo, s3
	v_add_nc_u32_e32 v0, s43, v150
	v_or_b32_e32 v1, s41, v225
	s_delay_alu instid0(VALU_DEP_2) | instskip(NEXT) | instid1(VALU_DEP_2)
	v_cmp_le_i32_e64 s3, s24, v0
	v_cmp_le_i32_e64 s4, s33, v1
	v_cmp_gt_i32_e32 vcc_lo, s33, v1
	s_or_b32 s3, s3, s4
	s_wait_alu 0xfffe
	s_and_saveexec_b32 s4, s3
	s_wait_alu 0xfffe
	s_xor_b32 s3, exec_lo, s4
; %bb.48:                               ;   in Loop: Header=BB19_12 Depth=1
	ds_store_b32 v233, v219 offset:128
                                        ; implicit-def: $vgpr0
; %bb.49:                               ;   in Loop: Header=BB19_12 Depth=1
	s_wait_alu 0xfffe
	s_and_not1_saveexec_b32 s4, s3
	s_cbranch_execz .LBB19_51
; %bb.50:                               ;   in Loop: Header=BB19_12 Depth=1
	v_mad_co_u64_u32 v[0:1], null, v0, s35, v[94:95]
	s_delay_alu instid0(VALU_DEP_1) | instskip(NEXT) | instid1(VALU_DEP_1)
	v_ashrrev_i32_e32 v1, 31, v0
	v_lshlrev_b64_e32 v[0:1], 3, v[0:1]
	s_delay_alu instid0(VALU_DEP_1) | instskip(SKIP_1) | instid1(VALU_DEP_2)
	v_add_co_u32 v0, s3, s92, v0
	s_wait_alu 0xf1ff
	v_add_co_ci_u32_e64 v1, null, s93, v1, s3
	global_load_b64 v[0:1], v[0:1], off
	s_wait_loadcnt 0x0
	v_cvt_f16_f32_e32 v0, v0
	v_cvt_f16_f32_e32 v1, v1
	s_delay_alu instid0(VALU_DEP_1) | instskip(SKIP_1) | instid1(VALU_DEP_2)
	v_pack_b32_f16 v0, v0, v1
	v_add_nc_u32_e32 v1, v206, v235
	v_pk_mul_f16 v0, v0, s50
	ds_store_b32 v1, v0 offset:128
.LBB19_51:                              ;   in Loop: Header=BB19_12 Depth=1
	s_wait_alu 0xfffe
	s_or_b32 exec_lo, exec_lo, s4
	v_add_nc_u32_e32 v0, s43, v236
	s_xor_b32 s4, vcc_lo, -1
	s_delay_alu instid0(VALU_DEP_1)
	v_cmp_le_i32_e64 s3, s24, v0
	s_wait_alu 0xfffe
	s_or_b32 s3, s3, s4
	s_wait_alu 0xfffe
	s_and_saveexec_b32 s5, s3
	s_wait_alu 0xfffe
	s_xor_b32 s3, exec_lo, s5
; %bb.52:                               ;   in Loop: Header=BB19_12 Depth=1
	ds_store_b32 v207, v219 offset:128
                                        ; implicit-def: $vgpr0
; %bb.53:                               ;   in Loop: Header=BB19_12 Depth=1
	s_wait_alu 0xfffe
	s_and_not1_saveexec_b32 s3, s3
	s_cbranch_execz .LBB19_55
; %bb.54:                               ;   in Loop: Header=BB19_12 Depth=1
	v_mad_co_u64_u32 v[0:1], null, v0, s35, v[94:95]
	s_delay_alu instid0(VALU_DEP_1) | instskip(NEXT) | instid1(VALU_DEP_1)
	v_ashrrev_i32_e32 v1, 31, v0
	v_lshlrev_b64_e32 v[0:1], 3, v[0:1]
	s_delay_alu instid0(VALU_DEP_1) | instskip(SKIP_1) | instid1(VALU_DEP_2)
	v_add_co_u32 v0, vcc_lo, s92, v0
	s_wait_alu 0xfffd
	v_add_co_ci_u32_e64 v1, null, s93, v1, vcc_lo
	global_load_b64 v[0:1], v[0:1], off
	s_wait_loadcnt 0x0
	v_cvt_f16_f32_e32 v0, v0
	v_cvt_f16_f32_e32 v1, v1
	s_delay_alu instid0(VALU_DEP_1) | instskip(SKIP_1) | instid1(VALU_DEP_2)
	v_pack_b32_f16 v0, v0, v1
	v_add_nc_u32_e32 v1, v206, v235
	v_pk_mul_f16 v0, v0, s50
	ds_store_b32 v1, v0 offset:1088
.LBB19_55:                              ;   in Loop: Header=BB19_12 Depth=1
	s_wait_alu 0xfffe
	s_or_b32 exec_lo, exec_lo, s3
	v_add_nc_u32_e32 v0, s43, v151
	s_delay_alu instid0(VALU_DEP_1)
	v_cmp_le_i32_e32 vcc_lo, s24, v0
	s_or_b32 s3, vcc_lo, s4
	s_wait_alu 0xfffe
	s_and_saveexec_b32 s5, s3
	s_wait_alu 0xfffe
	s_xor_b32 s3, exec_lo, s5
; %bb.56:                               ;   in Loop: Header=BB19_12 Depth=1
	ds_store_b32 v208, v219 offset:128
                                        ; implicit-def: $vgpr0
; %bb.57:                               ;   in Loop: Header=BB19_12 Depth=1
	s_wait_alu 0xfffe
	s_and_not1_saveexec_b32 s3, s3
	s_cbranch_execz .LBB19_59
; %bb.58:                               ;   in Loop: Header=BB19_12 Depth=1
	v_mad_co_u64_u32 v[0:1], null, v0, s35, v[94:95]
	s_delay_alu instid0(VALU_DEP_1) | instskip(NEXT) | instid1(VALU_DEP_1)
	v_ashrrev_i32_e32 v1, 31, v0
	v_lshlrev_b64_e32 v[0:1], 3, v[0:1]
	s_delay_alu instid0(VALU_DEP_1) | instskip(SKIP_1) | instid1(VALU_DEP_2)
	v_add_co_u32 v0, vcc_lo, s92, v0
	s_wait_alu 0xfffd
	v_add_co_ci_u32_e64 v1, null, s93, v1, vcc_lo
	global_load_b64 v[0:1], v[0:1], off
	s_wait_loadcnt 0x0
	v_cvt_f16_f32_e32 v0, v0
	v_cvt_f16_f32_e32 v1, v1
	s_delay_alu instid0(VALU_DEP_1) | instskip(SKIP_1) | instid1(VALU_DEP_2)
	v_pack_b32_f16 v0, v0, v1
	v_add_nc_u32_e32 v1, v206, v235
	v_pk_mul_f16 v0, v0, s50
	ds_store_b32 v1, v0 offset:2048
.LBB19_59:                              ;   in Loop: Header=BB19_12 Depth=1
	s_wait_alu 0xfffe
	s_or_b32 exec_lo, exec_lo, s3
	v_add_nc_u32_e32 v0, s43, v152
	s_delay_alu instid0(VALU_DEP_1)
	v_cmp_le_i32_e32 vcc_lo, s24, v0
	s_or_b32 s3, vcc_lo, s4
	s_wait_alu 0xfffe
	s_and_saveexec_b32 s4, s3
	s_wait_alu 0xfffe
	s_xor_b32 s3, exec_lo, s4
; %bb.60:                               ;   in Loop: Header=BB19_12 Depth=1
	ds_store_b32 v242, v219 offset:128
                                        ; implicit-def: $vgpr0
; %bb.61:                               ;   in Loop: Header=BB19_12 Depth=1
	s_wait_alu 0xfffe
	s_and_not1_saveexec_b32 s3, s3
	s_cbranch_execz .LBB19_63
; %bb.62:                               ;   in Loop: Header=BB19_12 Depth=1
	v_mad_co_u64_u32 v[0:1], null, v0, s35, v[94:95]
	s_delay_alu instid0(VALU_DEP_1) | instskip(NEXT) | instid1(VALU_DEP_1)
	v_ashrrev_i32_e32 v1, 31, v0
	v_lshlrev_b64_e32 v[0:1], 3, v[0:1]
	s_delay_alu instid0(VALU_DEP_1) | instskip(SKIP_1) | instid1(VALU_DEP_2)
	v_add_co_u32 v0, vcc_lo, s92, v0
	s_wait_alu 0xfffd
	v_add_co_ci_u32_e64 v1, null, s93, v1, vcc_lo
	global_load_b64 v[0:1], v[0:1], off
	s_wait_loadcnt 0x0
	v_cvt_f16_f32_e32 v0, v0
	v_cvt_f16_f32_e32 v1, v1
	s_delay_alu instid0(VALU_DEP_1) | instskip(SKIP_1) | instid1(VALU_DEP_2)
	v_pack_b32_f16 v0, v0, v1
	v_add_nc_u32_e32 v1, v206, v235
	v_pk_mul_f16 v0, v0, s50
	ds_store_b32 v1, v0 offset:3008
.LBB19_63:                              ;   in Loop: Header=BB19_12 Depth=1
	s_wait_alu 0xfffe
	s_or_b32 exec_lo, exec_lo, s3
	v_or_b32_e32 v1, s41, v83
	v_add_nc_u32_e32 v0, s43, v153
	s_delay_alu instid0(VALU_DEP_2) | instskip(NEXT) | instid1(VALU_DEP_2)
	v_cmp_le_i32_e32 vcc_lo, s33, v1
	v_cmp_le_i32_e64 s4, s24, v0
	v_cmp_gt_i32_e64 s3, s33, v1
	s_or_b32 s4, s4, vcc_lo
	s_wait_alu 0xfffe
	s_and_saveexec_b32 s5, s4
	s_wait_alu 0xfffe
	s_xor_b32 s4, exec_lo, s5
; %bb.64:                               ;   in Loop: Header=BB19_12 Depth=1
	ds_store_b32 v141, v219 offset:192
                                        ; implicit-def: $vgpr0
; %bb.65:                               ;   in Loop: Header=BB19_12 Depth=1
	s_wait_alu 0xfffe
	s_and_not1_saveexec_b32 s4, s4
	s_cbranch_execz .LBB19_67
; %bb.66:                               ;   in Loop: Header=BB19_12 Depth=1
	v_mad_co_u64_u32 v[0:1], null, v0, s35, v[92:93]
	s_delay_alu instid0(VALU_DEP_1) | instskip(NEXT) | instid1(VALU_DEP_1)
	v_ashrrev_i32_e32 v1, 31, v0
	v_lshlrev_b64_e32 v[0:1], 3, v[0:1]
	s_delay_alu instid0(VALU_DEP_1) | instskip(SKIP_1) | instid1(VALU_DEP_2)
	v_add_co_u32 v0, vcc_lo, s92, v0
	s_wait_alu 0xfffd
	v_add_co_ci_u32_e64 v1, null, s93, v1, vcc_lo
	global_load_b64 v[0:1], v[0:1], off
	s_wait_loadcnt 0x0
	v_cvt_f16_f32_e32 v0, v0
	v_cvt_f16_f32_e32 v1, v1
	s_delay_alu instid0(VALU_DEP_1) | instskip(SKIP_1) | instid1(VALU_DEP_2)
	v_pack_b32_f16 v0, v0, v1
	v_add_nc_u32_e32 v1, v143, v145
	v_pk_mul_f16 v0, v0, s50
	ds_store_b32 v1, v0 offset:192
.LBB19_67:                              ;   in Loop: Header=BB19_12 Depth=1
	s_wait_alu 0xfffe
	s_or_b32 exec_lo, exec_lo, s4
	v_add_nc_u32_e32 v0, s43, v154
	s_xor_b32 s4, s3, -1
	s_delay_alu instid0(VALU_DEP_1)
	v_cmp_le_i32_e32 vcc_lo, s24, v0
	s_wait_alu 0xfffe
	s_or_b32 s4, vcc_lo, s4
	s_wait_alu 0xfffe
	s_and_saveexec_b32 s5, s4
	s_wait_alu 0xfffe
	s_xor_b32 s4, exec_lo, s5
; %bb.68:                               ;   in Loop: Header=BB19_12 Depth=1
	ds_store_b32 v142, v219 offset:192
                                        ; implicit-def: $vgpr0
; %bb.69:                               ;   in Loop: Header=BB19_12 Depth=1
	s_wait_alu 0xfffe
	s_and_not1_saveexec_b32 s4, s4
	s_cbranch_execz .LBB19_71
; %bb.70:                               ;   in Loop: Header=BB19_12 Depth=1
	v_mad_co_u64_u32 v[0:1], null, v0, s35, v[92:93]
	s_delay_alu instid0(VALU_DEP_1) | instskip(NEXT) | instid1(VALU_DEP_1)
	v_ashrrev_i32_e32 v1, 31, v0
	v_lshlrev_b64_e32 v[0:1], 3, v[0:1]
	s_delay_alu instid0(VALU_DEP_1) | instskip(SKIP_1) | instid1(VALU_DEP_2)
	v_add_co_u32 v0, vcc_lo, s92, v0
	s_wait_alu 0xfffd
	v_add_co_ci_u32_e64 v1, null, s93, v1, vcc_lo
	global_load_b64 v[0:1], v[0:1], off
	s_wait_loadcnt 0x0
	v_cvt_f16_f32_e32 v0, v0
	v_cvt_f16_f32_e32 v1, v1
	s_delay_alu instid0(VALU_DEP_1) | instskip(SKIP_1) | instid1(VALU_DEP_2)
	v_pack_b32_f16 v0, v0, v1
	v_add_nc_u32_e32 v1, v143, v145
	v_pk_mul_f16 v0, v0, s50
	ds_store_b32 v1, v0 offset:2112
.LBB19_71:                              ;   in Loop: Header=BB19_12 Depth=1
	s_wait_alu 0xfffe
	s_or_b32 exec_lo, exec_lo, s4
	s_wait_storecnt_dscnt 0x0
	s_barrier_signal -1
	s_barrier_wait -1
	global_inv scope:SCOPE_SE
	ds_load_b128 v[52:55], v129
	ds_load_b128 v[48:51], v129 offset:32
	ds_load_b128 v[40:43], v129 offset:64
	;; [unrolled: 1-line block ×6, first 2 shown]
	v_add_nc_u32_e32 v4, s43, v148
	v_add_nc_u32_e32 v5, s43, v221
	s_add_co_i32 s56, s96, -1
	s_mov_b32 s4, -1
	s_cmp_lt_i32 s34, s56
	v_mul_hi_u32 v1, s38, v4
	v_mul_hi_u32 v0, s38, v5
	s_wait_loadcnt_dscnt 0x0
	s_barrier_signal -1
	s_barrier_wait -1
	global_inv scope:SCOPE_SE
                                        ; implicit-def: $vgpr111
                                        ; implicit-def: $vgpr112
                                        ; implicit-def: $vgpr107_vgpr108
                                        ; implicit-def: $vgpr105_vgpr106
	s_cbranch_scc1 .LBB19_73
; %bb.72:                               ;   in Loop: Header=BB19_12 Depth=1
	v_add_nc_u32_e32 v2, v4, v1
	v_dual_mov_b32 v112, 32 :: v_dual_add_nc_u32 v3, v5, v0
	v_xor_b32_e32 v111, 16, v246
	s_mov_b32 s4, 0
	s_delay_alu instid0(VALU_DEP_3) | instskip(NEXT) | instid1(VALU_DEP_3)
	v_lshrrev_b32_e32 v2, s39, v2
	v_lshrrev_b32_e32 v3, s39, v3
	s_delay_alu instid0(VALU_DEP_2) | instskip(NEXT) | instid1(VALU_DEP_2)
	v_mul_lo_u32 v2, v2, s24
	v_mul_lo_u32 v3, v3, s24
	s_delay_alu instid0(VALU_DEP_2) | instskip(NEXT) | instid1(VALU_DEP_2)
	v_sub_nc_u32_e32 v2, v4, v2
	v_sub_nc_u32_e32 v3, v5, v3
	s_delay_alu instid0(VALU_DEP_2) | instskip(NEXT) | instid1(VALU_DEP_2)
	v_mad_co_i64_i32 v[107:108], null, v2, s40, 0
	v_mad_co_i64_i32 v[105:106], null, v3, s40, 0
.LBB19_73:                              ;   in Loop: Header=BB19_12 Depth=1
	s_wait_alu 0xfffe
	s_and_not1_b32 vcc_lo, exec_lo, s4
	s_wait_alu 0xfffe
	s_cbranch_vccnz .LBB19_77
; %bb.74:                               ;   in Loop: Header=BB19_12 Depth=1
	v_dual_mov_b32 v112, 32 :: v_dual_add_nc_u32 v1, v4, v1
	v_add_nc_u32_e32 v0, v5, v0
	v_xor_b32_e32 v111, 16, v246
	v_mov_b32_e32 v100, 0
	s_delay_alu instid0(VALU_DEP_4) | instskip(SKIP_3) | instid1(VALU_DEP_3)
	v_lshrrev_b32_e32 v1, s39, v1
	s_lshl_b32 s94, s34, 5
	v_lshrrev_b32_e32 v2, s39, v0
	v_cmp_gt_i32_e32 vcc_lo, 32, v111
	v_mul_lo_u32 v6, v1, s24
	s_delay_alu instid0(VALU_DEP_3) | instskip(SKIP_2) | instid1(VALU_DEP_1)
	v_mul_lo_u32 v7, v2, s24
	s_wait_alu 0xfffd
	v_cndmask_b32_e32 v8, v246, v111, vcc_lo
	v_dual_mov_b32 v0, 0 :: v_dual_lshlrev_b32 v97, 2, v8
	s_delay_alu instid0(VALU_DEP_4) | instskip(NEXT) | instid1(VALU_DEP_4)
	v_sub_nc_u32_e32 v98, v4, v6
	v_sub_nc_u32_e32 v99, v5, v7
	s_delay_alu instid0(VALU_DEP_3) | instskip(SKIP_1) | instid1(VALU_DEP_4)
	v_dual_mov_b32 v1, v0 :: v_dual_lshlrev_b32 v56, 1, v144
	v_dual_mov_b32 v110, 0xfeffffff :: v_dual_mov_b32 v9, v0
	v_mad_co_i64_i32 v[107:108], null, v98, s40, 0
	s_delay_alu instid0(VALU_DEP_4) | instskip(NEXT) | instid1(VALU_DEP_4)
	v_mad_co_i64_i32 v[105:106], null, v99, s40, 0
	v_add_co_u32 v98, s4, s80, v56
	v_dual_mov_b32 v2, v0 :: v_dual_mov_b32 v11, v0
	v_dual_mov_b32 v3, v0 :: v_dual_mov_b32 v8, v0
	;; [unrolled: 1-line block ×12, first 2 shown]
	v_mov_b32_e32 v6, v0
	s_wait_alu 0xf1ff
	v_add_co_ci_u32_e64 v99, null, s81, 0, s4
.LBB19_75:                              ;   Parent Loop BB19_12 Depth=1
                                        ; =>  This Inner Loop Header: Depth=2
	s_wait_alu 0xfffe
	s_ashr_i32 s95, s94, 31
	v_lshlrev_b64_e32 v[113:114], 1, v[107:108]
	s_wait_alu 0xfffe
	s_lshl_b64 s[4:5], s[94:95], 1
	v_lshlrev_b64_e32 v[119:120], 1, v[105:106]
	s_wait_alu 0xfffe
	v_add_co_u32 v56, vcc_lo, v98, s4
	s_wait_alu 0xfffd
	v_add_co_ci_u32_e64 v102, null, s5, v99, vcc_lo
	s_mul_u64 s[4:5], s[94:95], s[26:27]
	v_add_co_u32 v113, vcc_lo, v56, v113
	s_wait_alu 0xfffd
	v_add_co_ci_u32_e64 v114, null, v102, v114, vcc_lo
	v_add_co_u32 v119, vcc_lo, v56, v119
	s_wait_alu 0xfffd
	v_add_co_ci_u32_e64 v120, null, v102, v120, vcc_lo
	s_clause 0x1
	global_load_b32 v56, v[113:114], off
	global_load_b32 v102, v[119:120], off
	v_add_nc_u32_e32 v113, v222, v220
	s_wait_alu 0xfffe
	s_lshl_b64 s[4:5], s[4:5], 2
	s_add_co_i32 s34, s34, 1
	s_wait_alu 0xfffe
	s_add_nc_u64 s[4:5], s[78:79], s[4:5]
	v_add_nc_u32_e32 v113, 0x1c00, v113
	s_wait_loadcnt 0x0
	ds_store_2addr_b32 v113, v56, v102 offset0:128 offset1:208
	s_wait_alu 0xfffe
	v_add_co_u32 v56, vcc_lo, s4, v67
	s_wait_alu 0xfffd
	v_add_co_ci_u32_e64 v102, null, s5, v68, vcc_lo
	s_delay_alu instid0(VALU_DEP_2) | instskip(SKIP_1) | instid1(VALU_DEP_2)
	v_add_co_u32 v113, vcc_lo, v56, v216
	s_wait_alu 0xfffd
	v_add_co_ci_u32_e64 v114, null, 0, v102, vcc_lo
	v_add_co_u32 v56, vcc_lo, s4, v79
	s_wait_alu 0xfffd
	v_add_co_ci_u32_e64 v102, null, s5, v80, vcc_lo
	s_delay_alu instid0(VALU_DEP_2) | instskip(SKIP_1) | instid1(VALU_DEP_2)
	v_add_co_u32 v123, vcc_lo, v56, v217
	s_wait_alu 0xfffd
	v_add_co_ci_u32_e64 v124, null, 0, v102, vcc_lo
	s_clause 0x1
	global_load_b128 v[119:122], v[113:114], off offset:192
	global_load_b128 v[123:126], v[123:124], off offset:128
	v_add_co_u32 v56, vcc_lo, s4, v81
	s_wait_alu 0xfffd
	v_add_co_ci_u32_e64 v102, null, s5, v82, vcc_lo
	s_delay_alu instid0(VALU_DEP_2) | instskip(SKIP_1) | instid1(VALU_DEP_2)
	v_add_co_u32 v113, vcc_lo, v56, v217
	s_wait_alu 0xfffd
	v_add_co_ci_u32_e64 v114, null, 0, v102, vcc_lo
	v_add_co_u32 v56, vcc_lo, s4, v84
	s_wait_alu 0xfffd
	v_add_co_ci_u32_e64 v102, null, s5, v85, vcc_lo
	s_delay_alu instid0(VALU_DEP_2) | instskip(SKIP_1) | instid1(VALU_DEP_2)
	v_add_co_u32 v162, vcc_lo, v56, v218
	s_wait_alu 0xfffd
	v_add_co_ci_u32_e64 v163, null, 0, v102, vcc_lo
	v_add_co_u32 v56, vcc_lo, s4, v86
	s_wait_alu 0xfffd
	v_add_co_ci_u32_e64 v102, null, s5, v87, vcc_lo
	s_wait_loadcnt 0x1
	ds_store_b128 v130, v[119:122]
	s_clause 0x1
	global_load_b128 v[119:122], v[113:114], off offset:128
	global_load_b128 v[162:165], v[162:163], off
	v_add_co_u32 v113, vcc_lo, v56, v218
	s_wait_alu 0xfffd
	v_add_co_ci_u32_e64 v114, null, 0, v102, vcc_lo
	v_add_co_u32 v56, vcc_lo, s4, v88
	s_wait_alu 0xfffd
	v_add_co_ci_u32_e64 v102, null, s5, v89, vcc_lo
	s_wait_loadcnt 0x2
	ds_store_b128 v146, v[123:126]
	s_wait_loadcnt 0x1
	ds_store_b128 v147, v[119:122]
	v_add_co_u32 v123, vcc_lo, v56, v218
	s_wait_alu 0xfffd
	v_add_co_ci_u32_e64 v124, null, 0, v102, vcc_lo
	s_clause 0x1
	global_load_b128 v[119:122], v[113:114], off
	global_load_b128 v[123:126], v[123:124], off
	v_add_co_u32 v56, vcc_lo, s4, v90
	s_wait_alu 0xfffd
	v_add_co_ci_u32_e64 v102, null, s5, v91, vcc_lo
	s_mul_u64 s[4:5], s[94:95], s[36:37]
	v_add_co_u32 v113, vcc_lo, v56, v218
	s_wait_alu 0xfffd
	v_add_co_ci_u32_e64 v114, null, 0, v102, vcc_lo
	s_wait_alu 0xfffe
	s_lshl_b64 s[4:5], s[4:5], 2
	s_add_co_i32 s94, s94, 32
	s_wait_alu 0xfffe
	s_add_nc_u64 s[4:5], s[76:77], s[4:5]
	s_cmp_lt_i32 s34, s56
	s_wait_loadcnt 0x2
	ds_store_b128 v139, v[162:165]
	s_wait_loadcnt 0x1
	ds_store_b128 v140, v[119:122]
	global_load_b128 v[119:122], v[113:114], off
	s_wait_loadcnt 0x1
	ds_store_b128 v223, v[123:126]
	s_wait_loadcnt 0x0
	ds_store_b128 v224, v[119:122]
	s_wait_dscnt 0x0
	s_barrier_signal -1
	s_barrier_wait -1
	global_inv scope:SCOPE_SE
	ds_load_b128 v[162:165], v132
	ds_load_b128 v[166:169], v132 offset:32
	s_wait_dscnt 0x1
	v_wmma_f32_16x16x16_f16 v[119:126], v[162:165], v[52:55], 0
	s_wait_dscnt 0x0
	s_delay_alu instid0(VALU_DEP_1)
	v_wmma_f32_16x16x16_f16 v[119:126], v[166:169], v[48:51], v[119:126]
	ds_load_b128 v[162:165], v132 offset:64
	ds_load_b128 v[166:169], v132 offset:96
	s_wait_dscnt 0x1
	v_wmma_f32_16x16x16_f16 v[119:126], v[162:165], v[40:43], v[119:126]
	s_wait_dscnt 0x0
	s_delay_alu instid0(VALU_DEP_1)
	v_wmma_f32_16x16x16_f16 v[119:126], v[166:169], v[44:47], v[119:126]
	ds_load_b128 v[162:165], v132 offset:128
	ds_load_b128 v[166:169], v132 offset:160
	s_wait_dscnt 0x1
	v_wmma_f32_16x16x16_f16 v[119:126], v[162:165], v[36:39], v[119:126]
	ds_load_b128 v[162:165], v132 offset:192
	s_wait_loadcnt_dscnt 0x0
	s_barrier_signal -1
	s_barrier_wait -1
	v_wmma_f32_16x16x16_f16 v[119:126], v[166:169], v[32:35], v[119:126]
	global_inv scope:SCOPE_SE
	v_wmma_f32_16x16x16_f16 v[119:126], v[162:165], v[28:31], v[119:126]
	v_add_nc_u32_e32 v56, 0x1e00, v133
	v_add_nc_u32_e32 v102, 0x1e08, v133
	ds_load_2addr_b32 v[113:114], v56 offset1:1
	ds_load_2addr_b32 v[162:163], v102 offset1:1
	s_wait_dscnt 0x1
	v_cvt_f32_f16_e32 v56, v113
	v_lshrrev_b32_e32 v102, 16, v113
	v_cvt_f32_f16_e32 v113, v114
	v_lshrrev_b32_e32 v114, 16, v114
	s_wait_dscnt 0x0
	v_lshrrev_b32_e32 v127, 16, v162
	v_cvt_f32_f16_e64 v115, v162
	v_cvt_f32_f16_e32 v102, v102
	v_add_f32_e32 v56, v119, v56
	v_cvt_f32_f16_e32 v114, v114
	v_cvt_f32_f16_e32 v127, v127
	v_add_f32_e32 v166, v121, v113
	s_wait_alu 0xfffe
	v_add_co_u32 v113, vcc_lo, s4, v58
	v_add_f32_e32 v167, v122, v114
	s_wait_alu 0xfffd
	v_add_co_ci_u32_e64 v114, null, s5, v59, vcc_lo
	s_delay_alu instid0(VALU_DEP_3) | instskip(SKIP_2) | instid1(VALU_DEP_3)
	v_add_co_u32 v113, vcc_lo, v113, v216
	v_lshrrev_b32_e32 v161, 16, v163
	s_wait_alu 0xfffd
	v_add_co_ci_u32_e64 v114, null, 0, v114, vcc_lo
	v_add_co_u32 v119, vcc_lo, s4, v61
	v_add_f32_e32 v102, v120, v102
	s_wait_alu 0xfffd
	v_add_co_ci_u32_e64 v120, null, s5, v62, vcc_lo
	v_add_f32_e32 v115, v123, v115
	v_add_co_u32 v123, vcc_lo, v119, v217
	v_cvt_f32_f16_e64 v162, v163
	v_cvt_f32_f16_e64 v161, v161
	v_add_f32_e32 v127, v124, v127
	s_wait_alu 0xfffd
	v_add_co_ci_u32_e64 v124, null, 0, v120, vcc_lo
	s_delay_alu instid0(VALU_DEP_3)
	v_dual_add_f32 v168, v125, v162 :: v_dual_add_f32 v161, v126, v161
	s_clause 0x1
	global_load_b128 v[119:122], v[113:114], off offset:192
	global_load_b128 v[123:126], v[123:124], off offset:128
	v_add_co_u32 v113, vcc_lo, s4, v63
	s_wait_alu 0xfffd
	v_add_co_ci_u32_e64 v114, null, s5, v64, vcc_lo
	s_delay_alu instid0(VALU_DEP_2) | instskip(SKIP_1) | instid1(VALU_DEP_2)
	v_add_co_u32 v113, vcc_lo, v113, v217
	s_wait_alu 0xfffd
	v_add_co_ci_u32_e64 v114, null, 0, v114, vcc_lo
	s_wait_loadcnt 0x1
	ds_store_b128 v130, v[119:122]
	v_add_co_u32 v119, vcc_lo, s4, v71
	s_wait_alu 0xfffd
	v_add_co_ci_u32_e64 v120, null, s5, v72, vcc_lo
	s_delay_alu instid0(VALU_DEP_2) | instskip(SKIP_1) | instid1(VALU_DEP_2)
	v_add_co_u32 v162, vcc_lo, v119, v218
	s_wait_alu 0xfffd
	v_add_co_ci_u32_e64 v163, null, 0, v120, vcc_lo
	s_clause 0x1
	global_load_b128 v[119:122], v[113:114], off offset:128
	global_load_b128 v[162:165], v[162:163], off
	v_add_co_u32 v113, vcc_lo, s4, v73
	s_wait_alu 0xfffd
	v_add_co_ci_u32_e64 v114, null, s5, v74, vcc_lo
	s_wait_loadcnt 0x2
	ds_store_b128 v146, v[123:126]
	s_wait_loadcnt 0x1
	ds_store_b128 v147, v[119:122]
	v_add_co_u32 v113, vcc_lo, v113, v218
	s_wait_alu 0xfffd
	v_add_co_ci_u32_e64 v114, null, 0, v114, vcc_lo
	v_add_co_u32 v119, vcc_lo, s4, v75
	s_wait_alu 0xfffd
	v_add_co_ci_u32_e64 v120, null, s5, v76, vcc_lo
	s_delay_alu instid0(VALU_DEP_2) | instskip(SKIP_1) | instid1(VALU_DEP_2)
	v_add_co_u32 v123, vcc_lo, v119, v218
	s_wait_alu 0xfffd
	v_add_co_ci_u32_e64 v124, null, 0, v120, vcc_lo
	s_clause 0x1
	global_load_b128 v[119:122], v[113:114], off
	global_load_b128 v[123:126], v[123:124], off
	v_add_co_u32 v113, vcc_lo, s4, v77
	s_wait_alu 0xfffd
	v_add_co_ci_u32_e64 v114, null, s5, v78, vcc_lo
	s_wait_loadcnt 0x2
	ds_store_b128 v139, v[162:165]
	s_wait_loadcnt 0x1
	ds_store_b128 v140, v[119:122]
	v_add_co_u32 v113, vcc_lo, v113, v218
	s_wait_alu 0xfffd
	v_add_co_ci_u32_e64 v114, null, 0, v114, vcc_lo
	global_load_b128 v[119:122], v[113:114], off
	v_dual_mov_b32 v113, v110 :: v_dual_add_f32 v110, 0x40051340, v56
	v_add_f32_e32 v114, 0x40051340, v102
	s_wait_loadcnt 0x1
	ds_store_b128 v223, v[123:126]
	s_wait_loadcnt 0x0
	ds_store_b128 v224, v[119:122]
	v_add_f32_e32 v119, 0x40051340, v167
	v_max3_num_f32 v110, v113, v110, v114
	v_add_f32_e32 v114, 0x40051340, v166
	s_wait_dscnt 0x0
	s_barrier_signal -1
	s_barrier_wait -1
	global_inv scope:SCOPE_SE
	v_max3_num_f32 v110, v110, v114, v119
	v_add_f32_e32 v114, 0x40051340, v115
	v_add_f32_e32 v119, 0x40051340, v127
	s_delay_alu instid0(VALU_DEP_1) | instskip(SKIP_1) | instid1(VALU_DEP_1)
	v_max3_num_f32 v110, v110, v114, v119
	v_dual_add_f32 v114, 0x40051340, v168 :: v_dual_add_f32 v119, 0x40051340, v161
	v_max3_num_f32 v110, v110, v114, v119
	ds_bpermute_b32 v114, v97, v110
	s_wait_dscnt 0x0
	v_max_num_f32_e32 v114, v114, v114
	s_delay_alu instid0(VALU_DEP_1) | instskip(NEXT) | instid1(VALU_DEP_1)
	v_max_num_f32_e32 v110, v110, v114
	v_sub_f32_e32 v114, v115, v110
	s_delay_alu instid0(VALU_DEP_1) | instskip(NEXT) | instid1(VALU_DEP_1)
	v_mul_f32_e32 v115, 0x3fb8aa3b, v114
	v_fma_f32 v119, 0x3fb8aa3b, v114, -v115
	v_rndne_f32_e32 v120, v115
	s_delay_alu instid0(VALU_DEP_2) | instskip(NEXT) | instid1(VALU_DEP_2)
	v_fmac_f32_e32 v119, 0x32a5705f, v114
	v_sub_f32_e32 v115, v115, v120
	v_cvt_i32_f32_e32 v120, v120
	s_delay_alu instid0(VALU_DEP_2) | instskip(SKIP_1) | instid1(VALU_DEP_2)
	v_add_f32_e32 v115, v115, v119
	v_sub_f32_e32 v119, v127, v110
	v_exp_f32_e32 v115, v115
	s_delay_alu instid0(VALU_DEP_1)
	v_mul_f32_e32 v121, 0x3fb8aa3b, v119
	v_cmp_ngt_f32_e32 vcc_lo, 0xc2ce8ed0, v119
	v_sub_f32_e32 v102, v102, v110
	v_sub_f32_e32 v113, v113, v110
	;; [unrolled: 1-line block ×3, first 2 shown]
	v_fma_f32 v122, 0x3fb8aa3b, v119, -v121
	v_rndne_f32_e32 v123, v121
	s_delay_alu instid0(TRANS32_DEP_1) | instskip(NEXT) | instid1(VALU_DEP_3)
	v_ldexp_f32 v115, v115, v120
	v_fmac_f32_e32 v122, 0x32a5705f, v119
	s_delay_alu instid0(VALU_DEP_3) | instskip(SKIP_2) | instid1(VALU_DEP_3)
	v_sub_f32_e32 v121, v121, v123
	v_cvt_i32_f32_e32 v123, v123
	v_cmp_ngt_f32_e64 s6, 0xc2ce8ed0, v114
	v_add_f32_e32 v121, v121, v122
	v_sub_f32_e32 v122, v168, v110
	s_wait_alu 0xf1ff
	s_delay_alu instid0(VALU_DEP_3) | instskip(SKIP_4) | instid1(VALU_DEP_2)
	v_cndmask_b32_e64 v115, 0, v115, s6
	v_cmp_nlt_f32_e64 s6, 0x42b17218, v114
	v_exp_f32_e32 v121, v121
	v_mul_f32_e32 v124, 0x3fb8aa3b, v122
	s_wait_alu 0xf1ff
	v_cndmask_b32_e64 v114, 0x7f800000, v115, s6
	s_delay_alu instid0(VALU_DEP_2) | instskip(SKIP_1) | instid1(TRANS32_DEP_1)
	v_fma_f32 v125, 0x3fb8aa3b, v122, -v124
	v_rndne_f32_e32 v126, v124
	v_ldexp_f32 v121, v121, v123
	s_delay_alu instid0(VALU_DEP_3) | instskip(NEXT) | instid1(VALU_DEP_3)
	v_fmac_f32_e32 v125, 0x32a5705f, v122
	v_sub_f32_e32 v124, v124, v126
	v_cvt_i32_f32_e32 v120, v126
	s_wait_alu 0xfffd
	v_cndmask_b32_e32 v121, 0, v121, vcc_lo
	v_cmp_nlt_f32_e32 vcc_lo, 0x42b17218, v119
	v_dual_add_f32 v124, v124, v125 :: v_dual_sub_f32 v125, v161, v110
	s_delay_alu instid0(VALU_DEP_1) | instskip(NEXT) | instid1(VALU_DEP_1)
	v_exp_f32_e32 v124, v124
	v_mul_f32_e32 v127, 0x3fb8aa3b, v125
	v_cmp_ngt_f32_e64 s4, 0xc2ce8ed0, v122
	v_cmp_ngt_f32_e64 s5, 0xc2ce8ed0, v125
	s_delay_alu instid0(VALU_DEP_3) | instskip(SKIP_1) | instid1(TRANS32_DEP_1)
	v_fma_f32 v161, 0x3fb8aa3b, v125, -v127
	v_rndne_f32_e32 v162, v127
	v_ldexp_f32 v120, v124, v120
	s_delay_alu instid0(VALU_DEP_3) | instskip(NEXT) | instid1(VALU_DEP_3)
	v_fmac_f32_e32 v161, 0x32a5705f, v125
	v_sub_f32_e32 v127, v127, v162
	v_cvt_i32_f32_e32 v123, v162
	s_wait_alu 0xf1ff
	v_cndmask_b32_e64 v119, 0, v120, s4
	v_cmp_nlt_f32_e64 s4, 0x42b17218, v122
	v_add_f32_e32 v127, v127, v161
	s_wait_alu 0xfffd
	v_cndmask_b32_e32 v161, 0x7f800000, v121, vcc_lo
	s_wait_alu 0xf1ff
	v_cndmask_b32_e64 v115, 0x7f800000, v119, s4
	v_exp_f32_e32 v124, v127
	v_cvt_f16_f32_e32 v119, v114
	s_delay_alu instid0(TRANS32_DEP_1) | instskip(NEXT) | instid1(VALU_DEP_1)
	v_ldexp_f32 v123, v124, v123
	v_cndmask_b32_e64 v120, 0, v123, s5
	v_cmp_nlt_f32_e64 s5, 0x42b17218, v125
	v_cvt_f16_f32_e64 v123, v161
	s_wait_alu 0xf1ff
	s_delay_alu instid0(VALU_DEP_2) | instskip(SKIP_1) | instid1(VALU_DEP_2)
	v_cndmask_b32_e64 v127, 0x7f800000, v120, s5
	v_cvt_f16_f32_e32 v120, v115
	v_cvt_f16_f32_e32 v121, v127
	s_delay_alu instid0(VALU_DEP_1) | instskip(SKIP_2) | instid1(VALU_DEP_1)
	v_perm_b32 v122, v121, v120, 0x5040100
	v_perm_b32 v121, v123, v119, 0x5040100
	v_sub_f32_e32 v119, v167, v110
	v_mul_f32_e32 v120, 0x3fb8aa3b, v119
	v_cmp_ngt_f32_e32 vcc_lo, 0xc2ce8ed0, v119
	s_delay_alu instid0(VALU_DEP_2) | instskip(SKIP_1) | instid1(VALU_DEP_1)
	v_fma_f32 v123, 0x3fb8aa3b, v119, -v120
	v_rndne_f32_e32 v124, v120
	v_dual_fmac_f32 v123, 0x32a5705f, v119 :: v_dual_sub_f32 v120, v120, v124
	v_cvt_i32_f32_e32 v124, v124
	s_delay_alu instid0(VALU_DEP_2) | instskip(NEXT) | instid1(VALU_DEP_1)
	v_dual_add_f32 v120, v120, v123 :: v_dual_sub_f32 v123, v166, v110
	v_exp_f32_e32 v120, v120
	s_delay_alu instid0(VALU_DEP_1) | instskip(SKIP_1) | instid1(VALU_DEP_2)
	v_mul_f32_e32 v125, 0x3fb8aa3b, v123
	v_cmp_ngt_f32_e64 s4, 0xc2ce8ed0, v123
	v_fma_f32 v126, 0x3fb8aa3b, v123, -v125
	v_rndne_f32_e32 v162, v125
	s_delay_alu instid0(TRANS32_DEP_1) | instskip(NEXT) | instid1(VALU_DEP_3)
	v_ldexp_f32 v120, v120, v124
	v_fmac_f32_e32 v126, 0x32a5705f, v123
	s_delay_alu instid0(VALU_DEP_3) | instskip(SKIP_1) | instid1(VALU_DEP_3)
	v_cvt_i32_f32_e32 v124, v162
	s_wait_alu 0xfffd
	v_cndmask_b32_e32 v120, 0, v120, vcc_lo
	v_cmp_nlt_f32_e32 vcc_lo, 0x42b17218, v119
	s_wait_alu 0xfffd
	s_delay_alu instid0(VALU_DEP_2) | instskip(SKIP_2) | instid1(VALU_DEP_3)
	v_cndmask_b32_e32 v175, 0x7f800000, v120, vcc_lo
	v_sub_f32_e32 v125, v125, v162
	v_cmp_ngt_f32_e32 vcc_lo, 0xc2ce8ed0, v102
	v_cvt_f16_f32_e64 v120, v175
	s_delay_alu instid0(VALU_DEP_3) | instskip(NEXT) | instid1(VALU_DEP_1)
	v_add_f32_e32 v125, v125, v126
	v_exp_f32_e32 v125, v125
	s_delay_alu instid0(TRANS32_DEP_1) | instskip(SKIP_1) | instid1(VALU_DEP_1)
	v_ldexp_f32 v124, v125, v124
	s_wait_alu 0xf1ff
	v_cndmask_b32_e64 v119, 0, v124, s4
	v_cmp_nlt_f32_e64 s4, 0x42b17218, v123
	s_wait_alu 0xf1ff
	s_delay_alu instid0(VALU_DEP_1) | instskip(SKIP_1) | instid1(VALU_DEP_2)
	v_cndmask_b32_e64 v174, 0x7f800000, v119, s4
	v_cmp_ngt_f32_e64 s4, 0xc2ce8ed0, v56
	v_cvt_f16_f32_e64 v119, v174
	s_delay_alu instid0(VALU_DEP_1) | instskip(SKIP_1) | instid1(VALU_DEP_1)
	v_perm_b32 v120, v120, v119, 0x5040100
	v_mul_f32_e32 v119, 0x3fb8aa3b, v102
	v_fma_f32 v123, 0x3fb8aa3b, v102, -v119
	v_rndne_f32_e32 v124, v119
	s_delay_alu instid0(VALU_DEP_2) | instskip(NEXT) | instid1(VALU_DEP_2)
	v_fmac_f32_e32 v123, 0x32a5705f, v102
	v_sub_f32_e32 v119, v119, v124
	v_cvt_i32_f32_e32 v124, v124
	s_delay_alu instid0(VALU_DEP_2) | instskip(SKIP_1) | instid1(VALU_DEP_2)
	v_add_f32_e32 v119, v119, v123
	v_mul_f32_e32 v123, 0x3fb8aa3b, v56
	v_exp_f32_e32 v119, v119
	s_delay_alu instid0(VALU_DEP_1) | instskip(SKIP_1) | instid1(VALU_DEP_2)
	v_fma_f32 v125, 0x3fb8aa3b, v56, -v123
	v_rndne_f32_e32 v126, v123
	v_fmac_f32_e32 v125, 0x32a5705f, v56
	s_delay_alu instid0(VALU_DEP_2) | instskip(NEXT) | instid1(TRANS32_DEP_1)
	v_sub_f32_e32 v123, v123, v126
	v_ldexp_f32 v119, v119, v124
	v_cvt_i32_f32_e32 v124, v126
	s_delay_alu instid0(VALU_DEP_3) | instskip(SKIP_1) | instid1(VALU_DEP_3)
	v_add_f32_e32 v123, v123, v125
	s_wait_alu 0xfffd
	v_cndmask_b32_e32 v119, 0, v119, vcc_lo
	v_cmp_nlt_f32_e32 vcc_lo, 0x42b17218, v102
	s_delay_alu instid0(VALU_DEP_3) | instskip(NEXT) | instid1(TRANS32_DEP_1)
	v_exp_f32_e32 v123, v123
	v_ldexp_f32 v123, v123, v124
	s_wait_alu 0xf1ff
	s_delay_alu instid0(VALU_DEP_1) | instskip(SKIP_2) | instid1(VALU_DEP_1)
	v_cndmask_b32_e64 v102, 0, v123, s4
	v_cmp_nlt_f32_e64 s4, 0x42b17218, v56
	s_wait_alu 0xf1ff
	v_cndmask_b32_e64 v56, 0x7f800000, v102, s4
	s_wait_alu 0xfffd
	v_cndmask_b32_e32 v102, 0x7f800000, v119, vcc_lo
	v_cmp_ngt_f32_e32 vcc_lo, 0xc2ce8ed0, v113
	s_delay_alu instid0(VALU_DEP_3) | instskip(NEXT) | instid1(VALU_DEP_3)
	v_cvt_f16_f32_e32 v119, v56
	v_cvt_f16_f32_e32 v123, v102
	v_add_f32_e32 v56, v56, v102
	v_mov_b32_e32 v102, v100
	s_delay_alu instid0(VALU_DEP_3) | instskip(NEXT) | instid1(VALU_DEP_3)
	v_perm_b32 v119, v123, v119, 0x5040100
	v_dual_mul_f32 v123, 0x3fb8aa3b, v113 :: v_dual_add_f32 v56, v174, v56
	s_delay_alu instid0(VALU_DEP_1) | instskip(SKIP_1) | instid1(VALU_DEP_3)
	v_fma_f32 v124, 0x3fb8aa3b, v113, -v123
	v_rndne_f32_e32 v125, v123
	v_add_f32_e32 v56, v175, v56
	s_delay_alu instid0(VALU_DEP_3) | instskip(NEXT) | instid1(VALU_DEP_2)
	v_fmac_f32_e32 v124, 0x32a5705f, v113
	v_dual_sub_f32 v123, v123, v125 :: v_dual_add_f32 v56, v114, v56
	s_delay_alu instid0(VALU_DEP_1) | instskip(SKIP_1) | instid1(VALU_DEP_3)
	v_add_f32_e32 v123, v123, v124
	v_cvt_i32_f32_e32 v124, v125
	v_add_f32_e32 v56, v161, v56
	s_delay_alu instid0(VALU_DEP_3) | instskip(NEXT) | instid1(VALU_DEP_1)
	v_exp_f32_e32 v123, v123
	v_add_f32_e32 v56, v115, v56
	s_delay_alu instid0(VALU_DEP_1) | instskip(NEXT) | instid1(TRANS32_DEP_1)
	v_add_f32_e32 v100, v127, v56
	v_ldexp_f32 v123, v123, v124
	s_wait_alu 0xfffd
	s_delay_alu instid0(VALU_DEP_1) | instskip(SKIP_2) | instid1(VALU_DEP_2)
	v_cndmask_b32_e32 v123, 0, v123, vcc_lo
	v_cmp_nlt_f32_e32 vcc_lo, 0x42b17218, v113
	s_wait_alu 0xfffd
	v_cndmask_b32_e32 v123, 0x7f800000, v123, vcc_lo
	v_cmp_le_f32_e32 vcc_lo, 0xc1a00000, v113
	s_wait_alu 0xfffd
	s_delay_alu instid0(VALU_DEP_2) | instskip(NEXT) | instid1(VALU_DEP_1)
	v_cndmask_b32_e32 v113, 0, v123, vcc_lo
	v_cvt_f16_f32_e32 v123, v113
	s_delay_alu instid0(VALU_DEP_1) | instskip(NEXT) | instid1(VALU_DEP_1)
	v_dual_fmac_f32 v100, v102, v113 :: v_dual_and_b32 v123, 0xffff, v123
	v_mul_u32_u24_e32 v176, 0x10001, v123
	ds_load_u16 v124, v134 offset:512
	ds_load_u16 v125, v134 offset:992
	ds_load_u16 v165, v135
	ds_load_u16 v163, v134 offset:480
	ds_load_u16 v162, v134
	ds_load_u16 v123, v134 offset:32
	ds_load_u16 v166, v134 offset:64
	;; [unrolled: 1-line block ×15, first 2 shown]
	s_wait_dscnt 0x10
	ds_load_u16_d16_hi v163, v134 offset:720
	ds_load_u16 v188, v134 offset:640
	s_wait_dscnt 0xa
	ds_load_u16_d16_hi v178, v134 offset:912
	ds_load_u16_d16_hi v125, v134 offset:1232
	;; [unrolled: 1-line block ×4, first 2 shown]
	ds_load_u16 v179, v134 offset:1152
	s_wait_dscnt 0xe
	ds_load_u16_d16_hi v177, v134 offset:432
	ds_load_u16_d16_hi v124, v134 offset:752
	;; [unrolled: 1-line block ×3, first 2 shown]
	ds_load_u16_d16_hi v165, v136
	ds_load_u16_d16_hi v162, v134 offset:240
	ds_load_u16_d16_hi v123, v134 offset:272
	;; [unrolled: 1-line block ×4, first 2 shown]
	s_wait_dscnt 0x11
	ds_load_u16_d16_hi v183, v134 offset:368
	s_wait_dscnt 0x11
	ds_load_u16_d16_hi v187, v134 offset:400
	ds_load_u16 v189, v134 offset:1120
	s_wait_dscnt 0xb
	ds_load_u16_d16_hi v179, v134 offset:1392
	ds_load_u16_d16_hi v126, v136 offset:32
	;; [unrolled: 1-line block ×6, first 2 shown]
	ds_load_u16 v180, v135 offset:192
	ds_load_u16 v167, v134 offset:544
	;; [unrolled: 1-line block ×4, first 2 shown]
	s_wait_dscnt 0x2
	ds_load_u16_d16_hi v167, v134 offset:784
	s_wait_dscnt 0x2
	ds_load_u16_d16_hi v171, v134 offset:816
	;; [unrolled: 2-line block ×3, first 2 shown]
	ds_load_u16_d16_hi v188, v134 offset:880
	ds_load_u16 v185, v134 offset:1088
	s_wait_dscnt 0x0
	ds_load_u16_d16_hi v185, v134 offset:1328
	ds_load_u16_d16_hi v189, v134 offset:1360
	;; [unrolled: 1-line block ×3, first 2 shown]
	v_pk_mul_f16 v24, v24, v176
	v_pk_mul_f16 v25, v25, v176
	;; [unrolled: 1-line block ×28, first 2 shown]
	v_wmma_f16_16x16x16_f16 v[24:27], v[162:165], v[119:122], v[24:27]
	v_wmma_f16_16x16x16_f16 v[20:23], v[123:126], v[119:122], v[20:23]
	;; [unrolled: 1-line block ×4, first 2 shown]
	s_wait_dscnt 0x2
	v_wmma_f16_16x16x16_f16 v[8:11], v[183:186], v[119:122], v[8:11]
	s_wait_dscnt 0x1
	v_wmma_f16_16x16x16_f16 v[0:3], v[187:190], v[119:122], v[0:3]
	;; [unrolled: 2-line block ×3, first 2 shown]
	s_wait_loadcnt 0x0
	s_barrier_signal -1
	s_barrier_wait -1
	global_inv scope:SCOPE_SE
	s_cbranch_scc1 .LBB19_75
	s_branch .LBB19_78
.LBB19_76:                              ;   in Loop: Header=BB19_12 Depth=1
	s_cbranch_execz .LBB19_11
	s_branch .LBB19_221
.LBB19_77:                              ;   in Loop: Header=BB19_12 Depth=1
	v_dual_mov_b32 v7, 0 :: v_dual_mov_b32 v110, 0xfeffffff
	s_delay_alu instid0(VALU_DEP_1)
	v_dual_mov_b32 v100, 0 :: v_dual_mov_b32 v5, v7
	v_dual_mov_b32 v6, v7 :: v_dual_mov_b32 v27, v7
	;; [unrolled: 1-line block ×13, first 2 shown]
	v_mov_b32_e32 v2, v7
	v_mov_b32_e32 v0, v7
.LBB19_78:                              ;   in Loop: Header=BB19_12 Depth=1
	s_lshl_b32 s4, s34, 5
	v_lshlrev_b32_e32 v56, 1, v144
	s_wait_alu 0xfffe
	s_ashr_i32 s5, s4, 31
	v_lshlrev_b64_e32 v[97:98], 1, v[107:108]
	s_wait_alu 0xfffe
	s_lshl_b64 s[94:95], s[4:5], 1
	v_lshlrev_b64_e32 v[105:106], 1, v[105:106]
	s_wait_alu 0xfffe
	s_add_nc_u64 s[94:95], s[80:81], s[94:95]
	s_wait_alu 0xfffe
	v_add_co_u32 v56, s6, s94, v56
	s_wait_alu 0xf1ff
	v_add_co_ci_u32_e64 v99, null, s95, 0, s6
	s_mul_u64 s[94:95], s[26:27], s[4:5]
	v_add_co_u32 v97, vcc_lo, v56, v97
	s_wait_alu 0xfffd
	v_add_co_ci_u32_e64 v98, null, v99, v98, vcc_lo
	v_add_co_u32 v105, vcc_lo, v56, v105
	s_wait_alu 0xfffd
	v_add_co_ci_u32_e64 v106, null, v99, v106, vcc_lo
	s_clause 0x1
	global_load_b32 v56, v[97:98], off
	global_load_b32 v97, v[105:106], off
	v_add_nc_u32_e32 v98, v222, v220
	s_wait_alu 0xfffe
	s_lshl_b64 s[94:95], s[94:95], 2
	s_mul_u64 s[4:5], s[36:37], s[4:5]
	s_wait_alu 0xfffe
	s_add_nc_u64 s[94:95], s[78:79], s[94:95]
	s_lshl_b64 s[4:5], s[4:5], 2
	v_add_nc_u32_e32 v98, 0x1c00, v98
	s_wait_alu 0xfffe
	s_add_nc_u64 s[4:5], s[76:77], s[4:5]
	s_cmp_lg_u64 s[74:75], 0
	s_wait_loadcnt 0x0
	ds_store_2addr_b32 v98, v56, v97 offset0:128 offset1:208
	v_add_co_u32 v56, vcc_lo, s94, v67
	s_wait_alu 0xfffd
	v_add_co_ci_u32_e64 v98, null, s95, v68, vcc_lo
	s_delay_alu instid0(VALU_DEP_2) | instskip(SKIP_1) | instid1(VALU_DEP_2)
	v_add_co_u32 v97, vcc_lo, v56, v216
	s_wait_alu 0xfffd
	v_add_co_ci_u32_e64 v98, null, 0, v98, vcc_lo
	v_add_co_u32 v56, vcc_lo, s94, v79
	s_wait_alu 0xfffd
	v_add_co_ci_u32_e64 v99, null, s95, v80, vcc_lo
	s_delay_alu instid0(VALU_DEP_2) | instskip(SKIP_1) | instid1(VALU_DEP_2)
	v_add_co_u32 v113, vcc_lo, v56, v217
	s_wait_alu 0xfffd
	v_add_co_ci_u32_e64 v114, null, 0, v99, vcc_lo
	s_clause 0x1
	global_load_b128 v[105:108], v[97:98], off offset:192
	global_load_b128 v[119:122], v[113:114], off offset:128
	v_add_co_u32 v56, vcc_lo, s94, v81
	s_wait_alu 0xfffd
	v_add_co_ci_u32_e64 v98, null, s95, v82, vcc_lo
	s_delay_alu instid0(VALU_DEP_2) | instskip(SKIP_1) | instid1(VALU_DEP_2)
	v_add_co_u32 v97, vcc_lo, v56, v217
	s_wait_alu 0xfffd
	v_add_co_ci_u32_e64 v98, null, 0, v98, vcc_lo
	v_add_co_u32 v56, vcc_lo, s94, v84
	s_wait_alu 0xfffd
	v_add_co_ci_u32_e64 v99, null, s95, v85, vcc_lo
	s_delay_alu instid0(VALU_DEP_2) | instskip(SKIP_1) | instid1(VALU_DEP_2)
	v_add_co_u32 v113, vcc_lo, v56, v218
	s_wait_alu 0xfffd
	v_add_co_ci_u32_e64 v114, null, 0, v99, vcc_lo
	v_add_co_u32 v56, vcc_lo, s94, v86
	s_wait_loadcnt 0x1
	ds_store_b128 v130, v[105:108]
	s_clause 0x1
	global_load_b128 v[105:108], v[97:98], off offset:128
	global_load_b128 v[123:126], v[113:114], off
	s_wait_alu 0xfffd
	v_add_co_ci_u32_e64 v98, null, s95, v87, vcc_lo
	v_add_co_u32 v97, vcc_lo, v56, v218
	s_wait_loadcnt 0x2
	ds_store_b128 v146, v[119:122]
	s_wait_loadcnt 0x1
	ds_store_b128 v147, v[105:108]
	s_wait_alu 0xfffd
	v_add_co_ci_u32_e64 v98, null, 0, v98, vcc_lo
	v_add_co_u32 v56, vcc_lo, s94, v88
	s_wait_alu 0xfffd
	v_add_co_ci_u32_e64 v99, null, s95, v89, vcc_lo
	s_delay_alu instid0(VALU_DEP_2) | instskip(SKIP_1) | instid1(VALU_DEP_2)
	v_add_co_u32 v113, vcc_lo, v56, v218
	s_wait_alu 0xfffd
	v_add_co_ci_u32_e64 v114, null, 0, v99, vcc_lo
	s_clause 0x1
	global_load_b128 v[105:108], v[97:98], off
	global_load_b128 v[119:122], v[113:114], off
	v_add_co_u32 v56, vcc_lo, s94, v90
	s_wait_alu 0xfffd
	v_add_co_ci_u32_e64 v98, null, s95, v91, vcc_lo
	s_wait_loadcnt 0x2
	ds_store_b128 v139, v[123:126]
	s_wait_loadcnt 0x1
	ds_store_b128 v140, v[105:108]
	v_add_co_u32 v97, vcc_lo, v56, v218
	s_wait_alu 0xfffd
	v_add_co_ci_u32_e64 v98, null, 0, v98, vcc_lo
	v_cmp_lt_i32_e32 vcc_lo, v111, v112
	global_load_b128 v[105:108], v[97:98], off
	s_wait_loadcnt 0x1
	ds_store_b128 v223, v[119:122]
	s_wait_loadcnt 0x0
	ds_store_b128 v224, v[105:108]
	s_wait_dscnt 0x0
	s_barrier_signal -1
	s_barrier_wait -1
	global_inv scope:SCOPE_SE
	ds_load_b128 v[105:108], v132
	ds_load_b128 v[162:165], v132 offset:32
	s_wait_dscnt 0x1
	v_wmma_f32_16x16x16_f16 v[119:126], v[105:108], v[52:55], 0
	s_wait_dscnt 0x0
	s_delay_alu instid0(VALU_DEP_1)
	v_wmma_f32_16x16x16_f16 v[119:126], v[162:165], v[48:51], v[119:126]
	ds_load_b128 v[48:51], v132 offset:64
	ds_load_b128 v[52:55], v132 offset:96
	s_wait_dscnt 0x1
	v_wmma_f32_16x16x16_f16 v[119:126], v[48:51], v[40:43], v[119:126]
	s_wait_dscnt 0x0
	s_delay_alu instid0(VALU_DEP_1)
	v_wmma_f32_16x16x16_f16 v[119:126], v[52:55], v[44:47], v[119:126]
	ds_load_b128 v[40:43], v132 offset:128
	;; [unrolled: 7-line block ×3, first 2 shown]
	s_wait_loadcnt_dscnt 0x0
	s_barrier_signal -1
	s_barrier_wait -1
	global_inv scope:SCOPE_SE
	v_wmma_f32_16x16x16_f16 v[119:126], v[32:35], v[28:31], v[119:126]
	v_add_nc_u32_e32 v28, 0x1e00, v133
	v_add_nc_u32_e32 v30, 0x1e08, v133
	ds_load_2addr_b32 v[28:29], v28 offset1:1
	ds_load_2addr_b32 v[30:31], v30 offset1:1
	s_wait_dscnt 0x1
	v_cvt_f32_f16_e32 v32, v28
	v_lshrrev_b32_e32 v28, 16, v28
	v_cvt_f32_f16_e32 v33, v29
	v_lshrrev_b32_e32 v29, 16, v29
	s_wait_dscnt 0x0
	v_cvt_f32_f16_e32 v34, v30
	v_lshrrev_b32_e32 v30, 16, v30
	v_cvt_f32_f16_e32 v28, v28
	v_lshrrev_b32_e32 v35, 16, v31
	v_cvt_f32_f16_e32 v36, v31
	v_cvt_f32_f16_e32 v37, v29
	;; [unrolled: 1-line block ×3, first 2 shown]
	v_add_f32_e32 v29, v119, v32
	v_dual_add_f32 v31, v120, v28 :: v_dual_add_f32 v32, v121, v33
	s_delay_alu instid0(VALU_DEP_4) | instskip(NEXT) | instid1(VALU_DEP_3)
	v_add_f32_e32 v33, v122, v37
	v_dual_add_f32 v47, v124, v30 :: v_dual_add_f32 v28, 0x40051340, v29
	s_delay_alu instid0(VALU_DEP_3)
	v_add_f32_e32 v30, 0x40051340, v31
	v_cvt_f32_f16_e32 v35, v35
	v_add_f32_e32 v46, v123, v34
	v_add_f32_e32 v34, 0x40051340, v33
	;; [unrolled: 1-line block ×3, first 2 shown]
	v_max3_num_f32 v28, v110, v28, v30
	v_dual_add_f32 v30, 0x40051340, v32 :: v_dual_add_f32 v49, v126, v35
	s_delay_alu instid0(VALU_DEP_1) | instskip(SKIP_2) | instid1(VALU_DEP_1)
	v_max3_num_f32 v28, v28, v30, v34
	v_add_f32_e32 v30, 0x40051340, v46
	v_add_f32_e32 v34, 0x40051340, v47
	v_max3_num_f32 v28, v28, v30, v34
	v_add_f32_e32 v30, 0x40051340, v48
	v_add_f32_e32 v34, 0x40051340, v49
	s_delay_alu instid0(VALU_DEP_1) | instskip(SKIP_2) | instid1(VALU_DEP_1)
	v_max3_num_f32 v28, v28, v30, v34
	s_wait_alu 0xfffd
	v_cndmask_b32_e32 v30, v246, v111, vcc_lo
	v_lshlrev_b32_e32 v30, 2, v30
	ds_bpermute_b32 v34, v30, v28
	s_wait_dscnt 0x0
	v_max_num_f32_e32 v34, v34, v34
	s_delay_alu instid0(VALU_DEP_1) | instskip(NEXT) | instid1(VALU_DEP_1)
	v_max_num_f32_e32 v28, v28, v34
	v_sub_f32_e32 v34, v110, v28
	s_delay_alu instid0(VALU_DEP_1) | instskip(SKIP_1) | instid1(VALU_DEP_2)
	v_mul_f32_e32 v35, 0x3fb8aa3b, v34
	v_cmp_ngt_f32_e32 vcc_lo, 0xc2ce8ed0, v34
	v_fma_f32 v36, 0x3fb8aa3b, v34, -v35
	v_rndne_f32_e32 v37, v35
	s_delay_alu instid0(VALU_DEP_1) | instskip(NEXT) | instid1(VALU_DEP_1)
	v_dual_fmac_f32 v36, 0x32a5705f, v34 :: v_dual_sub_f32 v35, v35, v37
	v_add_f32_e32 v35, v35, v36
	v_cvt_i32_f32_e32 v36, v37
	s_delay_alu instid0(VALU_DEP_2) | instskip(NEXT) | instid1(TRANS32_DEP_1)
	v_exp_f32_e32 v35, v35
	v_ldexp_f32 v35, v35, v36
	s_wait_alu 0xfffd
	s_delay_alu instid0(VALU_DEP_1) | instskip(SKIP_2) | instid1(VALU_DEP_2)
	v_cndmask_b32_e32 v35, 0, v35, vcc_lo
	v_cmp_nlt_f32_e32 vcc_lo, 0x42b17218, v34
	s_wait_alu 0xfffd
	v_cndmask_b32_e32 v35, 0x7f800000, v35, vcc_lo
	v_cmp_le_f32_e32 vcc_lo, 0xc1a00000, v34
	s_wait_alu 0xfffd
	s_delay_alu instid0(VALU_DEP_2) | instskip(NEXT) | instid1(VALU_DEP_1)
	v_cndmask_b32_e32 v56, 0, v35, vcc_lo
	v_cvt_f16_f32_e32 v34, v56
	s_delay_alu instid0(VALU_DEP_1) | instskip(NEXT) | instid1(VALU_DEP_1)
	v_and_b32_e32 v34, 0xffff, v34
	v_mul_u32_u24_e32 v34, 0x10001, v34
	s_delay_alu instid0(VALU_DEP_1)
	v_pk_mul_f16 v24, v24, v34
	v_pk_mul_f16 v25, v25, v34
	;; [unrolled: 1-line block ×28, first 2 shown]
	s_wait_alu 0xfffe
	v_add_co_u32 v34, vcc_lo, s4, v58
	s_wait_alu 0xfffd
	v_add_co_ci_u32_e64 v35, null, s5, v59, vcc_lo
	s_delay_alu instid0(VALU_DEP_2) | instskip(SKIP_1) | instid1(VALU_DEP_2)
	v_add_co_u32 v34, vcc_lo, v34, v216
	s_wait_alu 0xfffd
	v_add_co_ci_u32_e64 v35, null, 0, v35, vcc_lo
	v_add_co_u32 v36, vcc_lo, s4, v61
	s_wait_alu 0xfffd
	v_add_co_ci_u32_e64 v37, null, s5, v62, vcc_lo
	s_delay_alu instid0(VALU_DEP_2) | instskip(SKIP_1) | instid1(VALU_DEP_2)
	v_add_co_u32 v38, vcc_lo, v36, v217
	s_wait_alu 0xfffd
	v_add_co_ci_u32_e64 v39, null, 0, v37, vcc_lo
	s_clause 0x1
	global_load_b128 v[34:37], v[34:35], off offset:192
	global_load_b128 v[38:41], v[38:39], off offset:128
	s_wait_loadcnt 0x1
	ds_store_b128 v130, v[34:37]
	v_add_co_u32 v34, vcc_lo, s4, v63
	s_wait_alu 0xfffd
	v_add_co_ci_u32_e64 v35, null, s5, v64, vcc_lo
	s_delay_alu instid0(VALU_DEP_2) | instskip(SKIP_1) | instid1(VALU_DEP_2)
	v_add_co_u32 v34, vcc_lo, v34, v217
	s_wait_alu 0xfffd
	v_add_co_ci_u32_e64 v35, null, 0, v35, vcc_lo
	v_add_co_u32 v36, vcc_lo, s4, v71
	s_wait_alu 0xfffd
	v_add_co_ci_u32_e64 v37, null, s5, v72, vcc_lo
	s_delay_alu instid0(VALU_DEP_2) | instskip(SKIP_1) | instid1(VALU_DEP_2)
	v_add_co_u32 v42, vcc_lo, v36, v218
	s_wait_alu 0xfffd
	v_add_co_ci_u32_e64 v43, null, 0, v37, vcc_lo
	s_clause 0x1
	global_load_b128 v[34:37], v[34:35], off offset:128
	global_load_b128 v[42:45], v[42:43], off
	s_wait_loadcnt 0x2
	ds_store_b128 v146, v[38:41]
	s_wait_loadcnt 0x1
	ds_store_b128 v147, v[34:37]
	v_add_co_u32 v34, vcc_lo, s4, v73
	s_wait_alu 0xfffd
	v_add_co_ci_u32_e64 v35, null, s5, v74, vcc_lo
	s_delay_alu instid0(VALU_DEP_2) | instskip(SKIP_1) | instid1(VALU_DEP_2)
	v_add_co_u32 v34, vcc_lo, v34, v218
	s_wait_alu 0xfffd
	v_add_co_ci_u32_e64 v35, null, 0, v35, vcc_lo
	v_add_co_u32 v36, vcc_lo, s4, v75
	s_wait_alu 0xfffd
	v_add_co_ci_u32_e64 v37, null, s5, v76, vcc_lo
	s_delay_alu instid0(VALU_DEP_2) | instskip(SKIP_1) | instid1(VALU_DEP_2)
	v_add_co_u32 v38, vcc_lo, v36, v218
	s_wait_alu 0xfffd
	v_add_co_ci_u32_e64 v39, null, 0, v37, vcc_lo
	s_clause 0x1
	global_load_b128 v[34:37], v[34:35], off
	global_load_b128 v[38:41], v[38:39], off
	s_wait_loadcnt 0x2
	ds_store_b128 v139, v[42:45]
	s_wait_loadcnt 0x1
	ds_store_b128 v140, v[34:37]
	v_add_co_u32 v34, vcc_lo, s4, v77
	s_wait_alu 0xfffd
	v_add_co_ci_u32_e64 v35, null, s5, v78, vcc_lo
	s_delay_alu instid0(VALU_DEP_2) | instskip(SKIP_1) | instid1(VALU_DEP_2)
	v_add_co_u32 v34, vcc_lo, v34, v218
	s_wait_alu 0xfffd
	v_add_co_ci_u32_e64 v35, null, 0, v35, vcc_lo
	global_load_b128 v[34:37], v[34:35], off
	s_wait_loadcnt 0x1
	ds_store_b128 v223, v[38:41]
	s_wait_loadcnt 0x0
	ds_store_b128 v224, v[34:37]
	v_sub_f32_e32 v34, v46, v28
	s_wait_dscnt 0x0
	s_barrier_signal -1
	s_barrier_wait -1
	global_inv scope:SCOPE_SE
	v_mul_f32_e32 v35, 0x3fb8aa3b, v34
	v_cmp_ngt_f32_e64 s6, 0xc2ce8ed0, v34
	s_delay_alu instid0(VALU_DEP_2) | instskip(SKIP_1) | instid1(VALU_DEP_1)
	v_fma_f32 v36, 0x3fb8aa3b, v34, -v35
	v_rndne_f32_e32 v37, v35
	v_dual_fmac_f32 v36, 0x32a5705f, v34 :: v_dual_sub_f32 v35, v35, v37
	v_cvt_i32_f32_e32 v37, v37
	s_delay_alu instid0(VALU_DEP_2) | instskip(SKIP_1) | instid1(VALU_DEP_2)
	v_add_f32_e32 v35, v35, v36
	v_sub_f32_e32 v36, v47, v28
	v_exp_f32_e32 v35, v35
	s_delay_alu instid0(VALU_DEP_1) | instskip(SKIP_1) | instid1(VALU_DEP_2)
	v_mul_f32_e32 v38, 0x3fb8aa3b, v36
	v_cmp_ngt_f32_e32 vcc_lo, 0xc2ce8ed0, v36
	v_fma_f32 v39, 0x3fb8aa3b, v36, -v38
	v_rndne_f32_e32 v40, v38
	s_delay_alu instid0(TRANS32_DEP_1) | instskip(NEXT) | instid1(VALU_DEP_3)
	v_ldexp_f32 v35, v35, v37
	v_fmac_f32_e32 v39, 0x32a5705f, v36
	s_delay_alu instid0(VALU_DEP_3) | instskip(SKIP_1) | instid1(VALU_DEP_3)
	v_sub_f32_e32 v38, v38, v40
	s_wait_alu 0xf1ff
	v_cndmask_b32_e64 v35, 0, v35, s6
	v_cmp_nlt_f32_e64 s6, 0x42b17218, v34
	s_delay_alu instid0(VALU_DEP_3) | instskip(SKIP_1) | instid1(VALU_DEP_2)
	v_dual_add_f32 v38, v38, v39 :: v_dual_sub_f32 v39, v48, v28
	s_wait_alu 0xf1ff
	v_cndmask_b32_e64 v97, 0x7f800000, v35, s6
	s_delay_alu instid0(VALU_DEP_2) | instskip(NEXT) | instid1(VALU_DEP_2)
	v_exp_f32_e32 v37, v38
	v_mul_f32_e32 v41, 0x3fb8aa3b, v39
	v_cvt_i32_f32_e32 v38, v40
	v_sub_f32_e32 v31, v31, v28
	v_sub_f32_e32 v29, v29, v28
	v_cmp_ngt_f32_e64 s4, 0xc2ce8ed0, v39
	v_fma_f32 v42, 0x3fb8aa3b, v39, -v41
	v_rndne_f32_e32 v43, v41
	v_sub_f32_e32 v33, v33, v28
	v_cvt_f16_f32_e32 v34, v97
	v_ldexp_f32 v37, v37, v38
	v_fmac_f32_e32 v42, 0x32a5705f, v39
	v_sub_f32_e32 v41, v41, v43
	v_cvt_i32_f32_e32 v40, v43
	s_wait_alu 0xfffd
	v_cndmask_b32_e32 v37, 0, v37, vcc_lo
	v_cmp_nlt_f32_e32 vcc_lo, 0x42b17218, v36
	s_wait_alu 0xfffd
	s_delay_alu instid0(VALU_DEP_2) | instskip(SKIP_1) | instid1(VALU_DEP_2)
	v_dual_add_f32 v41, v41, v42 :: v_dual_cndmask_b32 v102, 0x7f800000, v37
	v_sub_f32_e32 v42, v49, v28
	v_exp_f32_e32 v38, v41
	v_cmp_ngt_f32_e32 vcc_lo, 0xc2ce8ed0, v33
	s_delay_alu instid0(VALU_DEP_3) | instskip(NEXT) | instid1(VALU_DEP_3)
	v_cvt_f16_f32_e32 v37, v102
	v_mul_f32_e32 v44, 0x3fb8aa3b, v42
	v_cmp_ngt_f32_e64 s5, 0xc2ce8ed0, v42
	s_delay_alu instid0(VALU_DEP_3) | instskip(NEXT) | instid1(VALU_DEP_3)
	v_perm_b32 v34, v37, v34, 0x5040100
	v_fma_f32 v45, 0x3fb8aa3b, v42, -v44
	v_rndne_f32_e32 v46, v44
	s_delay_alu instid0(TRANS32_DEP_1) | instskip(NEXT) | instid1(VALU_DEP_3)
	v_ldexp_f32 v38, v38, v40
	v_fmac_f32_e32 v45, 0x32a5705f, v42
	s_delay_alu instid0(VALU_DEP_3)
	v_sub_f32_e32 v44, v44, v46
	v_cvt_i32_f32_e32 v41, v46
	s_wait_alu 0xf1ff
	v_cndmask_b32_e64 v36, 0, v38, s4
	v_cmp_nlt_f32_e64 s4, 0x42b17218, v39
	v_add_f32_e32 v44, v44, v45
	s_wait_alu 0xf1ff
	s_delay_alu instid0(VALU_DEP_2) | instskip(SKIP_1) | instid1(VALU_DEP_3)
	v_cndmask_b32_e64 v98, 0x7f800000, v36, s4
	v_sub_f32_e32 v32, v32, v28
	v_exp_f32_e32 v40, v44
	s_delay_alu instid0(VALU_DEP_2) | instskip(NEXT) | instid1(VALU_DEP_2)
	v_cvt_f16_f32_e32 v35, v98
	v_cmp_ngt_f32_e64 s4, 0xc2ce8ed0, v32
	s_delay_alu instid0(TRANS32_DEP_1) | instskip(NEXT) | instid1(VALU_DEP_1)
	v_ldexp_f32 v40, v40, v41
	v_cndmask_b32_e64 v38, 0, v40, s5
	v_cmp_nlt_f32_e64 s5, 0x42b17218, v42
	s_wait_alu 0xf1ff
	s_delay_alu instid0(VALU_DEP_1) | instskip(NEXT) | instid1(VALU_DEP_1)
	v_cndmask_b32_e64 v99, 0x7f800000, v38, s5
	v_cvt_f16_f32_e32 v36, v99
	s_delay_alu instid0(VALU_DEP_1) | instskip(SKIP_1) | instid1(VALU_DEP_1)
	v_perm_b32 v35, v36, v35, 0x5040100
	v_mul_f32_e32 v36, 0x3fb8aa3b, v33
	v_fma_f32 v37, 0x3fb8aa3b, v33, -v36
	v_rndne_f32_e32 v38, v36
	s_delay_alu instid0(VALU_DEP_1) | instskip(SKIP_1) | instid1(VALU_DEP_2)
	v_dual_fmac_f32 v37, 0x32a5705f, v33 :: v_dual_sub_f32 v36, v36, v38
	v_cvt_i32_f32_e32 v38, v38
	v_dual_add_f32 v36, v36, v37 :: v_dual_mul_f32 v37, 0x3fb8aa3b, v32
	s_delay_alu instid0(VALU_DEP_1) | instskip(NEXT) | instid1(VALU_DEP_1)
	v_exp_f32_e32 v36, v36
	v_fma_f32 v39, 0x3fb8aa3b, v32, -v37
	v_rndne_f32_e32 v40, v37
	s_delay_alu instid0(VALU_DEP_2) | instskip(NEXT) | instid1(VALU_DEP_2)
	v_fmac_f32_e32 v39, 0x32a5705f, v32
	v_sub_f32_e32 v37, v37, v40
	s_delay_alu instid0(TRANS32_DEP_1) | instskip(SKIP_2) | instid1(VALU_DEP_2)
	v_ldexp_f32 v36, v36, v38
	v_cvt_i32_f32_e32 v38, v40
	s_wait_alu 0xfffd
	v_dual_add_f32 v37, v37, v39 :: v_dual_cndmask_b32 v36, 0, v36
	v_cmp_nlt_f32_e32 vcc_lo, 0x42b17218, v33
	s_delay_alu instid0(VALU_DEP_2) | instskip(SKIP_1) | instid1(VALU_DEP_2)
	v_exp_f32_e32 v37, v37
	s_wait_alu 0xfffd
	v_cndmask_b32_e32 v115, 0x7f800000, v36, vcc_lo
	v_cmp_ngt_f32_e32 vcc_lo, 0xc2ce8ed0, v31
	s_delay_alu instid0(TRANS32_DEP_1) | instskip(NEXT) | instid1(VALU_DEP_1)
	v_ldexp_f32 v37, v37, v38
	v_cndmask_b32_e64 v33, 0, v37, s4
	v_cmp_nlt_f32_e64 s4, 0x42b17218, v32
	s_wait_alu 0xf1ff
	s_delay_alu instid0(VALU_DEP_1) | instskip(SKIP_2) | instid1(VALU_DEP_3)
	v_cndmask_b32_e64 v114, 0x7f800000, v33, s4
	v_cvt_f16_f32_e32 v33, v115
	v_cmp_ngt_f32_e64 s4, 0xc2ce8ed0, v29
	v_cvt_f16_f32_e32 v32, v114
	s_delay_alu instid0(VALU_DEP_1) | instskip(SKIP_1) | instid1(VALU_DEP_1)
	v_perm_b32 v33, v33, v32, 0x5040100
	v_mul_f32_e32 v32, 0x3fb8aa3b, v31
	v_fma_f32 v36, 0x3fb8aa3b, v31, -v32
	v_rndne_f32_e32 v37, v32
	s_delay_alu instid0(VALU_DEP_2) | instskip(NEXT) | instid1(VALU_DEP_2)
	v_fmac_f32_e32 v36, 0x32a5705f, v31
	v_sub_f32_e32 v32, v32, v37
	v_cvt_i32_f32_e32 v37, v37
	s_delay_alu instid0(VALU_DEP_2) | instskip(SKIP_1) | instid1(VALU_DEP_2)
	v_add_f32_e32 v32, v32, v36
	v_mul_f32_e32 v36, 0x3fb8aa3b, v29
	v_exp_f32_e32 v32, v32
	s_delay_alu instid0(VALU_DEP_1) | instskip(SKIP_1) | instid1(VALU_DEP_2)
	v_fma_f32 v38, 0x3fb8aa3b, v29, -v36
	v_rndne_f32_e32 v39, v36
	v_fmac_f32_e32 v38, 0x32a5705f, v29
	s_delay_alu instid0(VALU_DEP_2) | instskip(NEXT) | instid1(TRANS32_DEP_1)
	v_sub_f32_e32 v36, v36, v39
	v_ldexp_f32 v32, v32, v37
	v_cvt_i32_f32_e32 v37, v39
	s_delay_alu instid0(VALU_DEP_3) | instskip(SKIP_1) | instid1(VALU_DEP_3)
	v_add_f32_e32 v36, v36, v38
	s_wait_alu 0xfffd
	v_cndmask_b32_e32 v32, 0, v32, vcc_lo
	v_cmp_nlt_f32_e32 vcc_lo, 0x42b17218, v31
	s_delay_alu instid0(VALU_DEP_3) | instskip(NEXT) | instid1(TRANS32_DEP_1)
	v_exp_f32_e32 v36, v36
	v_ldexp_f32 v36, v36, v37
	s_wait_alu 0xf1ff
	s_delay_alu instid0(VALU_DEP_1) | instskip(SKIP_2) | instid1(VALU_DEP_1)
	v_cndmask_b32_e64 v31, 0, v36, s4
	v_cmp_nlt_f32_e64 s4, 0x42b17218, v29
	s_wait_alu 0xf1ff
	v_cndmask_b32_e64 v29, 0x7f800000, v31, s4
	s_wait_alu 0xfffd
	v_cndmask_b32_e32 v31, 0x7f800000, v32, vcc_lo
	s_cselect_b32 s4, -1, 0
	s_wait_alu 0xfffe
	s_and_b32 s5, s0, s4
	v_cvt_f16_f32_e32 v32, v29
	v_cvt_f16_f32_e32 v36, v31
	v_add_f32_e32 v29, v29, v31
	s_delay_alu instid0(VALU_DEP_2)
	v_perm_b32 v32, v36, v32, 0x5040100
	ds_load_u16 v38, v134 offset:960
	ds_load_u16 v37, v134 offset:480
	ds_load_u16 v36, v134
	ds_load_u16 v40, v134 offset:192
	ds_load_u16 v42, v134 offset:1152
	ds_load_u16 v39, v135
	ds_load_u16 v45, v134 offset:512
	ds_load_u16 v44, v134 offset:32
	;; [unrolled: 1-line block ×13, first 2 shown]
	s_wait_dscnt 0xc
	ds_load_u16_d16_hi v45, v134 offset:752
	ds_load_u16_d16_hi v37, v134 offset:720
	s_wait_dscnt 0xb
	ds_load_u16_d16_hi v50, v134 offset:1264
	s_wait_dscnt 0xb
	ds_load_u16_d16_hi v54, v134 offset:1296
	ds_load_u16_d16_hi v38, v134 offset:1200
	ds_load_u16_d16_hi v39, v136
	ds_load_u16_d16_hi v36, v134 offset:240
	ds_load_u16_d16_hi v44, v134 offset:272
	;; [unrolled: 1-line block ×3, first 2 shown]
	s_wait_dscnt 0x10
	ds_load_u16_d16_hi v52, v134 offset:336
	s_wait_dscnt 0xc
	ds_load_u16_d16_hi v105, v134 offset:368
	;; [unrolled: 2-line block ×3, first 2 shown]
	ds_load_u16 v112, v134 offset:1120
	ds_load_u16_d16_hi v42, v134 offset:1392
	ds_load_u16_d16_hi v47, v136 offset:32
	;; [unrolled: 1-line block ×5, first 2 shown]
	s_wait_dscnt 0x12
	ds_load_u16_d16_hi v113, v136 offset:160
	ds_load_u16 v43, v135 offset:192
	ds_load_u16 v41, v134 offset:672
	;; [unrolled: 1-line block ×4, first 2 shown]
	s_wait_dscnt 0x2
	ds_load_u16_d16_hi v41, v134 offset:912
	s_wait_dscnt 0x2
	ds_load_u16_d16_hi v46, v134 offset:1232
	ds_load_u16 v49, v134 offset:544
	ds_load_u16 v53, v134 offset:576
	;; [unrolled: 1-line block ×3, first 2 shown]
	v_add_f32_e32 v29, v114, v29
	s_wait_dscnt 0x2
	ds_load_u16_d16_hi v49, v134 offset:784
	s_wait_dscnt 0x2
	ds_load_u16_d16_hi v53, v134 offset:816
	;; [unrolled: 2-line block ×3, first 2 shown]
	ds_load_u16_d16_hi v111, v134 offset:880
	v_add_f32_e32 v29, v115, v29
	ds_load_u16 v107, v134 offset:1088
	s_wait_dscnt 0x0
	ds_load_u16_d16_hi v107, v134 offset:1328
	ds_load_u16_d16_hi v112, v134 offset:1360
	v_add_f32_e32 v29, v97, v29
	ds_load_u16_d16_hi v40, v134 offset:432
	ds_load_u16_d16_hi v43, v136 offset:192
	v_wmma_f16_16x16x16_f16 v[24:27], v[36:39], v[32:35], v[24:27]
	v_wmma_f16_16x16x16_f16 v[20:23], v[44:47], v[32:35], v[20:23]
	;; [unrolled: 1-line block ×3, first 2 shown]
	v_add_f32_e32 v29, v102, v29
	v_wmma_f16_16x16x16_f16 v[12:15], v[52:55], v[32:35], v[12:15]
	s_wait_loadcnt_dscnt 0x0
	s_barrier_signal -1
	s_barrier_wait -1
	v_add_f32_e32 v29, v98, v29
	global_inv scope:SCOPE_SE
	v_add_f32_e32 v29, v99, v29
	v_wmma_f16_16x16x16_f16 v[8:11], v[105:108], v[32:35], v[8:11]
	v_wmma_f16_16x16x16_f16 v[0:3], v[110:113], v[32:35], v[0:3]
	s_delay_alu instid0(VALU_DEP_3)
	v_fmac_f32_e32 v29, v100, v56
	v_wmma_f16_16x16x16_f16 v[4:7], v[40:43], v[32:35], v[4:7]
	ds_bpermute_b32 v31, v30, v29
	s_wait_dscnt 0x0
	v_add_f32_e32 v29, v29, v31
	s_wait_alu 0xfffe
	s_and_saveexec_b32 s4, s5
	s_cbranch_execz .LBB19_80
; %bb.79:                               ;   in Loop: Header=BB19_12 Depth=1
	v_dual_max_num_f32 v32, v28, v28 :: v_dual_lshlrev_b32 v31, 2, v205
	global_load_b32 v31, v31, s[74:75]
	s_wait_loadcnt 0x0
	v_max_num_f32_e32 v33, v31, v31
	s_delay_alu instid0(VALU_DEP_1) | instskip(NEXT) | instid1(VALU_DEP_1)
	v_max_num_f32_e32 v32, v32, v33
	v_sub_f32_e32 v28, v28, v32
	s_delay_alu instid0(VALU_DEP_1) | instskip(SKIP_2) | instid1(VALU_DEP_3)
	v_mul_f32_e32 v33, 0x3fb8aa3b, v28
	v_sub_f32_e32 v31, v31, v32
	v_cmp_ngt_f32_e32 vcc_lo, 0xc2ce8ed0, v28
	v_fma_f32 v34, 0x3fb8aa3b, v28, -v33
	v_rndne_f32_e32 v35, v33
	s_delay_alu instid0(VALU_DEP_1) | instskip(SKIP_1) | instid1(VALU_DEP_2)
	v_dual_fmac_f32 v34, 0x32a5705f, v28 :: v_dual_sub_f32 v33, v33, v35
	v_cvt_i32_f32_e32 v35, v35
	v_dual_add_f32 v33, v33, v34 :: v_dual_mul_f32 v34, 0x3fb8aa3b, v31
	s_delay_alu instid0(VALU_DEP_1) | instskip(NEXT) | instid1(VALU_DEP_1)
	v_exp_f32_e32 v33, v33
	v_fma_f32 v36, 0x3fb8aa3b, v31, -v34
	v_rndne_f32_e32 v37, v34
	s_delay_alu instid0(VALU_DEP_1) | instskip(NEXT) | instid1(TRANS32_DEP_1)
	v_sub_f32_e32 v34, v34, v37
	v_ldexp_f32 v33, v33, v35
	s_delay_alu instid0(VALU_DEP_4) | instskip(SKIP_2) | instid1(VALU_DEP_3)
	v_fmac_f32_e32 v36, 0x32a5705f, v31
	v_cvt_i32_f32_e32 v35, v37
	s_wait_alu 0xfffd
	v_cndmask_b32_e32 v33, 0, v33, vcc_lo
	v_cmp_nlt_f32_e32 vcc_lo, 0x42b17218, v28
	s_wait_alu 0xfffd
	s_delay_alu instid0(VALU_DEP_2) | instskip(NEXT) | instid1(VALU_DEP_1)
	v_dual_add_f32 v34, v34, v36 :: v_dual_cndmask_b32 v33, 0x7f800000, v33
	v_exp_f32_e32 v34, v34
	v_cmp_le_f32_e32 vcc_lo, 0xc1a00000, v28
	s_delay_alu instid0(TRANS32_DEP_1)
	v_ldexp_f32 v28, v34, v35
	s_wait_alu 0xfffd
	v_cndmask_b32_e32 v33, 0, v33, vcc_lo
	v_cmp_ngt_f32_e32 vcc_lo, 0xc2ce8ed0, v31
	s_wait_alu 0xfffd
	v_cndmask_b32_e32 v28, 0, v28, vcc_lo
	s_delay_alu instid0(VALU_DEP_3) | instskip(SKIP_2) | instid1(VALU_DEP_3)
	v_cvt_f16_f32_e32 v34, v33
	v_cmp_nlt_f32_e32 vcc_lo, 0x42b17218, v31
	s_wait_alu 0xfffd
	v_dual_cndmask_b32 v31, 0x7f800000, v28 :: v_dual_mov_b32 v28, v32
	s_delay_alu instid0(VALU_DEP_1) | instskip(NEXT) | instid1(VALU_DEP_1)
	v_dual_fmac_f32 v31, v29, v33 :: v_dual_and_b32 v34, 0xffff, v34
	v_mul_u32_u24_e32 v34, 0x10001, v34
	s_delay_alu instid0(VALU_DEP_2) | instskip(NEXT) | instid1(VALU_DEP_2)
	v_mov_b32_e32 v29, v31
	v_pk_mul_f16 v24, v24, v34
	v_pk_mul_f16 v25, v25, v34
	;; [unrolled: 1-line block ×28, first 2 shown]
.LBB19_80:                              ;   in Loop: Header=BB19_12 Depth=1
	s_wait_alu 0xfffe
	s_or_b32 exec_lo, exec_lo, s4
	s_and_saveexec_b32 s4, s2
; %bb.81:                               ;   in Loop: Header=BB19_12 Depth=1
	v_add_nc_u32_e32 v31, 0, v155
	ds_store_2addr_b32 v31, v28, v29 offset0:56 offset1:57
; %bb.82:                               ;   in Loop: Header=BB19_12 Depth=1
	s_wait_alu 0xfffe
	s_or_b32 exec_lo, exec_lo, s4
	s_wait_loadcnt_dscnt 0x0
	s_barrier_signal -1
	s_barrier_wait -1
	global_inv scope:SCOPE_SE
	s_and_saveexec_b32 s4, s1
	s_wait_alu 0xfffe
	s_xor_b32 s4, exec_lo, s4
	s_cbranch_execz .LBB19_84
; %bb.83:                               ;   in Loop: Header=BB19_12 Depth=1
	s_wait_loadcnt 0x0
	s_barrier_signal -1
	s_barrier_wait -1
	global_inv scope:SCOPE_SE
                                        ; implicit-def: $vgpr30
.LBB19_84:                              ;   in Loop: Header=BB19_12 Depth=1
	s_wait_alu 0xfffe
	s_and_not1_saveexec_b32 s4, s4
	s_cbranch_execz .LBB19_88
; %bb.85:                               ;   in Loop: Header=BB19_12 Depth=1
	v_add_nc_u32_e32 v33, 0, v156
	ds_load_b64 v[31:32], v33 offset:224
	s_wait_loadcnt_dscnt 0x0
	s_barrier_signal -1
	s_barrier_wait -1
	global_inv scope:SCOPE_SE
	ds_bpermute_b32 v28, v30, v31
	s_wait_dscnt 0x0
	v_dual_max_num_f32 v29, v31, v31 :: v_dual_max_num_f32 v28, v28, v28
	s_delay_alu instid0(VALU_DEP_1) | instskip(NEXT) | instid1(VALU_DEP_1)
	v_max_num_f32_e32 v28, v29, v28
	v_sub_f32_e32 v29, v31, v28
	s_delay_alu instid0(VALU_DEP_1) | instskip(SKIP_1) | instid1(VALU_DEP_2)
	v_mul_f32_e32 v31, 0x3fb8aa3b, v29
	v_cmp_ngt_f32_e32 vcc_lo, 0xc2ce8ed0, v29
	v_fma_f32 v34, 0x3fb8aa3b, v29, -v31
	v_rndne_f32_e32 v35, v31
	s_delay_alu instid0(VALU_DEP_1) | instskip(NEXT) | instid1(VALU_DEP_1)
	v_dual_fmac_f32 v34, 0x32a5705f, v29 :: v_dual_sub_f32 v31, v31, v35
	v_add_f32_e32 v31, v31, v34
	v_cvt_i32_f32_e32 v34, v35
	s_delay_alu instid0(VALU_DEP_2) | instskip(NEXT) | instid1(TRANS32_DEP_1)
	v_exp_f32_e32 v31, v31
	v_ldexp_f32 v31, v31, v34
	s_wait_alu 0xfffd
	s_delay_alu instid0(VALU_DEP_1) | instskip(SKIP_2) | instid1(VALU_DEP_2)
	v_cndmask_b32_e32 v31, 0, v31, vcc_lo
	v_cmp_nlt_f32_e32 vcc_lo, 0x42b17218, v29
	s_wait_alu 0xfffd
	v_cndmask_b32_e32 v29, 0x7f800000, v31, vcc_lo
	s_delay_alu instid0(VALU_DEP_1)
	v_mul_f32_e32 v31, v32, v29
	ds_bpermute_b32 v30, v30, v31
	s_wait_dscnt 0x0
	v_fmac_f32_e32 v30, v32, v29
	ds_store_b64 v33, v[29:30] offset:224
	s_and_saveexec_b32 s5, s2
	s_cbranch_execz .LBB19_87
; %bb.86:                               ;   in Loop: Header=BB19_12 Depth=1
	v_mov_b32_e32 v29, v30
	scratch_load_b64 v[30:31], off, off offset:84 ; 8-byte Folded Reload
	s_wait_loadcnt 0x0
	global_store_b64 v[30:31], v[28:29], off
.LBB19_87:                              ;   in Loop: Header=BB19_12 Depth=1
	s_wait_alu 0xfffe
	s_or_b32 exec_lo, exec_lo, s5
.LBB19_88:                              ;   in Loop: Header=BB19_12 Depth=1
	s_wait_alu 0xfffe
	s_or_b32 exec_lo, exec_lo, s4
	v_add_nc_u32_e32 v28, v149, v157
	ds_store_2addr_b32 v28, v24, v25 offset1:1
	ds_store_2addr_b32 v28, v26, v27 offset0:2 offset1:3
	ds_store_2addr_b32 v28, v20, v21 offset0:8 offset1:9
	;; [unrolled: 1-line block ×13, first 2 shown]
	s_wait_storecnt 0x0
	s_wait_loadcnt_dscnt 0x0
	s_barrier_signal -1
	s_barrier_wait -1
	global_inv scope:SCOPE_SE
	s_and_saveexec_b32 s6, s0
	s_cbranch_execz .LBB19_220
; %bb.89:                               ;   in Loop: Header=BB19_12 Depth=1
	v_add_nc_u32_e32 v0, s43, v96
	v_or_b32_e32 v1, s41, v104
	s_delay_alu instid0(VALU_DEP_1) | instskip(SKIP_1) | instid1(VALU_DEP_4)
	v_cmp_gt_i32_e32 vcc_lo, s33, v1
	v_mov_b32_e32 v1, 0x47
	v_cmp_gt_i32_e64 s4, s24, v0
	s_and_b32 s4, s4, vcc_lo
	s_wait_alu 0xfffe
	s_and_saveexec_b32 s5, s4
	s_cbranch_execz .LBB19_91
; %bb.90:                               ;   in Loop: Header=BB19_12 Depth=1
	v_add_nc_u32_e32 v1, 0, v158
	v_add_nc_u32_e32 v2, v138, v158
	v_mad_co_u64_u32 v[5:6], null, v0, s25, v[104:105]
	s_delay_alu instid0(VALU_DEP_3) | instskip(SKIP_3) | instid1(VALU_DEP_1)
	v_add_nc_u32_e32 v3, 0xe0, v1
	ds_load_2addr_stride64_b32 v[1:2], v2 offset1:15
	ds_load_2addr_stride64_b32 v[3:4], v3 offset1:15
	v_mad_co_u64_u32 v[5:6], null, v5, 56, v[60:61]
	v_ashrrev_i32_e32 v6, 31, v5
	s_wait_dscnt 0x0
	v_fma_mix_f32 v7, v3, v1, 0 op_sel_hi:[0,1,0]
	v_fma_mix_f32 v8, v3, v1, 0 op_sel:[0,1,0] op_sel_hi:[0,1,0]
	s_delay_alu instid0(VALU_DEP_3) | instskip(NEXT) | instid1(VALU_DEP_3)
	v_lshlrev_b64_e32 v[0:1], 3, v[5:6]
	v_fma_mix_f32 v3, v4, v2, v7 op_sel_hi:[0,1,0]
	s_delay_alu instid0(VALU_DEP_3) | instskip(NEXT) | instid1(VALU_DEP_3)
	v_fma_mix_f32 v4, v4, v2, v8 op_sel:[0,1,0] op_sel_hi:[0,1,0]
	v_add_co_u32 v5, s4, s72, v0
	s_wait_alu 0xf1ff
	s_delay_alu instid0(VALU_DEP_4)
	v_add_co_ci_u32_e64 v6, null, s73, v1, s4
	v_mov_b32_e32 v1, 0
	global_store_b64 v[5:6], v[3:4], off
.LBB19_91:                              ;   in Loop: Header=BB19_12 Depth=1
	s_wait_alu 0xfffe
	s_or_b32 exec_lo, exec_lo, s5
	s_mov_b32 s5, -1
	s_mov_b32 s34, exec_lo
	v_cmpx_gt_i32_e32 0x47, v1
; %bb.92:                               ;   in Loop: Header=BB19_12 Depth=1
	v_cmp_eq_u32_e64 s4, 0, v1
	s_or_not1_b32 s5, s4, exec_lo
; %bb.93:                               ;   in Loop: Header=BB19_12 Depth=1
	s_wait_alu 0xfffe
	s_or_b32 exec_lo, exec_lo, s34
	s_and_saveexec_b32 s34, s5
	s_cbranch_execz .LBB19_166
; %bb.94:                               ;   in Loop: Header=BB19_12 Depth=1
	v_add_nc_u32_e32 v0, s43, v241
	v_or_b32_e32 v1, s41, v95
	s_delay_alu instid0(VALU_DEP_1) | instskip(SKIP_1) | instid1(VALU_DEP_4)
	v_cmp_gt_i32_e64 s5, s33, v1
	v_mov_b32_e32 v1, 0x47
	v_cmp_gt_i32_e64 s4, s24, v0
	s_and_b32 s4, s4, s5
	s_wait_alu 0xfffe
	s_and_saveexec_b32 s5, s4
	s_cbranch_execz .LBB19_96
; %bb.95:                               ;   in Loop: Header=BB19_12 Depth=1
	v_add_nc_u32_e32 v1, 0, v159
	v_add_nc_u32_e32 v2, v138, v159
	v_mad_co_u64_u32 v[5:6], null, v0, s25, v[95:96]
	s_delay_alu instid0(VALU_DEP_3) | instskip(SKIP_3) | instid1(VALU_DEP_1)
	v_add_nc_u32_e32 v3, 0xe0, v1
	ds_load_2addr_stride64_b32 v[1:2], v2 offset1:15
	ds_load_2addr_stride64_b32 v[3:4], v3 offset1:15
	v_mad_co_u64_u32 v[5:6], null, v5, 56, v[60:61]
	v_ashrrev_i32_e32 v6, 31, v5
	s_wait_dscnt 0x0
	v_fma_mix_f32 v7, v3, v1, 0 op_sel_hi:[0,1,0]
	v_fma_mix_f32 v8, v3, v1, 0 op_sel:[0,1,0] op_sel_hi:[0,1,0]
	s_delay_alu instid0(VALU_DEP_3) | instskip(NEXT) | instid1(VALU_DEP_3)
	v_lshlrev_b64_e32 v[0:1], 3, v[5:6]
	v_fma_mix_f32 v3, v4, v2, v7 op_sel_hi:[0,1,0]
	s_delay_alu instid0(VALU_DEP_3) | instskip(NEXT) | instid1(VALU_DEP_3)
	v_fma_mix_f32 v4, v4, v2, v8 op_sel:[0,1,0] op_sel_hi:[0,1,0]
	v_add_co_u32 v5, s4, s72, v0
	s_wait_alu 0xf1ff
	s_delay_alu instid0(VALU_DEP_4)
	v_add_co_ci_u32_e64 v6, null, s73, v1, s4
	v_mov_b32_e32 v1, 0
	global_store_b64 v[5:6], v[3:4], off
.LBB19_96:                              ;   in Loop: Header=BB19_12 Depth=1
	s_wait_alu 0xfffe
	s_or_b32 exec_lo, exec_lo, s5
	s_mov_b32 s5, -1
	s_mov_b32 s56, exec_lo
	v_cmpx_gt_i32_e32 0x47, v1
; %bb.97:                               ;   in Loop: Header=BB19_12 Depth=1
	v_cmp_eq_u32_e64 s4, 0, v1
	s_or_not1_b32 s5, s4, exec_lo
; %bb.98:                               ;   in Loop: Header=BB19_12 Depth=1
	s_or_b32 exec_lo, exec_lo, s56
	s_wait_alu 0xfffe
	s_and_b32 exec_lo, exec_lo, s5
	s_cbranch_execz .LBB19_166
; %bb.99:                               ;   in Loop: Header=BB19_12 Depth=1
	scratch_load_b32 v0, off, off offset:92 ; 4-byte Folded Reload
	s_wait_loadcnt 0x0
	v_dual_mov_b32 v0, 0x47 :: v_dual_add_nc_u32 v1, s43, v0
	s_delay_alu instid0(VALU_DEP_1)
	v_cmp_gt_i32_e64 s4, s24, v1
	s_and_b32 s4, s4, vcc_lo
	s_wait_alu 0xfffe
	s_and_saveexec_b32 s5, s4
	s_cbranch_execz .LBB19_101
; %bb.100:                              ;   in Loop: Header=BB19_12 Depth=1
	scratch_load_b32 v2, off, off offset:112 ; 4-byte Folded Reload
	s_wait_loadcnt 0x0
	v_add_nc_u32_e32 v0, 0, v2
	v_add_nc_u32_e32 v2, v138, v2
	s_delay_alu instid0(VALU_DEP_2) | instskip(SKIP_3) | instid1(VALU_DEP_1)
	v_add_nc_u32_e32 v0, 0xe0, v0
	ds_load_2addr_stride64_b32 v[2:3], v2 offset1:15
	ds_load_2addr_stride64_b32 v[4:5], v0 offset1:15
	v_mad_co_u64_u32 v[0:1], null, v1, s25, v[104:105]
	v_mad_co_u64_u32 v[0:1], null, v0, 56, v[60:61]
	s_delay_alu instid0(VALU_DEP_1) | instskip(SKIP_3) | instid1(VALU_DEP_3)
	v_ashrrev_i32_e32 v1, 31, v0
	s_wait_dscnt 0x0
	v_fma_mix_f32 v6, v4, v2, 0 op_sel_hi:[0,1,0]
	v_fma_mix_f32 v4, v4, v2, 0 op_sel:[0,1,0] op_sel_hi:[0,1,0]
	v_lshlrev_b64_e32 v[0:1], 3, v[0:1]
	s_delay_alu instid0(VALU_DEP_3) | instskip(NEXT) | instid1(VALU_DEP_3)
	v_fma_mix_f32 v2, v5, v3, v6 op_sel_hi:[0,1,0]
	v_fma_mix_f32 v3, v5, v3, v4 op_sel:[0,1,0] op_sel_hi:[0,1,0]
	s_delay_alu instid0(VALU_DEP_3) | instskip(SKIP_1) | instid1(VALU_DEP_4)
	v_add_co_u32 v4, s4, s72, v0
	s_wait_alu 0xf1ff
	v_add_co_ci_u32_e64 v5, null, s73, v1, s4
	v_mov_b32_e32 v0, 0
	global_store_b64 v[4:5], v[2:3], off
.LBB19_101:                             ;   in Loop: Header=BB19_12 Depth=1
	s_wait_alu 0xfffe
	s_or_b32 exec_lo, exec_lo, s5
	s_mov_b32 s5, -1
	s_mov_b32 s56, exec_lo
	v_cmpx_gt_i32_e32 0x47, v0
; %bb.102:                              ;   in Loop: Header=BB19_12 Depth=1
	v_cmp_eq_u32_e64 s4, 0, v0
	s_or_not1_b32 s5, s4, exec_lo
; %bb.103:                              ;   in Loop: Header=BB19_12 Depth=1
	s_or_b32 exec_lo, exec_lo, s56
	s_wait_alu 0xfffe
	s_and_b32 exec_lo, exec_lo, s5
	s_cbranch_execz .LBB19_166
; %bb.104:                              ;   in Loop: Header=BB19_12 Depth=1
	s_clause 0x1
	scratch_load_b32 v0, off, off offset:132
	scratch_load_b64 v[1:2], off, off offset:104
	s_wait_loadcnt 0x1
	v_add_nc_u32_e32 v0, s43, v0
	s_wait_loadcnt 0x0
	v_or_b32_e32 v1, s41, v1
	s_delay_alu instid0(VALU_DEP_1)
	v_cmp_gt_i32_e64 s5, s33, v1
	v_mov_b32_e32 v1, 0x47
	v_cmp_gt_i32_e64 s4, s24, v0
	s_and_b32 s4, s4, s5
	s_wait_alu 0xfffe
	s_and_saveexec_b32 s5, s4
	s_cbranch_execz .LBB19_106
; %bb.105:                              ;   in Loop: Header=BB19_12 Depth=1
	scratch_load_b32 v2, off, off offset:136 ; 4-byte Folded Reload
	s_wait_loadcnt 0x0
	v_add_nc_u32_e32 v1, 0, v2
	v_add_nc_u32_e32 v2, v138, v2
	s_delay_alu instid0(VALU_DEP_2)
	v_add_nc_u32_e32 v3, 0xe0, v1
	ds_load_2addr_stride64_b32 v[1:2], v2 offset1:15
	ds_load_2addr_stride64_b32 v[3:4], v3 offset1:15
	scratch_load_b64 v[5:6], off, off offset:104 ; 8-byte Folded Reload
	s_wait_dscnt 0x0
	v_fma_mix_f32 v7, v3, v1, 0 op_sel_hi:[0,1,0]
	v_fma_mix_f32 v8, v3, v1, 0 op_sel:[0,1,0] op_sel_hi:[0,1,0]
	s_delay_alu instid0(VALU_DEP_2) | instskip(NEXT) | instid1(VALU_DEP_2)
	v_fma_mix_f32 v3, v4, v2, v7 op_sel_hi:[0,1,0]
	v_fma_mix_f32 v4, v4, v2, v8 op_sel:[0,1,0] op_sel_hi:[0,1,0]
	s_wait_loadcnt 0x0
	v_mad_co_u64_u32 v[5:6], null, v0, s25, v[5:6]
	s_delay_alu instid0(VALU_DEP_1) | instskip(NEXT) | instid1(VALU_DEP_1)
	v_mad_co_u64_u32 v[5:6], null, v5, 56, v[60:61]
	v_ashrrev_i32_e32 v6, 31, v5
	s_delay_alu instid0(VALU_DEP_1) | instskip(NEXT) | instid1(VALU_DEP_1)
	v_lshlrev_b64_e32 v[0:1], 3, v[5:6]
	v_add_co_u32 v5, s4, s72, v0
	s_wait_alu 0xf1ff
	s_delay_alu instid0(VALU_DEP_2)
	v_add_co_ci_u32_e64 v6, null, s73, v1, s4
	v_mov_b32_e32 v1, 0
	global_store_b64 v[5:6], v[3:4], off
.LBB19_106:                             ;   in Loop: Header=BB19_12 Depth=1
	s_wait_alu 0xfffe
	s_or_b32 exec_lo, exec_lo, s5
	s_mov_b32 s5, -1
	s_mov_b32 s56, exec_lo
	v_cmpx_gt_i32_e32 0x47, v1
; %bb.107:                              ;   in Loop: Header=BB19_12 Depth=1
	v_cmp_eq_u32_e64 s4, 0, v1
	s_or_not1_b32 s5, s4, exec_lo
; %bb.108:                              ;   in Loop: Header=BB19_12 Depth=1
	s_or_b32 exec_lo, exec_lo, s56
	s_wait_alu 0xfffe
	s_and_b32 exec_lo, exec_lo, s5
	s_cbranch_execz .LBB19_166
; %bb.109:                              ;   in Loop: Header=BB19_12 Depth=1
	scratch_load_b32 v0, off, off offset:140 ; 4-byte Folded Reload
	s_wait_loadcnt 0x0
	v_dual_mov_b32 v0, 0x47 :: v_dual_add_nc_u32 v1, s43, v0
	s_delay_alu instid0(VALU_DEP_1)
	v_cmp_gt_i32_e64 s4, s24, v1
	s_and_b32 s4, s4, vcc_lo
	s_wait_alu 0xfffe
	s_and_saveexec_b32 s5, s4
	s_cbranch_execz .LBB19_111
; %bb.110:                              ;   in Loop: Header=BB19_12 Depth=1
	scratch_load_b32 v2, off, off offset:168 ; 4-byte Folded Reload
	s_wait_loadcnt 0x0
	v_add_nc_u32_e32 v0, 0, v2
	v_add_nc_u32_e32 v2, v138, v2
	s_delay_alu instid0(VALU_DEP_2) | instskip(SKIP_3) | instid1(VALU_DEP_1)
	v_add_nc_u32_e32 v0, 0xe0, v0
	ds_load_2addr_stride64_b32 v[2:3], v2 offset1:15
	ds_load_2addr_stride64_b32 v[4:5], v0 offset1:15
	v_mad_co_u64_u32 v[0:1], null, v1, s25, v[104:105]
	v_mad_co_u64_u32 v[0:1], null, v0, 56, v[60:61]
	s_delay_alu instid0(VALU_DEP_1) | instskip(SKIP_3) | instid1(VALU_DEP_3)
	v_ashrrev_i32_e32 v1, 31, v0
	s_wait_dscnt 0x0
	v_fma_mix_f32 v6, v4, v2, 0 op_sel_hi:[0,1,0]
	v_fma_mix_f32 v4, v4, v2, 0 op_sel:[0,1,0] op_sel_hi:[0,1,0]
	v_lshlrev_b64_e32 v[0:1], 3, v[0:1]
	s_delay_alu instid0(VALU_DEP_3) | instskip(NEXT) | instid1(VALU_DEP_3)
	v_fma_mix_f32 v2, v5, v3, v6 op_sel_hi:[0,1,0]
	v_fma_mix_f32 v3, v5, v3, v4 op_sel:[0,1,0] op_sel_hi:[0,1,0]
	s_delay_alu instid0(VALU_DEP_3) | instskip(SKIP_1) | instid1(VALU_DEP_4)
	v_add_co_u32 v4, s4, s72, v0
	s_wait_alu 0xf1ff
	v_add_co_ci_u32_e64 v5, null, s73, v1, s4
	v_mov_b32_e32 v0, 0
	global_store_b64 v[4:5], v[2:3], off
.LBB19_111:                             ;   in Loop: Header=BB19_12 Depth=1
	s_wait_alu 0xfffe
	s_or_b32 exec_lo, exec_lo, s5
	s_mov_b32 s5, -1
	s_mov_b32 s56, exec_lo
	v_cmpx_gt_i32_e32 0x47, v0
; %bb.112:                              ;   in Loop: Header=BB19_12 Depth=1
	v_cmp_eq_u32_e64 s4, 0, v0
	s_or_not1_b32 s5, s4, exec_lo
; %bb.113:                              ;   in Loop: Header=BB19_12 Depth=1
	s_or_b32 exec_lo, exec_lo, s56
	s_wait_alu 0xfffe
	s_and_b32 exec_lo, exec_lo, s5
	s_cbranch_execz .LBB19_166
; %bb.114:                              ;   in Loop: Header=BB19_12 Depth=1
	s_clause 0x1
	scratch_load_b32 v0, off, off offset:180
	scratch_load_b64 v[1:2], off, off offset:160
	s_wait_loadcnt 0x1
	v_add_nc_u32_e32 v0, s43, v0
	s_wait_loadcnt 0x0
	v_or_b32_e32 v1, s41, v1
	s_delay_alu instid0(VALU_DEP_1)
	v_cmp_gt_i32_e64 s5, s33, v1
	v_mov_b32_e32 v1, 0x47
	v_cmp_gt_i32_e64 s4, s24, v0
	s_and_b32 s4, s4, s5
	s_wait_alu 0xfffe
	s_and_saveexec_b32 s5, s4
	s_cbranch_execz .LBB19_116
; %bb.115:                              ;   in Loop: Header=BB19_12 Depth=1
	scratch_load_b32 v2, off, off offset:184 ; 4-byte Folded Reload
	s_wait_loadcnt 0x0
	v_add_nc_u32_e32 v1, 0, v2
	v_add_nc_u32_e32 v2, v138, v2
	s_delay_alu instid0(VALU_DEP_2)
	v_add_nc_u32_e32 v3, 0xe0, v1
	ds_load_2addr_stride64_b32 v[1:2], v2 offset1:15
	ds_load_2addr_stride64_b32 v[3:4], v3 offset1:15
	scratch_load_b64 v[5:6], off, off offset:160 ; 8-byte Folded Reload
	s_wait_dscnt 0x0
	v_fma_mix_f32 v7, v3, v1, 0 op_sel_hi:[0,1,0]
	v_fma_mix_f32 v8, v3, v1, 0 op_sel:[0,1,0] op_sel_hi:[0,1,0]
	s_delay_alu instid0(VALU_DEP_2) | instskip(NEXT) | instid1(VALU_DEP_2)
	v_fma_mix_f32 v3, v4, v2, v7 op_sel_hi:[0,1,0]
	v_fma_mix_f32 v4, v4, v2, v8 op_sel:[0,1,0] op_sel_hi:[0,1,0]
	s_wait_loadcnt 0x0
	v_mad_co_u64_u32 v[5:6], null, v0, s25, v[5:6]
	s_delay_alu instid0(VALU_DEP_1) | instskip(NEXT) | instid1(VALU_DEP_1)
	v_mad_co_u64_u32 v[5:6], null, v5, 56, v[60:61]
	v_ashrrev_i32_e32 v6, 31, v5
	s_delay_alu instid0(VALU_DEP_1) | instskip(NEXT) | instid1(VALU_DEP_1)
	v_lshlrev_b64_e32 v[0:1], 3, v[5:6]
	v_add_co_u32 v5, s4, s72, v0
	s_wait_alu 0xf1ff
	s_delay_alu instid0(VALU_DEP_2)
	v_add_co_ci_u32_e64 v6, null, s73, v1, s4
	v_mov_b32_e32 v1, 0
	global_store_b64 v[5:6], v[3:4], off
.LBB19_116:                             ;   in Loop: Header=BB19_12 Depth=1
	s_wait_alu 0xfffe
	s_or_b32 exec_lo, exec_lo, s5
	s_mov_b32 s5, -1
	s_mov_b32 s56, exec_lo
	v_cmpx_gt_i32_e32 0x47, v1
; %bb.117:                              ;   in Loop: Header=BB19_12 Depth=1
	v_cmp_eq_u32_e64 s4, 0, v1
	s_or_not1_b32 s5, s4, exec_lo
; %bb.118:                              ;   in Loop: Header=BB19_12 Depth=1
	s_or_b32 exec_lo, exec_lo, s56
	s_wait_alu 0xfffe
	s_and_b32 exec_lo, exec_lo, s5
	s_cbranch_execz .LBB19_166
; %bb.119:                              ;   in Loop: Header=BB19_12 Depth=1
	scratch_load_b32 v0, off, off offset:188 ; 4-byte Folded Reload
	s_wait_loadcnt 0x0
	v_dual_mov_b32 v0, 0x47 :: v_dual_add_nc_u32 v1, s43, v0
	s_delay_alu instid0(VALU_DEP_1)
	v_cmp_gt_i32_e64 s4, s24, v1
	s_and_b32 s4, s4, vcc_lo
	s_wait_alu 0xfffe
	s_and_saveexec_b32 s5, s4
	s_cbranch_execz .LBB19_121
; %bb.120:                              ;   in Loop: Header=BB19_12 Depth=1
	scratch_load_b32 v2, off, off offset:208 ; 4-byte Folded Reload
	s_wait_loadcnt 0x0
	v_add_nc_u32_e32 v0, 0, v2
	v_add_nc_u32_e32 v2, v138, v2
	s_delay_alu instid0(VALU_DEP_2) | instskip(SKIP_3) | instid1(VALU_DEP_1)
	v_add_nc_u32_e32 v0, 0xe0, v0
	ds_load_2addr_stride64_b32 v[2:3], v2 offset1:15
	ds_load_2addr_stride64_b32 v[4:5], v0 offset1:15
	v_mad_co_u64_u32 v[0:1], null, v1, s25, v[104:105]
	v_mad_co_u64_u32 v[0:1], null, v0, 56, v[60:61]
	s_delay_alu instid0(VALU_DEP_1) | instskip(SKIP_3) | instid1(VALU_DEP_3)
	v_ashrrev_i32_e32 v1, 31, v0
	s_wait_dscnt 0x0
	v_fma_mix_f32 v6, v4, v2, 0 op_sel_hi:[0,1,0]
	v_fma_mix_f32 v4, v4, v2, 0 op_sel:[0,1,0] op_sel_hi:[0,1,0]
	v_lshlrev_b64_e32 v[0:1], 3, v[0:1]
	s_delay_alu instid0(VALU_DEP_3) | instskip(NEXT) | instid1(VALU_DEP_3)
	v_fma_mix_f32 v2, v5, v3, v6 op_sel_hi:[0,1,0]
	v_fma_mix_f32 v3, v5, v3, v4 op_sel:[0,1,0] op_sel_hi:[0,1,0]
	s_delay_alu instid0(VALU_DEP_3) | instskip(SKIP_1) | instid1(VALU_DEP_4)
	v_add_co_u32 v4, s4, s72, v0
	s_wait_alu 0xf1ff
	v_add_co_ci_u32_e64 v5, null, s73, v1, s4
	v_mov_b32_e32 v0, 0
	global_store_b64 v[4:5], v[2:3], off
.LBB19_121:                             ;   in Loop: Header=BB19_12 Depth=1
	s_wait_alu 0xfffe
	s_or_b32 exec_lo, exec_lo, s5
	s_mov_b32 s5, -1
	s_mov_b32 s56, exec_lo
	v_cmpx_gt_i32_e32 0x47, v0
; %bb.122:                              ;   in Loop: Header=BB19_12 Depth=1
	v_cmp_eq_u32_e64 s4, 0, v0
	s_or_not1_b32 s5, s4, exec_lo
; %bb.123:                              ;   in Loop: Header=BB19_12 Depth=1
	s_or_b32 exec_lo, exec_lo, s56
	s_wait_alu 0xfffe
	s_and_b32 exec_lo, exec_lo, s5
	s_cbranch_execz .LBB19_166
; %bb.124:                              ;   in Loop: Header=BB19_12 Depth=1
	s_clause 0x1
	scratch_load_b32 v0, off, off offset:220
	scratch_load_b64 v[1:2], off, off offset:200
	s_wait_loadcnt 0x1
	v_add_nc_u32_e32 v0, s43, v0
	s_wait_loadcnt 0x0
	v_or_b32_e32 v1, s41, v1
	s_delay_alu instid0(VALU_DEP_1)
	v_cmp_gt_i32_e64 s5, s33, v1
	v_mov_b32_e32 v1, 0x47
	v_cmp_gt_i32_e64 s4, s24, v0
	s_and_b32 s4, s4, s5
	s_wait_alu 0xfffe
	s_and_saveexec_b32 s5, s4
	s_cbranch_execz .LBB19_126
; %bb.125:                              ;   in Loop: Header=BB19_12 Depth=1
	scratch_load_b32 v2, off, off offset:224 ; 4-byte Folded Reload
	s_wait_loadcnt 0x0
	v_add_nc_u32_e32 v1, 0, v2
	v_add_nc_u32_e32 v2, v138, v2
	s_delay_alu instid0(VALU_DEP_2)
	v_add_nc_u32_e32 v3, 0xe0, v1
	ds_load_2addr_stride64_b32 v[1:2], v2 offset1:15
	ds_load_2addr_stride64_b32 v[3:4], v3 offset1:15
	scratch_load_b64 v[5:6], off, off offset:200 ; 8-byte Folded Reload
	s_wait_dscnt 0x0
	v_fma_mix_f32 v7, v3, v1, 0 op_sel_hi:[0,1,0]
	v_fma_mix_f32 v8, v3, v1, 0 op_sel:[0,1,0] op_sel_hi:[0,1,0]
	s_delay_alu instid0(VALU_DEP_2) | instskip(NEXT) | instid1(VALU_DEP_2)
	v_fma_mix_f32 v3, v4, v2, v7 op_sel_hi:[0,1,0]
	v_fma_mix_f32 v4, v4, v2, v8 op_sel:[0,1,0] op_sel_hi:[0,1,0]
	s_wait_loadcnt 0x0
	v_mad_co_u64_u32 v[5:6], null, v0, s25, v[5:6]
	s_delay_alu instid0(VALU_DEP_1) | instskip(NEXT) | instid1(VALU_DEP_1)
	v_mad_co_u64_u32 v[5:6], null, v5, 56, v[60:61]
	v_ashrrev_i32_e32 v6, 31, v5
	s_delay_alu instid0(VALU_DEP_1) | instskip(NEXT) | instid1(VALU_DEP_1)
	v_lshlrev_b64_e32 v[0:1], 3, v[5:6]
	v_add_co_u32 v5, s4, s72, v0
	s_wait_alu 0xf1ff
	s_delay_alu instid0(VALU_DEP_2)
	v_add_co_ci_u32_e64 v6, null, s73, v1, s4
	v_mov_b32_e32 v1, 0
	global_store_b64 v[5:6], v[3:4], off
.LBB19_126:                             ;   in Loop: Header=BB19_12 Depth=1
	s_wait_alu 0xfffe
	s_or_b32 exec_lo, exec_lo, s5
	s_mov_b32 s5, -1
	s_mov_b32 s56, exec_lo
	v_cmpx_gt_i32_e32 0x47, v1
; %bb.127:                              ;   in Loop: Header=BB19_12 Depth=1
	v_cmp_eq_u32_e64 s4, 0, v1
	s_or_not1_b32 s5, s4, exec_lo
; %bb.128:                              ;   in Loop: Header=BB19_12 Depth=1
	s_or_b32 exec_lo, exec_lo, s56
	s_wait_alu 0xfffe
	s_and_b32 exec_lo, exec_lo, s5
	s_cbranch_execz .LBB19_166
; %bb.129:                              ;   in Loop: Header=BB19_12 Depth=1
	scratch_load_b32 v0, off, off offset:228 ; 4-byte Folded Reload
	s_wait_loadcnt 0x0
	v_dual_mov_b32 v0, 0x47 :: v_dual_add_nc_u32 v1, s43, v0
	s_delay_alu instid0(VALU_DEP_1)
	v_cmp_gt_i32_e64 s4, s24, v1
	s_and_b32 s4, s4, vcc_lo
	s_wait_alu 0xfffe
	s_and_saveexec_b32 s5, s4
	s_cbranch_execz .LBB19_131
; %bb.130:                              ;   in Loop: Header=BB19_12 Depth=1
	scratch_load_b32 v2, off, off offset:244 ; 4-byte Folded Reload
	s_wait_loadcnt 0x0
	v_add_nc_u32_e32 v0, 0, v2
	v_add_nc_u32_e32 v2, v138, v2
	s_delay_alu instid0(VALU_DEP_2) | instskip(SKIP_3) | instid1(VALU_DEP_1)
	v_add_nc_u32_e32 v0, 0xe0, v0
	ds_load_2addr_stride64_b32 v[2:3], v2 offset1:15
	ds_load_2addr_stride64_b32 v[4:5], v0 offset1:15
	v_mad_co_u64_u32 v[0:1], null, v1, s25, v[104:105]
	v_mad_co_u64_u32 v[0:1], null, v0, 56, v[60:61]
	s_delay_alu instid0(VALU_DEP_1) | instskip(SKIP_3) | instid1(VALU_DEP_3)
	v_ashrrev_i32_e32 v1, 31, v0
	s_wait_dscnt 0x0
	v_fma_mix_f32 v6, v4, v2, 0 op_sel_hi:[0,1,0]
	v_fma_mix_f32 v4, v4, v2, 0 op_sel:[0,1,0] op_sel_hi:[0,1,0]
	v_lshlrev_b64_e32 v[0:1], 3, v[0:1]
	s_delay_alu instid0(VALU_DEP_3) | instskip(NEXT) | instid1(VALU_DEP_3)
	v_fma_mix_f32 v2, v5, v3, v6 op_sel_hi:[0,1,0]
	v_fma_mix_f32 v3, v5, v3, v4 op_sel:[0,1,0] op_sel_hi:[0,1,0]
	s_delay_alu instid0(VALU_DEP_3) | instskip(SKIP_1) | instid1(VALU_DEP_4)
	v_add_co_u32 v4, s4, s72, v0
	s_wait_alu 0xf1ff
	v_add_co_ci_u32_e64 v5, null, s73, v1, s4
	v_mov_b32_e32 v0, 0
	global_store_b64 v[4:5], v[2:3], off
.LBB19_131:                             ;   in Loop: Header=BB19_12 Depth=1
	s_wait_alu 0xfffe
	s_or_b32 exec_lo, exec_lo, s5
	s_mov_b32 s5, -1
	s_mov_b32 s56, exec_lo
	v_cmpx_gt_i32_e32 0x47, v0
; %bb.132:                              ;   in Loop: Header=BB19_12 Depth=1
	v_cmp_eq_u32_e64 s4, 0, v0
	s_or_not1_b32 s5, s4, exec_lo
; %bb.133:                              ;   in Loop: Header=BB19_12 Depth=1
	s_or_b32 exec_lo, exec_lo, s56
	s_wait_alu 0xfffe
	s_and_b32 exec_lo, exec_lo, s5
	s_cbranch_execz .LBB19_166
; %bb.134:                              ;   in Loop: Header=BB19_12 Depth=1
	s_clause 0x1
	scratch_load_b32 v0, off, off offset:248
	scratch_load_b64 v[1:2], off, off offset:236
	s_wait_loadcnt 0x1
	v_add_nc_u32_e32 v0, s43, v0
	s_wait_loadcnt 0x0
	v_or_b32_e32 v1, s41, v1
	s_delay_alu instid0(VALU_DEP_1)
	v_cmp_gt_i32_e64 s5, s33, v1
	v_mov_b32_e32 v1, 0x47
	v_cmp_gt_i32_e64 s4, s24, v0
	s_and_b32 s4, s4, s5
	s_wait_alu 0xfffe
	s_and_saveexec_b32 s5, s4
	s_cbranch_execz .LBB19_136
; %bb.135:                              ;   in Loop: Header=BB19_12 Depth=1
	scratch_load_b32 v2, off, off offset:252 ; 4-byte Folded Reload
	s_wait_loadcnt 0x0
	v_add_nc_u32_e32 v1, 0, v2
	v_add_nc_u32_e32 v2, v138, v2
	s_delay_alu instid0(VALU_DEP_2)
	v_add_nc_u32_e32 v3, 0xe0, v1
	ds_load_2addr_stride64_b32 v[1:2], v2 offset1:15
	ds_load_2addr_stride64_b32 v[3:4], v3 offset1:15
	scratch_load_b64 v[5:6], off, off offset:236 ; 8-byte Folded Reload
	s_wait_dscnt 0x0
	v_fma_mix_f32 v7, v3, v1, 0 op_sel_hi:[0,1,0]
	v_fma_mix_f32 v8, v3, v1, 0 op_sel:[0,1,0] op_sel_hi:[0,1,0]
	s_delay_alu instid0(VALU_DEP_2) | instskip(NEXT) | instid1(VALU_DEP_2)
	v_fma_mix_f32 v3, v4, v2, v7 op_sel_hi:[0,1,0]
	v_fma_mix_f32 v4, v4, v2, v8 op_sel:[0,1,0] op_sel_hi:[0,1,0]
	s_wait_loadcnt 0x0
	v_mad_co_u64_u32 v[5:6], null, v0, s25, v[5:6]
	s_delay_alu instid0(VALU_DEP_1) | instskip(NEXT) | instid1(VALU_DEP_1)
	v_mad_co_u64_u32 v[5:6], null, v5, 56, v[60:61]
	v_ashrrev_i32_e32 v6, 31, v5
	s_delay_alu instid0(VALU_DEP_1) | instskip(NEXT) | instid1(VALU_DEP_1)
	v_lshlrev_b64_e32 v[0:1], 3, v[5:6]
	v_add_co_u32 v5, s4, s72, v0
	s_wait_alu 0xf1ff
	s_delay_alu instid0(VALU_DEP_2)
	v_add_co_ci_u32_e64 v6, null, s73, v1, s4
	v_mov_b32_e32 v1, 0
	global_store_b64 v[5:6], v[3:4], off
.LBB19_136:                             ;   in Loop: Header=BB19_12 Depth=1
	s_wait_alu 0xfffe
	s_or_b32 exec_lo, exec_lo, s5
	s_mov_b32 s5, -1
	s_mov_b32 s56, exec_lo
	v_cmpx_gt_i32_e32 0x47, v1
; %bb.137:                              ;   in Loop: Header=BB19_12 Depth=1
	v_cmp_eq_u32_e64 s4, 0, v1
	s_or_not1_b32 s5, s4, exec_lo
; %bb.138:                              ;   in Loop: Header=BB19_12 Depth=1
	s_or_b32 exec_lo, exec_lo, s56
	s_wait_alu 0xfffe
	s_and_b32 exec_lo, exec_lo, s5
	s_cbranch_execz .LBB19_166
; %bb.139:                              ;   in Loop: Header=BB19_12 Depth=1
	scratch_load_b32 v0, off, off offset:256 ; 4-byte Folded Reload
	s_wait_loadcnt 0x0
	v_dual_mov_b32 v0, 0x47 :: v_dual_add_nc_u32 v1, s43, v0
	s_delay_alu instid0(VALU_DEP_1)
	v_cmp_gt_i32_e64 s4, s24, v1
	s_and_b32 s4, s4, vcc_lo
	s_wait_alu 0xfffe
	s_and_saveexec_b32 s5, s4
	s_cbranch_execz .LBB19_141
; %bb.140:                              ;   in Loop: Header=BB19_12 Depth=1
	scratch_load_b32 v2, off, off offset:268 ; 4-byte Folded Reload
	s_wait_loadcnt 0x0
	v_add_nc_u32_e32 v0, 0, v2
	v_add_nc_u32_e32 v2, v138, v2
	s_delay_alu instid0(VALU_DEP_2) | instskip(SKIP_3) | instid1(VALU_DEP_1)
	v_add_nc_u32_e32 v0, 0xe0, v0
	ds_load_2addr_stride64_b32 v[2:3], v2 offset1:15
	ds_load_2addr_stride64_b32 v[4:5], v0 offset1:15
	v_mad_co_u64_u32 v[0:1], null, v1, s25, v[104:105]
	v_mad_co_u64_u32 v[0:1], null, v0, 56, v[60:61]
	s_delay_alu instid0(VALU_DEP_1) | instskip(SKIP_3) | instid1(VALU_DEP_3)
	v_ashrrev_i32_e32 v1, 31, v0
	s_wait_dscnt 0x0
	v_fma_mix_f32 v6, v4, v2, 0 op_sel_hi:[0,1,0]
	v_fma_mix_f32 v4, v4, v2, 0 op_sel:[0,1,0] op_sel_hi:[0,1,0]
	v_lshlrev_b64_e32 v[0:1], 3, v[0:1]
	s_delay_alu instid0(VALU_DEP_3) | instskip(NEXT) | instid1(VALU_DEP_3)
	v_fma_mix_f32 v2, v5, v3, v6 op_sel_hi:[0,1,0]
	v_fma_mix_f32 v3, v5, v3, v4 op_sel:[0,1,0] op_sel_hi:[0,1,0]
	s_delay_alu instid0(VALU_DEP_3) | instskip(SKIP_1) | instid1(VALU_DEP_4)
	v_add_co_u32 v4, s4, s72, v0
	s_wait_alu 0xf1ff
	v_add_co_ci_u32_e64 v5, null, s73, v1, s4
	v_mov_b32_e32 v0, 0
	global_store_b64 v[4:5], v[2:3], off
.LBB19_141:                             ;   in Loop: Header=BB19_12 Depth=1
	s_wait_alu 0xfffe
	s_or_b32 exec_lo, exec_lo, s5
	s_mov_b32 s5, -1
	s_mov_b32 s56, exec_lo
	v_cmpx_gt_i32_e32 0x47, v0
; %bb.142:                              ;   in Loop: Header=BB19_12 Depth=1
	v_cmp_eq_u32_e64 s4, 0, v0
	s_or_not1_b32 s5, s4, exec_lo
; %bb.143:                              ;   in Loop: Header=BB19_12 Depth=1
	s_or_b32 exec_lo, exec_lo, s56
	s_wait_alu 0xfffe
	s_and_b32 exec_lo, exec_lo, s5
	s_cbranch_execz .LBB19_166
; %bb.144:                              ;   in Loop: Header=BB19_12 Depth=1
	s_clause 0x1
	scratch_load_b32 v0, off, off offset:272
	scratch_load_b64 v[1:2], off, off offset:260
	s_wait_loadcnt 0x1
	v_add_nc_u32_e32 v0, s43, v0
	s_wait_loadcnt 0x0
	v_or_b32_e32 v1, s41, v1
	s_delay_alu instid0(VALU_DEP_1)
	v_cmp_gt_i32_e64 s5, s33, v1
	v_mov_b32_e32 v1, 0x47
	v_cmp_gt_i32_e64 s4, s24, v0
	s_and_b32 s4, s4, s5
	s_wait_alu 0xfffe
	s_and_saveexec_b32 s5, s4
	s_cbranch_execz .LBB19_146
; %bb.145:                              ;   in Loop: Header=BB19_12 Depth=1
	scratch_load_b32 v2, off, off offset:276 ; 4-byte Folded Reload
	s_wait_loadcnt 0x0
	v_add_nc_u32_e32 v1, 0, v2
	v_add_nc_u32_e32 v2, v138, v2
	s_delay_alu instid0(VALU_DEP_2)
	v_add_nc_u32_e32 v3, 0xe0, v1
	ds_load_2addr_stride64_b32 v[1:2], v2 offset1:15
	ds_load_2addr_stride64_b32 v[3:4], v3 offset1:15
	scratch_load_b64 v[5:6], off, off offset:260 ; 8-byte Folded Reload
	s_wait_dscnt 0x0
	v_fma_mix_f32 v7, v3, v1, 0 op_sel_hi:[0,1,0]
	v_fma_mix_f32 v8, v3, v1, 0 op_sel:[0,1,0] op_sel_hi:[0,1,0]
	s_delay_alu instid0(VALU_DEP_2) | instskip(NEXT) | instid1(VALU_DEP_2)
	v_fma_mix_f32 v3, v4, v2, v7 op_sel_hi:[0,1,0]
	v_fma_mix_f32 v4, v4, v2, v8 op_sel:[0,1,0] op_sel_hi:[0,1,0]
	s_wait_loadcnt 0x0
	v_mad_co_u64_u32 v[5:6], null, v0, s25, v[5:6]
	s_delay_alu instid0(VALU_DEP_1) | instskip(NEXT) | instid1(VALU_DEP_1)
	v_mad_co_u64_u32 v[5:6], null, v5, 56, v[60:61]
	v_ashrrev_i32_e32 v6, 31, v5
	s_delay_alu instid0(VALU_DEP_1) | instskip(NEXT) | instid1(VALU_DEP_1)
	v_lshlrev_b64_e32 v[0:1], 3, v[5:6]
	v_add_co_u32 v5, s4, s72, v0
	s_wait_alu 0xf1ff
	s_delay_alu instid0(VALU_DEP_2)
	v_add_co_ci_u32_e64 v6, null, s73, v1, s4
	v_mov_b32_e32 v1, 0
	global_store_b64 v[5:6], v[3:4], off
.LBB19_146:                             ;   in Loop: Header=BB19_12 Depth=1
	s_wait_alu 0xfffe
	s_or_b32 exec_lo, exec_lo, s5
	s_mov_b32 s5, -1
	s_mov_b32 s56, exec_lo
	v_cmpx_gt_i32_e32 0x47, v1
; %bb.147:                              ;   in Loop: Header=BB19_12 Depth=1
	v_cmp_eq_u32_e64 s4, 0, v1
	s_or_not1_b32 s5, s4, exec_lo
; %bb.148:                              ;   in Loop: Header=BB19_12 Depth=1
	s_or_b32 exec_lo, exec_lo, s56
	s_wait_alu 0xfffe
	s_and_b32 exec_lo, exec_lo, s5
	s_cbranch_execz .LBB19_166
; %bb.149:                              ;   in Loop: Header=BB19_12 Depth=1
	scratch_load_b32 v0, off, off offset:280 ; 4-byte Folded Reload
	s_wait_loadcnt 0x0
	v_dual_mov_b32 v0, 0x47 :: v_dual_add_nc_u32 v1, s43, v0
	s_delay_alu instid0(VALU_DEP_1)
	v_cmp_gt_i32_e64 s4, s24, v1
	s_and_b32 s4, s4, vcc_lo
	s_wait_alu 0xfffe
	s_and_saveexec_b32 s5, s4
	s_cbranch_execz .LBB19_151
; %bb.150:                              ;   in Loop: Header=BB19_12 Depth=1
	scratch_load_b32 v2, off, off offset:292 ; 4-byte Folded Reload
	s_wait_loadcnt 0x0
	v_add_nc_u32_e32 v0, 0, v2
	v_add_nc_u32_e32 v2, v138, v2
	s_delay_alu instid0(VALU_DEP_2) | instskip(SKIP_3) | instid1(VALU_DEP_1)
	v_add_nc_u32_e32 v0, 0xe0, v0
	ds_load_2addr_stride64_b32 v[2:3], v2 offset1:15
	ds_load_2addr_stride64_b32 v[4:5], v0 offset1:15
	v_mad_co_u64_u32 v[0:1], null, v1, s25, v[104:105]
	v_mad_co_u64_u32 v[0:1], null, v0, 56, v[60:61]
	s_delay_alu instid0(VALU_DEP_1) | instskip(SKIP_3) | instid1(VALU_DEP_3)
	v_ashrrev_i32_e32 v1, 31, v0
	s_wait_dscnt 0x0
	v_fma_mix_f32 v6, v4, v2, 0 op_sel_hi:[0,1,0]
	v_fma_mix_f32 v4, v4, v2, 0 op_sel:[0,1,0] op_sel_hi:[0,1,0]
	v_lshlrev_b64_e32 v[0:1], 3, v[0:1]
	s_delay_alu instid0(VALU_DEP_3) | instskip(NEXT) | instid1(VALU_DEP_3)
	v_fma_mix_f32 v2, v5, v3, v6 op_sel_hi:[0,1,0]
	v_fma_mix_f32 v3, v5, v3, v4 op_sel:[0,1,0] op_sel_hi:[0,1,0]
	s_delay_alu instid0(VALU_DEP_3) | instskip(SKIP_1) | instid1(VALU_DEP_4)
	v_add_co_u32 v4, s4, s72, v0
	s_wait_alu 0xf1ff
	v_add_co_ci_u32_e64 v5, null, s73, v1, s4
	v_mov_b32_e32 v0, 0
	global_store_b64 v[4:5], v[2:3], off
.LBB19_151:                             ;   in Loop: Header=BB19_12 Depth=1
	s_wait_alu 0xfffe
	s_or_b32 exec_lo, exec_lo, s5
	s_mov_b32 s5, -1
	s_mov_b32 s56, exec_lo
	v_cmpx_gt_i32_e32 0x47, v0
; %bb.152:                              ;   in Loop: Header=BB19_12 Depth=1
	v_cmp_eq_u32_e64 s4, 0, v0
	s_or_not1_b32 s5, s4, exec_lo
; %bb.153:                              ;   in Loop: Header=BB19_12 Depth=1
	s_or_b32 exec_lo, exec_lo, s56
	s_wait_alu 0xfffe
	s_and_b32 exec_lo, exec_lo, s5
	s_cbranch_execz .LBB19_166
; %bb.154:                              ;   in Loop: Header=BB19_12 Depth=1
	s_clause 0x1
	scratch_load_b32 v0, off, off offset:296
	scratch_load_b64 v[1:2], off, off offset:284
	s_wait_loadcnt 0x1
	v_add_nc_u32_e32 v0, s43, v0
	s_wait_loadcnt 0x0
	v_or_b32_e32 v1, s41, v1
	s_delay_alu instid0(VALU_DEP_1)
	v_cmp_gt_i32_e64 s5, s33, v1
	v_mov_b32_e32 v1, 0x47
	v_cmp_gt_i32_e64 s4, s24, v0
	s_and_b32 s4, s4, s5
	s_wait_alu 0xfffe
	s_and_saveexec_b32 s5, s4
	s_cbranch_execz .LBB19_156
; %bb.155:                              ;   in Loop: Header=BB19_12 Depth=1
	scratch_load_b32 v2, off, off offset:300 ; 4-byte Folded Reload
	s_wait_loadcnt 0x0
	v_add_nc_u32_e32 v1, 0, v2
	v_add_nc_u32_e32 v2, v138, v2
	s_delay_alu instid0(VALU_DEP_2)
	v_add_nc_u32_e32 v3, 0xe0, v1
	ds_load_2addr_stride64_b32 v[1:2], v2 offset1:15
	ds_load_2addr_stride64_b32 v[3:4], v3 offset1:15
	scratch_load_b64 v[5:6], off, off offset:284 ; 8-byte Folded Reload
	s_wait_dscnt 0x0
	v_fma_mix_f32 v7, v3, v1, 0 op_sel_hi:[0,1,0]
	v_fma_mix_f32 v8, v3, v1, 0 op_sel:[0,1,0] op_sel_hi:[0,1,0]
	s_delay_alu instid0(VALU_DEP_2) | instskip(NEXT) | instid1(VALU_DEP_2)
	v_fma_mix_f32 v3, v4, v2, v7 op_sel_hi:[0,1,0]
	v_fma_mix_f32 v4, v4, v2, v8 op_sel:[0,1,0] op_sel_hi:[0,1,0]
	s_wait_loadcnt 0x0
	v_mad_co_u64_u32 v[5:6], null, v0, s25, v[5:6]
	s_delay_alu instid0(VALU_DEP_1) | instskip(NEXT) | instid1(VALU_DEP_1)
	v_mad_co_u64_u32 v[5:6], null, v5, 56, v[60:61]
	v_ashrrev_i32_e32 v6, 31, v5
	s_delay_alu instid0(VALU_DEP_1) | instskip(NEXT) | instid1(VALU_DEP_1)
	v_lshlrev_b64_e32 v[0:1], 3, v[5:6]
	v_add_co_u32 v5, s4, s72, v0
	s_wait_alu 0xf1ff
	s_delay_alu instid0(VALU_DEP_2)
	v_add_co_ci_u32_e64 v6, null, s73, v1, s4
	v_mov_b32_e32 v1, 0
	global_store_b64 v[5:6], v[3:4], off
.LBB19_156:                             ;   in Loop: Header=BB19_12 Depth=1
	s_wait_alu 0xfffe
	s_or_b32 exec_lo, exec_lo, s5
	s_mov_b32 s5, -1
	s_mov_b32 s56, exec_lo
	v_cmpx_gt_i32_e32 0x47, v1
; %bb.157:                              ;   in Loop: Header=BB19_12 Depth=1
	v_cmp_eq_u32_e64 s4, 0, v1
	s_or_not1_b32 s5, s4, exec_lo
; %bb.158:                              ;   in Loop: Header=BB19_12 Depth=1
	s_or_b32 exec_lo, exec_lo, s56
	s_wait_alu 0xfffe
	s_and_b32 exec_lo, exec_lo, s5
	s_cbranch_execz .LBB19_166
; %bb.159:                              ;   in Loop: Header=BB19_12 Depth=1
	scratch_load_b32 v0, off, off offset:304 ; 4-byte Folded Reload
	s_wait_loadcnt 0x0
	v_dual_mov_b32 v0, 0x47 :: v_dual_add_nc_u32 v1, s43, v0
	s_delay_alu instid0(VALU_DEP_1)
	v_cmp_gt_i32_e64 s4, s24, v1
	s_and_b32 s5, s4, vcc_lo
	s_wait_alu 0xfffe
	s_and_saveexec_b32 s4, s5
	s_cbranch_execz .LBB19_161
; %bb.160:                              ;   in Loop: Header=BB19_12 Depth=1
	scratch_load_b32 v2, off, off offset:316 ; 4-byte Folded Reload
	s_wait_loadcnt 0x0
	v_add_nc_u32_e32 v0, 0, v2
	v_add_nc_u32_e32 v2, v138, v2
	s_delay_alu instid0(VALU_DEP_2) | instskip(SKIP_3) | instid1(VALU_DEP_1)
	v_add_nc_u32_e32 v0, 0xe0, v0
	ds_load_2addr_stride64_b32 v[2:3], v2 offset1:15
	ds_load_2addr_stride64_b32 v[4:5], v0 offset1:15
	v_mad_co_u64_u32 v[0:1], null, v1, s25, v[104:105]
	v_mad_co_u64_u32 v[0:1], null, v0, 56, v[60:61]
	s_delay_alu instid0(VALU_DEP_1) | instskip(SKIP_3) | instid1(VALU_DEP_3)
	v_ashrrev_i32_e32 v1, 31, v0
	s_wait_dscnt 0x0
	v_fma_mix_f32 v6, v4, v2, 0 op_sel_hi:[0,1,0]
	v_fma_mix_f32 v4, v4, v2, 0 op_sel:[0,1,0] op_sel_hi:[0,1,0]
	v_lshlrev_b64_e32 v[0:1], 3, v[0:1]
	s_delay_alu instid0(VALU_DEP_3) | instskip(NEXT) | instid1(VALU_DEP_3)
	v_fma_mix_f32 v2, v5, v3, v6 op_sel_hi:[0,1,0]
	v_fma_mix_f32 v3, v5, v3, v4 op_sel:[0,1,0] op_sel_hi:[0,1,0]
	s_delay_alu instid0(VALU_DEP_3) | instskip(SKIP_1) | instid1(VALU_DEP_4)
	v_add_co_u32 v4, vcc_lo, s72, v0
	s_wait_alu 0xfffd
	v_add_co_ci_u32_e64 v5, null, s73, v1, vcc_lo
	v_mov_b32_e32 v0, 0
	global_store_b64 v[4:5], v[2:3], off
.LBB19_161:                             ;   in Loop: Header=BB19_12 Depth=1
	s_wait_alu 0xfffe
	s_or_b32 exec_lo, exec_lo, s4
	s_mov_b32 s4, -1
	s_mov_b32 s5, exec_lo
	v_cmpx_gt_i32_e32 0x47, v0
; %bb.162:                              ;   in Loop: Header=BB19_12 Depth=1
	v_cmp_eq_u32_e32 vcc_lo, 0, v0
	s_or_not1_b32 s4, vcc_lo, exec_lo
; %bb.163:                              ;   in Loop: Header=BB19_12 Depth=1
	s_wait_alu 0xfffe
	s_or_b32 exec_lo, exec_lo, s5
	s_delay_alu instid0(SALU_CYCLE_1)
	s_and_b32 exec_lo, exec_lo, s4
	s_cbranch_execz .LBB19_166
; %bb.164:                              ;   in Loop: Header=BB19_12 Depth=1
	s_clause 0x1
	scratch_load_b32 v0, off, off offset:320
	scratch_load_b64 v[1:2], off, off offset:308
	s_wait_loadcnt 0x1
	v_add_nc_u32_e32 v0, s43, v0
	s_wait_loadcnt 0x0
	v_or_b32_e32 v1, s41, v1
	s_delay_alu instid0(VALU_DEP_2) | instskip(NEXT) | instid1(VALU_DEP_2)
	v_cmp_gt_i32_e32 vcc_lo, s24, v0
	v_cmp_gt_i32_e64 s4, s33, v1
	s_and_b32 s4, vcc_lo, s4
	s_wait_alu 0xfffe
	s_and_b32 exec_lo, exec_lo, s4
	s_cbranch_execz .LBB19_166
; %bb.165:                              ;   in Loop: Header=BB19_12 Depth=1
	scratch_load_b32 v2, off, off offset:324 ; 4-byte Folded Reload
	s_wait_loadcnt 0x0
	v_add_nc_u32_e32 v1, 0, v2
	v_add_nc_u32_e32 v2, v138, v2
	s_delay_alu instid0(VALU_DEP_2)
	v_add_nc_u32_e32 v3, 0xe0, v1
	ds_load_2addr_stride64_b32 v[1:2], v2 offset1:15
	ds_load_2addr_stride64_b32 v[3:4], v3 offset1:15
	scratch_load_b64 v[5:6], off, off offset:308 ; 8-byte Folded Reload
	s_wait_dscnt 0x0
	v_fma_mix_f32 v7, v3, v1, 0 op_sel_hi:[0,1,0]
	v_fma_mix_f32 v8, v3, v1, 0 op_sel:[0,1,0] op_sel_hi:[0,1,0]
	s_delay_alu instid0(VALU_DEP_2) | instskip(NEXT) | instid1(VALU_DEP_2)
	v_fma_mix_f32 v3, v4, v2, v7 op_sel_hi:[0,1,0]
	v_fma_mix_f32 v4, v4, v2, v8 op_sel:[0,1,0] op_sel_hi:[0,1,0]
	s_wait_loadcnt 0x0
	v_mad_co_u64_u32 v[5:6], null, v0, s25, v[5:6]
	s_delay_alu instid0(VALU_DEP_1) | instskip(NEXT) | instid1(VALU_DEP_1)
	v_mad_co_u64_u32 v[5:6], null, v5, 56, v[60:61]
	v_ashrrev_i32_e32 v6, 31, v5
	s_delay_alu instid0(VALU_DEP_1) | instskip(NEXT) | instid1(VALU_DEP_1)
	v_lshlrev_b64_e32 v[0:1], 3, v[5:6]
	v_add_co_u32 v0, vcc_lo, s72, v0
	s_wait_alu 0xfffd
	s_delay_alu instid0(VALU_DEP_2)
	v_add_co_ci_u32_e64 v1, null, s73, v1, vcc_lo
	global_store_b64 v[0:1], v[3:4], off
.LBB19_166:                             ;   in Loop: Header=BB19_12 Depth=1
	s_wait_alu 0xfffe
	s_or_b32 exec_lo, exec_lo, s34
	v_add_nc_u32_e32 v0, s43, v181
	v_or_b32_e32 v1, s41, v93
	s_delay_alu instid0(VALU_DEP_1) | instskip(SKIP_1) | instid1(VALU_DEP_4)
	v_cmp_gt_i32_e32 vcc_lo, s33, v1
	v_mov_b32_e32 v1, 0x47
	v_cmp_gt_i32_e64 s4, s24, v0
	s_and_b32 s4, s4, vcc_lo
	s_wait_alu 0xfffe
	s_and_saveexec_b32 s5, s4
	s_cbranch_execz .LBB19_168
; %bb.167:                              ;   in Loop: Header=BB19_12 Depth=1
	v_add_nc_u32_e32 v1, 0, v182
	v_add_nc_u32_e32 v2, v206, v182
	s_delay_alu instid0(VALU_DEP_2) | instskip(SKIP_1) | instid1(VALU_DEP_3)
	v_add_nc_u32_e32 v3, 0xe0, v1
	v_mad_co_u64_u32 v[0:1], null, v0, s25, v[93:94]
	v_add_nc_u32_e32 v4, 0x80, v2
	ds_load_2addr_stride64_b32 v[1:2], v3 offset1:15
	ds_load_2addr_stride64_b32 v[3:4], v4 offset1:15
	v_mul_lo_u32 v0, v0, 56
	s_delay_alu instid0(VALU_DEP_1) | instskip(SKIP_2) | instid1(VALU_DEP_2)
	v_ashrrev_i32_e32 v6, 31, v0
	v_add_co_u32 v5, s4, v0, v128
	s_wait_alu 0xf1ff
	v_add_co_ci_u32_e64 v6, null, 0, v6, s4
	s_wait_dscnt 0x0
	v_fma_mix_f32 v7, v1, v3, 0 op_sel_hi:[0,1,0]
	v_fma_mix_f32 v8, v1, v3, 0 op_sel:[0,1,0] op_sel_hi:[0,1,0]
	s_delay_alu instid0(VALU_DEP_3) | instskip(NEXT) | instid1(VALU_DEP_3)
	v_lshlrev_b64_e32 v[0:1], 3, v[5:6]
	v_fma_mix_f32 v3, v2, v4, v7 op_sel_hi:[0,1,0]
	s_delay_alu instid0(VALU_DEP_3) | instskip(NEXT) | instid1(VALU_DEP_3)
	v_fma_mix_f32 v4, v2, v4, v8 op_sel:[0,1,0] op_sel_hi:[0,1,0]
	v_add_co_u32 v5, s4, s72, v0
	s_wait_alu 0xf1ff
	s_delay_alu instid0(VALU_DEP_4)
	v_add_co_ci_u32_e64 v6, null, s73, v1, s4
	v_mov_b32_e32 v1, 0
	global_store_b64 v[5:6], v[3:4], off offset:256
.LBB19_168:                             ;   in Loop: Header=BB19_12 Depth=1
	s_wait_alu 0xfffe
	s_or_b32 exec_lo, exec_lo, s5
	s_mov_b32 s34, -1
	s_mov_b32 s5, exec_lo
	v_cmpx_gt_i32_e32 0x47, v1
; %bb.169:                              ;   in Loop: Header=BB19_12 Depth=1
	v_cmp_eq_u32_e64 s4, 0, v1
	s_or_not1_b32 s34, s4, exec_lo
; %bb.170:                              ;   in Loop: Header=BB19_12 Depth=1
	s_wait_alu 0xfffe
	s_or_b32 exec_lo, exec_lo, s5
	s_and_saveexec_b32 s5, s34
	s_cbranch_execz .LBB19_203
; %bb.171:                              ;   in Loop: Header=BB19_12 Depth=1
	v_dual_mov_b32 v0, 0x47 :: v_dual_add_nc_u32 v1, s43, v117
	s_delay_alu instid0(VALU_DEP_1)
	v_cmp_gt_i32_e64 s4, s24, v1
	s_and_b32 s4, s4, vcc_lo
	s_wait_alu 0xfffe
	s_and_saveexec_b32 s34, s4
	s_cbranch_execz .LBB19_173
; %bb.172:                              ;   in Loop: Header=BB19_12 Depth=1
	v_add_nc_u32_e32 v0, 0, v160
	v_add_nc_u32_e32 v2, v206, v160
	s_delay_alu instid0(VALU_DEP_2) | instskip(SKIP_1) | instid1(VALU_DEP_3)
	v_add_nc_u32_e32 v3, 0xe0, v0
	v_mad_co_u64_u32 v[0:1], null, v1, s25, v[93:94]
	v_add_nc_u32_e32 v4, 0x80, v2
	ds_load_2addr_stride64_b32 v[1:2], v3 offset1:15
	ds_load_2addr_stride64_b32 v[3:4], v4 offset1:15
	v_mul_lo_u32 v0, v0, 56
	s_delay_alu instid0(VALU_DEP_1) | instskip(SKIP_2) | instid1(VALU_DEP_2)
	v_ashrrev_i32_e32 v6, 31, v0
	v_add_co_u32 v5, s4, v0, v128
	s_wait_alu 0xf1ff
	v_add_co_ci_u32_e64 v6, null, 0, v6, s4
	s_wait_dscnt 0x0
	v_fma_mix_f32 v7, v1, v3, 0 op_sel_hi:[0,1,0]
	v_fma_mix_f32 v8, v1, v3, 0 op_sel:[0,1,0] op_sel_hi:[0,1,0]
	s_delay_alu instid0(VALU_DEP_3) | instskip(NEXT) | instid1(VALU_DEP_3)
	v_lshlrev_b64_e32 v[0:1], 3, v[5:6]
	v_fma_mix_f32 v3, v2, v4, v7 op_sel_hi:[0,1,0]
	s_delay_alu instid0(VALU_DEP_3) | instskip(NEXT) | instid1(VALU_DEP_3)
	v_fma_mix_f32 v4, v2, v4, v8 op_sel:[0,1,0] op_sel_hi:[0,1,0]
	v_add_co_u32 v5, s4, s72, v0
	s_wait_alu 0xf1ff
	s_delay_alu instid0(VALU_DEP_4)
	v_add_co_ci_u32_e64 v6, null, s73, v1, s4
	v_mov_b32_e32 v0, 0
	global_store_b64 v[5:6], v[3:4], off offset:256
.LBB19_173:                             ;   in Loop: Header=BB19_12 Depth=1
	s_wait_alu 0xfffe
	s_or_b32 exec_lo, exec_lo, s34
	s_mov_b32 s34, -1
	s_mov_b32 s56, exec_lo
	v_cmpx_gt_i32_e32 0x47, v0
; %bb.174:                              ;   in Loop: Header=BB19_12 Depth=1
	v_cmp_eq_u32_e64 s4, 0, v0
	s_or_not1_b32 s34, s4, exec_lo
; %bb.175:                              ;   in Loop: Header=BB19_12 Depth=1
	s_or_b32 exec_lo, exec_lo, s56
	s_wait_alu 0xfffe
	s_and_b32 exec_lo, exec_lo, s34
	s_cbranch_execz .LBB19_203
; %bb.176:                              ;   in Loop: Header=BB19_12 Depth=1
	scratch_load_b32 v0, off, off offset:96 ; 4-byte Folded Reload
	s_wait_loadcnt 0x0
	v_dual_mov_b32 v0, 0x47 :: v_dual_add_nc_u32 v1, s43, v0
	s_delay_alu instid0(VALU_DEP_1)
	v_cmp_gt_i32_e64 s4, s24, v1
	s_and_b32 s4, s4, vcc_lo
	s_wait_alu 0xfffe
	s_and_saveexec_b32 s34, s4
	s_cbranch_execz .LBB19_178
; %bb.177:                              ;   in Loop: Header=BB19_12 Depth=1
	scratch_load_b32 v2, off, off offset:116 ; 4-byte Folded Reload
	s_wait_loadcnt 0x0
	v_add_nc_u32_e32 v0, 0, v2
	v_add_nc_u32_e32 v2, v206, v2
	s_delay_alu instid0(VALU_DEP_2) | instskip(SKIP_1) | instid1(VALU_DEP_3)
	v_add_nc_u32_e32 v3, 0xe0, v0
	v_mad_co_u64_u32 v[0:1], null, v1, s25, v[93:94]
	v_add_nc_u32_e32 v4, 0x80, v2
	ds_load_2addr_stride64_b32 v[1:2], v3 offset1:15
	ds_load_2addr_stride64_b32 v[3:4], v4 offset1:15
	v_mul_lo_u32 v0, v0, 56
	s_delay_alu instid0(VALU_DEP_1) | instskip(SKIP_2) | instid1(VALU_DEP_2)
	v_ashrrev_i32_e32 v6, 31, v0
	v_add_co_u32 v5, s4, v0, v128
	s_wait_alu 0xf1ff
	v_add_co_ci_u32_e64 v6, null, 0, v6, s4
	s_wait_dscnt 0x0
	v_fma_mix_f32 v7, v1, v3, 0 op_sel_hi:[0,1,0]
	v_fma_mix_f32 v8, v1, v3, 0 op_sel:[0,1,0] op_sel_hi:[0,1,0]
	s_delay_alu instid0(VALU_DEP_3) | instskip(NEXT) | instid1(VALU_DEP_3)
	v_lshlrev_b64_e32 v[0:1], 3, v[5:6]
	v_fma_mix_f32 v3, v2, v4, v7 op_sel_hi:[0,1,0]
	s_delay_alu instid0(VALU_DEP_3) | instskip(NEXT) | instid1(VALU_DEP_3)
	v_fma_mix_f32 v4, v2, v4, v8 op_sel:[0,1,0] op_sel_hi:[0,1,0]
	v_add_co_u32 v5, s4, s72, v0
	s_wait_alu 0xf1ff
	s_delay_alu instid0(VALU_DEP_4)
	v_add_co_ci_u32_e64 v6, null, s73, v1, s4
	v_mov_b32_e32 v0, 0
	global_store_b64 v[5:6], v[3:4], off offset:256
.LBB19_178:                             ;   in Loop: Header=BB19_12 Depth=1
	s_wait_alu 0xfffe
	s_or_b32 exec_lo, exec_lo, s34
	s_mov_b32 s34, -1
	s_mov_b32 s56, exec_lo
	v_cmpx_gt_i32_e32 0x47, v0
; %bb.179:                              ;   in Loop: Header=BB19_12 Depth=1
	v_cmp_eq_u32_e64 s4, 0, v0
	s_or_not1_b32 s34, s4, exec_lo
; %bb.180:                              ;   in Loop: Header=BB19_12 Depth=1
	s_or_b32 exec_lo, exec_lo, s56
	s_wait_alu 0xfffe
	s_and_b32 exec_lo, exec_lo, s34
	s_cbranch_execz .LBB19_203
; %bb.181:                              ;   in Loop: Header=BB19_12 Depth=1
	scratch_load_b32 v0, off, off offset:120 ; 4-byte Folded Reload
	s_wait_loadcnt 0x0
	v_dual_mov_b32 v0, 0x47 :: v_dual_add_nc_u32 v1, s43, v0
	s_delay_alu instid0(VALU_DEP_1)
	v_cmp_gt_i32_e64 s4, s24, v1
	s_and_b32 s4, s4, vcc_lo
	s_wait_alu 0xfffe
	s_and_saveexec_b32 s34, s4
	s_cbranch_execz .LBB19_183
; %bb.182:                              ;   in Loop: Header=BB19_12 Depth=1
	scratch_load_b32 v2, off, off offset:144 ; 4-byte Folded Reload
	s_wait_loadcnt 0x0
	v_add_nc_u32_e32 v0, 0, v2
	v_add_nc_u32_e32 v2, v206, v2
	s_delay_alu instid0(VALU_DEP_2) | instskip(SKIP_1) | instid1(VALU_DEP_3)
	v_add_nc_u32_e32 v3, 0xe0, v0
	v_mad_co_u64_u32 v[0:1], null, v1, s25, v[93:94]
	v_add_nc_u32_e32 v4, 0x80, v2
	ds_load_2addr_stride64_b32 v[1:2], v3 offset1:15
	ds_load_2addr_stride64_b32 v[3:4], v4 offset1:15
	v_mul_lo_u32 v0, v0, 56
	s_delay_alu instid0(VALU_DEP_1) | instskip(SKIP_2) | instid1(VALU_DEP_2)
	v_ashrrev_i32_e32 v6, 31, v0
	v_add_co_u32 v5, s4, v0, v128
	s_wait_alu 0xf1ff
	v_add_co_ci_u32_e64 v6, null, 0, v6, s4
	s_wait_dscnt 0x0
	v_fma_mix_f32 v7, v1, v3, 0 op_sel_hi:[0,1,0]
	v_fma_mix_f32 v8, v1, v3, 0 op_sel:[0,1,0] op_sel_hi:[0,1,0]
	s_delay_alu instid0(VALU_DEP_3) | instskip(NEXT) | instid1(VALU_DEP_3)
	v_lshlrev_b64_e32 v[0:1], 3, v[5:6]
	v_fma_mix_f32 v3, v2, v4, v7 op_sel_hi:[0,1,0]
	s_delay_alu instid0(VALU_DEP_3) | instskip(NEXT) | instid1(VALU_DEP_3)
	v_fma_mix_f32 v4, v2, v4, v8 op_sel:[0,1,0] op_sel_hi:[0,1,0]
	v_add_co_u32 v5, s4, s72, v0
	s_wait_alu 0xf1ff
	s_delay_alu instid0(VALU_DEP_4)
	v_add_co_ci_u32_e64 v6, null, s73, v1, s4
	v_mov_b32_e32 v0, 0
	global_store_b64 v[5:6], v[3:4], off offset:256
.LBB19_183:                             ;   in Loop: Header=BB19_12 Depth=1
	;; [unrolled: 55-line block ×5, first 2 shown]
	s_wait_alu 0xfffe
	s_or_b32 exec_lo, exec_lo, s34
	s_mov_b32 s34, -1
	s_mov_b32 s56, exec_lo
	v_cmpx_gt_i32_e32 0x47, v0
; %bb.199:                              ;   in Loop: Header=BB19_12 Depth=1
	v_cmp_eq_u32_e64 s4, 0, v0
	s_or_not1_b32 s34, s4, exec_lo
; %bb.200:                              ;   in Loop: Header=BB19_12 Depth=1
	s_or_b32 exec_lo, exec_lo, s56
	s_wait_alu 0xfffe
	s_and_b32 exec_lo, exec_lo, s34
	s_cbranch_execz .LBB19_203
; %bb.201:                              ;   in Loop: Header=BB19_12 Depth=1
	scratch_load_b32 v0, off, off offset:216 ; 4-byte Folded Reload
	s_wait_loadcnt 0x0
	v_add_nc_u32_e32 v0, s43, v0
	s_delay_alu instid0(VALU_DEP_1)
	v_cmp_gt_i32_e64 s4, s24, v0
	s_and_b32 s4, s4, vcc_lo
	s_wait_alu 0xfffe
	s_and_b32 exec_lo, exec_lo, s4
	s_cbranch_execz .LBB19_203
; %bb.202:                              ;   in Loop: Header=BB19_12 Depth=1
	scratch_load_b32 v2, off, off offset:232 ; 4-byte Folded Reload
	s_wait_loadcnt 0x0
	v_add_nc_u32_e32 v1, 0, v2
	v_add_nc_u32_e32 v2, v206, v2
	s_delay_alu instid0(VALU_DEP_2) | instskip(SKIP_1) | instid1(VALU_DEP_3)
	v_add_nc_u32_e32 v3, 0xe0, v1
	v_mad_co_u64_u32 v[0:1], null, v0, s25, v[93:94]
	v_add_nc_u32_e32 v4, 0x80, v2
	ds_load_2addr_stride64_b32 v[1:2], v3 offset1:15
	ds_load_2addr_stride64_b32 v[3:4], v4 offset1:15
	v_mul_lo_u32 v0, v0, 56
	s_delay_alu instid0(VALU_DEP_1) | instskip(SKIP_2) | instid1(VALU_DEP_2)
	v_ashrrev_i32_e32 v6, 31, v0
	v_add_co_u32 v5, vcc_lo, v0, v128
	s_wait_alu 0xfffd
	v_add_co_ci_u32_e64 v6, null, 0, v6, vcc_lo
	s_wait_dscnt 0x0
	v_fma_mix_f32 v7, v1, v3, 0 op_sel_hi:[0,1,0]
	v_fma_mix_f32 v8, v1, v3, 0 op_sel:[0,1,0] op_sel_hi:[0,1,0]
	s_delay_alu instid0(VALU_DEP_3) | instskip(NEXT) | instid1(VALU_DEP_3)
	v_lshlrev_b64_e32 v[0:1], 3, v[5:6]
	v_fma_mix_f32 v3, v2, v4, v7 op_sel_hi:[0,1,0]
	s_delay_alu instid0(VALU_DEP_3) | instskip(NEXT) | instid1(VALU_DEP_3)
	v_fma_mix_f32 v4, v2, v4, v8 op_sel:[0,1,0] op_sel_hi:[0,1,0]
	v_add_co_u32 v0, vcc_lo, s72, v0
	s_wait_alu 0xfffd
	s_delay_alu instid0(VALU_DEP_4)
	v_add_co_ci_u32_e64 v1, null, s73, v1, vcc_lo
	global_store_b64 v[0:1], v[3:4], off offset:256
.LBB19_203:                             ;   in Loop: Header=BB19_12 Depth=1
	s_wait_alu 0xfffe
	s_or_b32 exec_lo, exec_lo, s5
	v_dual_mov_b32 v0, 0x47 :: v_dual_add_nc_u32 v1, s43, v197
	s_delay_alu instid0(VALU_DEP_1)
	v_cmp_gt_i32_e32 vcc_lo, s24, v1
	s_and_b32 s5, vcc_lo, s3
	s_wait_alu 0xfffe
	s_and_saveexec_b32 s4, s5
	s_cbranch_execz .LBB19_205
; %bb.204:                              ;   in Loop: Header=BB19_12 Depth=1
	v_add_nc_u32_e32 v0, 0, v198
	v_add_nc_u32_e32 v2, v143, v198
	s_delay_alu instid0(VALU_DEP_2) | instskip(NEXT) | instid1(VALU_DEP_2)
	v_add_nc_u32_e32 v3, 0xe0, v0
	v_add_nc_u32_e32 v4, 0xc0, v2
	v_mad_co_u64_u32 v[0:1], null, v1, s25, v[83:84]
	ds_load_2addr_stride64_b32 v[1:2], v3 offset1:15
	ds_load_2addr_stride64_b32 v[3:4], v4 offset1:15
	v_mul_lo_u32 v0, v0, 56
	s_delay_alu instid0(VALU_DEP_1) | instskip(SKIP_4) | instid1(VALU_DEP_3)
	v_ashrrev_i32_e32 v6, 31, v0
	v_or_b32_e32 v5, v0, v137
	s_wait_dscnt 0x0
	v_fma_mix_f32 v7, v1, v3, 0 op_sel_hi:[0,1,0]
	v_fma_mix_f32 v8, v1, v3, 0 op_sel:[0,1,0] op_sel_hi:[0,1,0]
	v_lshlrev_b64_e32 v[0:1], 3, v[5:6]
	s_delay_alu instid0(VALU_DEP_3) | instskip(NEXT) | instid1(VALU_DEP_3)
	v_fma_mix_f32 v3, v2, v4, v7 op_sel_hi:[0,1,0]
	v_fma_mix_f32 v4, v2, v4, v8 op_sel:[0,1,0] op_sel_hi:[0,1,0]
	s_delay_alu instid0(VALU_DEP_3) | instskip(SKIP_1) | instid1(VALU_DEP_4)
	v_add_co_u32 v5, vcc_lo, s72, v0
	s_wait_alu 0xfffd
	v_add_co_ci_u32_e64 v6, null, s73, v1, vcc_lo
	v_mov_b32_e32 v0, 0
	global_store_b64 v[5:6], v[3:4], off offset:384
.LBB19_205:                             ;   in Loop: Header=BB19_12 Depth=1
	s_wait_alu 0xfffe
	s_or_b32 exec_lo, exec_lo, s4
	s_mov_b32 s4, -1
	s_mov_b32 s5, exec_lo
	v_cmpx_gt_i32_e32 0x47, v0
; %bb.206:                              ;   in Loop: Header=BB19_12 Depth=1
	v_cmp_eq_u32_e32 vcc_lo, 0, v0
	s_or_not1_b32 s4, vcc_lo, exec_lo
; %bb.207:                              ;   in Loop: Header=BB19_12 Depth=1
	s_wait_alu 0xfffe
	s_or_b32 exec_lo, exec_lo, s5
	s_delay_alu instid0(SALU_CYCLE_1)
	s_and_b32 exec_lo, exec_lo, s4
	s_cbranch_execz .LBB19_220
; %bb.208:                              ;   in Loop: Header=BB19_12 Depth=1
	v_dual_mov_b32 v0, 0x47 :: v_dual_add_nc_u32 v1, s43, v252
	s_delay_alu instid0(VALU_DEP_1)
	v_cmp_gt_i32_e32 vcc_lo, s24, v1
	s_and_b32 s5, vcc_lo, s3
	s_wait_alu 0xfffe
	s_and_saveexec_b32 s4, s5
	s_cbranch_execz .LBB19_210
; %bb.209:                              ;   in Loop: Header=BB19_12 Depth=1
	v_add_nc_u32_e32 v0, 0, v253
	v_add_nc_u32_e32 v2, v143, v253
	s_delay_alu instid0(VALU_DEP_2) | instskip(NEXT) | instid1(VALU_DEP_2)
	v_add_nc_u32_e32 v3, 0xe0, v0
	v_add_nc_u32_e32 v4, 0xc0, v2
	v_mad_co_u64_u32 v[0:1], null, v1, s25, v[83:84]
	ds_load_2addr_stride64_b32 v[1:2], v3 offset1:15
	ds_load_2addr_stride64_b32 v[3:4], v4 offset1:15
	v_mul_lo_u32 v0, v0, 56
	s_delay_alu instid0(VALU_DEP_1) | instskip(SKIP_4) | instid1(VALU_DEP_3)
	v_ashrrev_i32_e32 v6, 31, v0
	v_or_b32_e32 v5, v0, v137
	s_wait_dscnt 0x0
	v_fma_mix_f32 v7, v1, v3, 0 op_sel_hi:[0,1,0]
	v_fma_mix_f32 v8, v1, v3, 0 op_sel:[0,1,0] op_sel_hi:[0,1,0]
	v_lshlrev_b64_e32 v[0:1], 3, v[5:6]
	s_delay_alu instid0(VALU_DEP_3) | instskip(NEXT) | instid1(VALU_DEP_3)
	v_fma_mix_f32 v3, v2, v4, v7 op_sel_hi:[0,1,0]
	v_fma_mix_f32 v4, v2, v4, v8 op_sel:[0,1,0] op_sel_hi:[0,1,0]
	s_delay_alu instid0(VALU_DEP_3) | instskip(SKIP_1) | instid1(VALU_DEP_4)
	v_add_co_u32 v5, vcc_lo, s72, v0
	s_wait_alu 0xfffd
	v_add_co_ci_u32_e64 v6, null, s73, v1, vcc_lo
	v_mov_b32_e32 v0, 0
	global_store_b64 v[5:6], v[3:4], off offset:384
.LBB19_210:                             ;   in Loop: Header=BB19_12 Depth=1
	s_wait_alu 0xfffe
	s_or_b32 exec_lo, exec_lo, s4
	s_mov_b32 s4, -1
	s_mov_b32 s5, exec_lo
	v_cmpx_gt_i32_e32 0x47, v0
; %bb.211:                              ;   in Loop: Header=BB19_12 Depth=1
	v_cmp_eq_u32_e32 vcc_lo, 0, v0
	s_or_not1_b32 s4, vcc_lo, exec_lo
; %bb.212:                              ;   in Loop: Header=BB19_12 Depth=1
	s_wait_alu 0xfffe
	s_or_b32 exec_lo, exec_lo, s5
	s_delay_alu instid0(SALU_CYCLE_1)
	s_and_b32 exec_lo, exec_lo, s4
	s_cbranch_execz .LBB19_220
; %bb.213:                              ;   in Loop: Header=BB19_12 Depth=1
	scratch_load_b32 v0, off, off offset:100 ; 4-byte Folded Reload
	s_wait_loadcnt 0x0
	v_dual_mov_b32 v0, 0x47 :: v_dual_add_nc_u32 v1, s43, v0
	s_delay_alu instid0(VALU_DEP_1)
	v_cmp_gt_i32_e32 vcc_lo, s24, v1
	s_and_b32 s5, vcc_lo, s3
	s_wait_alu 0xfffe
	s_and_saveexec_b32 s4, s5
	s_cbranch_execz .LBB19_215
; %bb.214:                              ;   in Loop: Header=BB19_12 Depth=1
	scratch_load_b32 v2, off, off offset:124 ; 4-byte Folded Reload
	s_wait_loadcnt 0x0
	v_add_nc_u32_e32 v0, 0, v2
	v_add_nc_u32_e32 v2, v143, v2
	s_delay_alu instid0(VALU_DEP_2) | instskip(NEXT) | instid1(VALU_DEP_2)
	v_add_nc_u32_e32 v3, 0xe0, v0
	v_add_nc_u32_e32 v4, 0xc0, v2
	v_mad_co_u64_u32 v[0:1], null, v1, s25, v[83:84]
	ds_load_2addr_stride64_b32 v[1:2], v3 offset1:15
	ds_load_2addr_stride64_b32 v[3:4], v4 offset1:15
	v_mul_lo_u32 v0, v0, 56
	s_delay_alu instid0(VALU_DEP_1) | instskip(SKIP_4) | instid1(VALU_DEP_3)
	v_ashrrev_i32_e32 v6, 31, v0
	v_or_b32_e32 v5, v0, v137
	s_wait_dscnt 0x0
	v_fma_mix_f32 v7, v1, v3, 0 op_sel_hi:[0,1,0]
	v_fma_mix_f32 v8, v1, v3, 0 op_sel:[0,1,0] op_sel_hi:[0,1,0]
	v_lshlrev_b64_e32 v[0:1], 3, v[5:6]
	s_delay_alu instid0(VALU_DEP_3) | instskip(NEXT) | instid1(VALU_DEP_3)
	v_fma_mix_f32 v3, v2, v4, v7 op_sel_hi:[0,1,0]
	v_fma_mix_f32 v4, v2, v4, v8 op_sel:[0,1,0] op_sel_hi:[0,1,0]
	s_delay_alu instid0(VALU_DEP_3) | instskip(SKIP_1) | instid1(VALU_DEP_4)
	v_add_co_u32 v5, vcc_lo, s72, v0
	s_wait_alu 0xfffd
	v_add_co_ci_u32_e64 v6, null, s73, v1, vcc_lo
	v_mov_b32_e32 v0, 0
	global_store_b64 v[5:6], v[3:4], off offset:384
.LBB19_215:                             ;   in Loop: Header=BB19_12 Depth=1
	s_wait_alu 0xfffe
	s_or_b32 exec_lo, exec_lo, s4
	s_mov_b32 s4, -1
	s_mov_b32 s5, exec_lo
	v_cmpx_gt_i32_e32 0x47, v0
; %bb.216:                              ;   in Loop: Header=BB19_12 Depth=1
	v_cmp_eq_u32_e32 vcc_lo, 0, v0
	s_or_not1_b32 s4, vcc_lo, exec_lo
; %bb.217:                              ;   in Loop: Header=BB19_12 Depth=1
	s_wait_alu 0xfffe
	s_or_b32 exec_lo, exec_lo, s5
	s_delay_alu instid0(SALU_CYCLE_1)
	s_and_b32 exec_lo, exec_lo, s4
	s_cbranch_execz .LBB19_220
; %bb.218:                              ;   in Loop: Header=BB19_12 Depth=1
	scratch_load_b32 v0, off, off offset:128 ; 4-byte Folded Reload
	s_wait_loadcnt 0x0
	v_add_nc_u32_e32 v0, s43, v0
	s_delay_alu instid0(VALU_DEP_1)
	v_cmp_gt_i32_e32 vcc_lo, s24, v0
	s_and_b32 s3, vcc_lo, s3
	s_wait_alu 0xfffe
	s_and_b32 exec_lo, exec_lo, s3
	s_cbranch_execz .LBB19_220
; %bb.219:                              ;   in Loop: Header=BB19_12 Depth=1
	scratch_load_b32 v2, off, off offset:152 ; 4-byte Folded Reload
	s_wait_loadcnt 0x0
	v_add_nc_u32_e32 v1, 0, v2
	v_add_nc_u32_e32 v2, v143, v2
	s_delay_alu instid0(VALU_DEP_2) | instskip(NEXT) | instid1(VALU_DEP_2)
	v_add_nc_u32_e32 v3, 0xe0, v1
	v_add_nc_u32_e32 v4, 0xc0, v2
	v_mad_co_u64_u32 v[0:1], null, v0, s25, v[83:84]
	ds_load_2addr_stride64_b32 v[1:2], v3 offset1:15
	ds_load_2addr_stride64_b32 v[3:4], v4 offset1:15
	v_mul_lo_u32 v0, v0, 56
	s_delay_alu instid0(VALU_DEP_1) | instskip(SKIP_4) | instid1(VALU_DEP_3)
	v_ashrrev_i32_e32 v6, 31, v0
	v_or_b32_e32 v5, v0, v137
	s_wait_dscnt 0x0
	v_fma_mix_f32 v7, v1, v3, 0 op_sel_hi:[0,1,0]
	v_fma_mix_f32 v8, v1, v3, 0 op_sel:[0,1,0] op_sel_hi:[0,1,0]
	v_lshlrev_b64_e32 v[0:1], 3, v[5:6]
	s_delay_alu instid0(VALU_DEP_3) | instskip(NEXT) | instid1(VALU_DEP_3)
	v_fma_mix_f32 v3, v2, v4, v7 op_sel_hi:[0,1,0]
	v_fma_mix_f32 v4, v2, v4, v8 op_sel:[0,1,0] op_sel_hi:[0,1,0]
	s_delay_alu instid0(VALU_DEP_3) | instskip(SKIP_1) | instid1(VALU_DEP_4)
	v_add_co_u32 v0, vcc_lo, s72, v0
	s_wait_alu 0xfffd
	v_add_co_ci_u32_e64 v1, null, s73, v1, vcc_lo
	global_store_b64 v[0:1], v[3:4], off offset:384
.LBB19_220:                             ;   in Loop: Header=BB19_12 Depth=1
	s_wait_alu 0xfffe
	s_or_b32 exec_lo, exec_lo, s6
	s_wait_loadcnt 0x0
	s_wait_storecnt 0x0
	s_barrier_signal -1
	s_barrier_wait -1
	s_branch .LBB19_11
.LBB19_221:                             ;   in Loop: Header=BB19_12 Depth=1
	s_lshl_b32 s94, s42, 3
	v_cmp_le_i32_e64 s4, s33, v109
	s_wait_alu 0xfffe
	v_add_nc_u32_e32 v0, s94, v131
	v_cmp_gt_i32_e32 vcc_lo, s33, v109
	s_delay_alu instid0(VALU_DEP_2)
	v_cmp_le_i32_e64 s3, s24, v0
	s_or_b32 s3, s3, s4
	s_wait_alu 0xfffe
	s_and_saveexec_b32 s4, s3
	s_wait_alu 0xfffe
	s_xor_b32 s3, exec_lo, s4
; %bb.222:                              ;   in Loop: Header=BB19_12 Depth=1
	v_add_nc_u32_e32 v0, v138, v226
	ds_store_b32 v0, v219
                                        ; implicit-def: $vgpr0
; %bb.223:                              ;   in Loop: Header=BB19_12 Depth=1
	s_wait_alu 0xfffe
	s_and_not1_saveexec_b32 s4, s3
	s_cbranch_execz .LBB19_225
; %bb.224:                              ;   in Loop: Header=BB19_12 Depth=1
	v_mad_co_u64_u32 v[0:1], null, v0, s35, v[103:104]
	s_delay_alu instid0(VALU_DEP_1) | instskip(NEXT) | instid1(VALU_DEP_1)
	v_ashrrev_i32_e32 v1, 31, v0
	v_lshlrev_b64_e32 v[0:1], 3, v[0:1]
	s_delay_alu instid0(VALU_DEP_1) | instskip(SKIP_1) | instid1(VALU_DEP_2)
	v_add_co_u32 v0, s3, s92, v0
	s_wait_alu 0xf1ff
	v_add_co_ci_u32_e64 v1, null, s93, v1, s3
	global_load_b64 v[0:1], v[0:1], off
	s_wait_loadcnt 0x0
	v_cvt_f16_f32_e32 v0, v0
	v_cvt_f16_f32_e32 v1, v1
	s_delay_alu instid0(VALU_DEP_1) | instskip(SKIP_1) | instid1(VALU_DEP_2)
	v_pack_b32_f16 v0, v0, v1
	v_add_nc_u32_e32 v1, v138, v226
	v_pk_mul_f16 v0, v0, s50
	ds_store_b32 v1, v0
.LBB19_225:                             ;   in Loop: Header=BB19_12 Depth=1
	s_wait_alu 0xfffe
	s_or_b32 exec_lo, exec_lo, s4
	v_add_nc_u32_e32 v0, s94, v227
	s_xor_b32 s4, vcc_lo, -1
	s_delay_alu instid0(VALU_DEP_1)
	v_cmp_le_i32_e64 s3, s24, v0
	s_wait_alu 0xfffe
	s_or_b32 s3, s3, s4
	s_wait_alu 0xfffe
	s_and_saveexec_b32 s5, s3
	s_wait_alu 0xfffe
	s_xor_b32 s3, exec_lo, s5
; %bb.226:                              ;   in Loop: Header=BB19_12 Depth=1
	v_add_nc_u32_e32 v0, v138, v226
	ds_store_b32 v0, v219 offset:480
                                        ; implicit-def: $vgpr0
; %bb.227:                              ;   in Loop: Header=BB19_12 Depth=1
	s_wait_alu 0xfffe
	s_and_not1_saveexec_b32 s3, s3
	s_cbranch_execz .LBB19_229
; %bb.228:                              ;   in Loop: Header=BB19_12 Depth=1
	v_mad_co_u64_u32 v[0:1], null, v0, s35, v[103:104]
	s_delay_alu instid0(VALU_DEP_1) | instskip(NEXT) | instid1(VALU_DEP_1)
	v_ashrrev_i32_e32 v1, 31, v0
	v_lshlrev_b64_e32 v[0:1], 3, v[0:1]
	s_delay_alu instid0(VALU_DEP_1) | instskip(SKIP_1) | instid1(VALU_DEP_2)
	v_add_co_u32 v0, vcc_lo, s92, v0
	s_wait_alu 0xfffd
	v_add_co_ci_u32_e64 v1, null, s93, v1, vcc_lo
	global_load_b64 v[0:1], v[0:1], off
	s_wait_loadcnt 0x0
	v_cvt_f16_f32_e32 v0, v0
	v_cvt_f16_f32_e32 v1, v1
	s_delay_alu instid0(VALU_DEP_1) | instskip(SKIP_1) | instid1(VALU_DEP_2)
	v_pack_b32_f16 v0, v0, v1
	v_add_nc_u32_e32 v1, v138, v226
	v_pk_mul_f16 v0, v0, s50
	ds_store_b32 v1, v0 offset:480
.LBB19_229:                             ;   in Loop: Header=BB19_12 Depth=1
	s_wait_alu 0xfffe
	s_or_b32 exec_lo, exec_lo, s3
	v_add_nc_u32_e32 v0, s94, v228
	s_delay_alu instid0(VALU_DEP_1)
	v_cmp_le_i32_e32 vcc_lo, s24, v0
	s_or_b32 s3, vcc_lo, s4
	s_wait_alu 0xfffe
	s_and_saveexec_b32 s5, s3
	s_wait_alu 0xfffe
	s_xor_b32 s3, exec_lo, s5
; %bb.230:                              ;   in Loop: Header=BB19_12 Depth=1
	v_add_nc_u32_e32 v0, v138, v226
	ds_store_b32 v0, v219 offset:960
                                        ; implicit-def: $vgpr0
; %bb.231:                              ;   in Loop: Header=BB19_12 Depth=1
	s_wait_alu 0xfffe
	s_and_not1_saveexec_b32 s3, s3
	s_cbranch_execz .LBB19_233
; %bb.232:                              ;   in Loop: Header=BB19_12 Depth=1
	v_mad_co_u64_u32 v[0:1], null, v0, s35, v[103:104]
	s_delay_alu instid0(VALU_DEP_1) | instskip(NEXT) | instid1(VALU_DEP_1)
	v_ashrrev_i32_e32 v1, 31, v0
	v_lshlrev_b64_e32 v[0:1], 3, v[0:1]
	s_delay_alu instid0(VALU_DEP_1) | instskip(SKIP_1) | instid1(VALU_DEP_2)
	v_add_co_u32 v0, vcc_lo, s92, v0
	s_wait_alu 0xfffd
	v_add_co_ci_u32_e64 v1, null, s93, v1, vcc_lo
	global_load_b64 v[0:1], v[0:1], off
	s_wait_loadcnt 0x0
	v_cvt_f16_f32_e32 v0, v0
	v_cvt_f16_f32_e32 v1, v1
	s_delay_alu instid0(VALU_DEP_1) | instskip(SKIP_1) | instid1(VALU_DEP_2)
	v_pack_b32_f16 v0, v0, v1
	v_add_nc_u32_e32 v1, v138, v226
	v_pk_mul_f16 v0, v0, s50
	ds_store_b32 v1, v0 offset:960
.LBB19_233:                             ;   in Loop: Header=BB19_12 Depth=1
	s_wait_alu 0xfffe
	s_or_b32 exec_lo, exec_lo, s3
	v_add_nc_u32_e32 v0, s94, v229
	s_delay_alu instid0(VALU_DEP_1)
	v_cmp_le_i32_e32 vcc_lo, s24, v0
	s_or_b32 s3, vcc_lo, s4
	;; [unrolled: 37-line block ×6, first 2 shown]
	s_wait_alu 0xfffe
	s_and_saveexec_b32 s4, s3
	s_wait_alu 0xfffe
	s_xor_b32 s3, exec_lo, s4
; %bb.250:                              ;   in Loop: Header=BB19_12 Depth=1
	v_add_nc_u32_e32 v0, v138, v226
	ds_store_b32 v0, v219 offset:3360
                                        ; implicit-def: $vgpr0
; %bb.251:                              ;   in Loop: Header=BB19_12 Depth=1
	s_wait_alu 0xfffe
	s_and_not1_saveexec_b32 s3, s3
	s_cbranch_execz .LBB19_253
; %bb.252:                              ;   in Loop: Header=BB19_12 Depth=1
	v_mad_co_u64_u32 v[0:1], null, v0, s35, v[103:104]
	s_delay_alu instid0(VALU_DEP_1) | instskip(NEXT) | instid1(VALU_DEP_1)
	v_ashrrev_i32_e32 v1, 31, v0
	v_lshlrev_b64_e32 v[0:1], 3, v[0:1]
	s_delay_alu instid0(VALU_DEP_1) | instskip(SKIP_1) | instid1(VALU_DEP_2)
	v_add_co_u32 v0, vcc_lo, s92, v0
	s_wait_alu 0xfffd
	v_add_co_ci_u32_e64 v1, null, s93, v1, vcc_lo
	global_load_b64 v[0:1], v[0:1], off
	s_wait_loadcnt 0x0
	v_cvt_f16_f32_e32 v0, v0
	v_cvt_f16_f32_e32 v1, v1
	s_delay_alu instid0(VALU_DEP_1) | instskip(SKIP_1) | instid1(VALU_DEP_2)
	v_pack_b32_f16 v0, v0, v1
	v_add_nc_u32_e32 v1, v138, v226
	v_pk_mul_f16 v0, v0, s50
	ds_store_b32 v1, v0 offset:3360
.LBB19_253:                             ;   in Loop: Header=BB19_12 Depth=1
	s_wait_alu 0xfffe
	s_or_b32 exec_lo, exec_lo, s3
	v_add_nc_u32_e32 v0, s94, v150
	v_or_b32_e32 v1, s41, v225
	s_delay_alu instid0(VALU_DEP_2) | instskip(NEXT) | instid1(VALU_DEP_2)
	v_cmp_le_i32_e64 s3, s24, v0
	v_cmp_le_i32_e64 s4, s33, v1
	v_cmp_gt_i32_e32 vcc_lo, s33, v1
	s_or_b32 s3, s3, s4
	s_wait_alu 0xfffe
	s_and_saveexec_b32 s4, s3
	s_wait_alu 0xfffe
	s_xor_b32 s3, exec_lo, s4
; %bb.254:                              ;   in Loop: Header=BB19_12 Depth=1
	ds_store_b32 v233, v219 offset:128
                                        ; implicit-def: $vgpr0
; %bb.255:                              ;   in Loop: Header=BB19_12 Depth=1
	s_wait_alu 0xfffe
	s_and_not1_saveexec_b32 s4, s3
	s_cbranch_execz .LBB19_257
; %bb.256:                              ;   in Loop: Header=BB19_12 Depth=1
	v_mad_co_u64_u32 v[0:1], null, v0, s35, v[94:95]
	s_delay_alu instid0(VALU_DEP_1) | instskip(NEXT) | instid1(VALU_DEP_1)
	v_ashrrev_i32_e32 v1, 31, v0
	v_lshlrev_b64_e32 v[0:1], 3, v[0:1]
	s_delay_alu instid0(VALU_DEP_1) | instskip(SKIP_1) | instid1(VALU_DEP_2)
	v_add_co_u32 v0, s3, s92, v0
	s_wait_alu 0xf1ff
	v_add_co_ci_u32_e64 v1, null, s93, v1, s3
	global_load_b64 v[0:1], v[0:1], off
	s_wait_loadcnt 0x0
	v_cvt_f16_f32_e32 v0, v0
	v_cvt_f16_f32_e32 v1, v1
	s_delay_alu instid0(VALU_DEP_1) | instskip(SKIP_1) | instid1(VALU_DEP_2)
	v_pack_b32_f16 v0, v0, v1
	v_add_nc_u32_e32 v1, v206, v235
	v_pk_mul_f16 v0, v0, s50
	ds_store_b32 v1, v0 offset:128
.LBB19_257:                             ;   in Loop: Header=BB19_12 Depth=1
	s_wait_alu 0xfffe
	s_or_b32 exec_lo, exec_lo, s4
	v_add_nc_u32_e32 v0, s94, v236
	s_xor_b32 s4, vcc_lo, -1
	s_delay_alu instid0(VALU_DEP_1)
	v_cmp_le_i32_e64 s3, s24, v0
	s_wait_alu 0xfffe
	s_or_b32 s3, s3, s4
	s_wait_alu 0xfffe
	s_and_saveexec_b32 s5, s3
	s_wait_alu 0xfffe
	s_xor_b32 s3, exec_lo, s5
; %bb.258:                              ;   in Loop: Header=BB19_12 Depth=1
	ds_store_b32 v207, v219 offset:128
                                        ; implicit-def: $vgpr0
; %bb.259:                              ;   in Loop: Header=BB19_12 Depth=1
	s_wait_alu 0xfffe
	s_and_not1_saveexec_b32 s3, s3
	s_cbranch_execz .LBB19_261
; %bb.260:                              ;   in Loop: Header=BB19_12 Depth=1
	v_mad_co_u64_u32 v[0:1], null, v0, s35, v[94:95]
	s_delay_alu instid0(VALU_DEP_1) | instskip(NEXT) | instid1(VALU_DEP_1)
	v_ashrrev_i32_e32 v1, 31, v0
	v_lshlrev_b64_e32 v[0:1], 3, v[0:1]
	s_delay_alu instid0(VALU_DEP_1) | instskip(SKIP_1) | instid1(VALU_DEP_2)
	v_add_co_u32 v0, vcc_lo, s92, v0
	s_wait_alu 0xfffd
	v_add_co_ci_u32_e64 v1, null, s93, v1, vcc_lo
	global_load_b64 v[0:1], v[0:1], off
	s_wait_loadcnt 0x0
	v_cvt_f16_f32_e32 v0, v0
	v_cvt_f16_f32_e32 v1, v1
	s_delay_alu instid0(VALU_DEP_1) | instskip(SKIP_1) | instid1(VALU_DEP_2)
	v_pack_b32_f16 v0, v0, v1
	v_add_nc_u32_e32 v1, v206, v235
	v_pk_mul_f16 v0, v0, s50
	ds_store_b32 v1, v0 offset:1088
.LBB19_261:                             ;   in Loop: Header=BB19_12 Depth=1
	s_wait_alu 0xfffe
	s_or_b32 exec_lo, exec_lo, s3
	v_add_nc_u32_e32 v0, s94, v151
	s_delay_alu instid0(VALU_DEP_1)
	v_cmp_le_i32_e32 vcc_lo, s24, v0
	s_or_b32 s3, vcc_lo, s4
	s_wait_alu 0xfffe
	s_and_saveexec_b32 s5, s3
	s_wait_alu 0xfffe
	s_xor_b32 s3, exec_lo, s5
; %bb.262:                              ;   in Loop: Header=BB19_12 Depth=1
	ds_store_b32 v208, v219 offset:128
                                        ; implicit-def: $vgpr0
; %bb.263:                              ;   in Loop: Header=BB19_12 Depth=1
	s_wait_alu 0xfffe
	s_and_not1_saveexec_b32 s3, s3
	s_cbranch_execz .LBB19_265
; %bb.264:                              ;   in Loop: Header=BB19_12 Depth=1
	v_mad_co_u64_u32 v[0:1], null, v0, s35, v[94:95]
	s_delay_alu instid0(VALU_DEP_1) | instskip(NEXT) | instid1(VALU_DEP_1)
	v_ashrrev_i32_e32 v1, 31, v0
	v_lshlrev_b64_e32 v[0:1], 3, v[0:1]
	s_delay_alu instid0(VALU_DEP_1) | instskip(SKIP_1) | instid1(VALU_DEP_2)
	v_add_co_u32 v0, vcc_lo, s92, v0
	s_wait_alu 0xfffd
	v_add_co_ci_u32_e64 v1, null, s93, v1, vcc_lo
	global_load_b64 v[0:1], v[0:1], off
	s_wait_loadcnt 0x0
	v_cvt_f16_f32_e32 v0, v0
	v_cvt_f16_f32_e32 v1, v1
	s_delay_alu instid0(VALU_DEP_1) | instskip(SKIP_1) | instid1(VALU_DEP_2)
	v_pack_b32_f16 v0, v0, v1
	v_add_nc_u32_e32 v1, v206, v235
	v_pk_mul_f16 v0, v0, s50
	ds_store_b32 v1, v0 offset:2048
.LBB19_265:                             ;   in Loop: Header=BB19_12 Depth=1
	s_wait_alu 0xfffe
	s_or_b32 exec_lo, exec_lo, s3
	v_add_nc_u32_e32 v0, s94, v152
	s_delay_alu instid0(VALU_DEP_1)
	v_cmp_le_i32_e32 vcc_lo, s24, v0
	s_or_b32 s3, vcc_lo, s4
	s_wait_alu 0xfffe
	s_and_saveexec_b32 s4, s3
	s_wait_alu 0xfffe
	s_xor_b32 s3, exec_lo, s4
; %bb.266:                              ;   in Loop: Header=BB19_12 Depth=1
	ds_store_b32 v242, v219 offset:128
                                        ; implicit-def: $vgpr0
; %bb.267:                              ;   in Loop: Header=BB19_12 Depth=1
	s_wait_alu 0xfffe
	s_and_not1_saveexec_b32 s3, s3
	s_cbranch_execz .LBB19_269
; %bb.268:                              ;   in Loop: Header=BB19_12 Depth=1
	v_mad_co_u64_u32 v[0:1], null, v0, s35, v[94:95]
	s_delay_alu instid0(VALU_DEP_1) | instskip(NEXT) | instid1(VALU_DEP_1)
	v_ashrrev_i32_e32 v1, 31, v0
	v_lshlrev_b64_e32 v[0:1], 3, v[0:1]
	s_delay_alu instid0(VALU_DEP_1) | instskip(SKIP_1) | instid1(VALU_DEP_2)
	v_add_co_u32 v0, vcc_lo, s92, v0
	s_wait_alu 0xfffd
	v_add_co_ci_u32_e64 v1, null, s93, v1, vcc_lo
	global_load_b64 v[0:1], v[0:1], off
	s_wait_loadcnt 0x0
	v_cvt_f16_f32_e32 v0, v0
	v_cvt_f16_f32_e32 v1, v1
	s_delay_alu instid0(VALU_DEP_1) | instskip(SKIP_1) | instid1(VALU_DEP_2)
	v_pack_b32_f16 v0, v0, v1
	v_add_nc_u32_e32 v1, v206, v235
	v_pk_mul_f16 v0, v0, s50
	ds_store_b32 v1, v0 offset:3008
.LBB19_269:                             ;   in Loop: Header=BB19_12 Depth=1
	s_wait_alu 0xfffe
	s_or_b32 exec_lo, exec_lo, s3
	v_or_b32_e32 v1, s41, v83
	v_add_nc_u32_e32 v0, s94, v153
	s_delay_alu instid0(VALU_DEP_2) | instskip(NEXT) | instid1(VALU_DEP_2)
	v_cmp_le_i32_e32 vcc_lo, s33, v1
	v_cmp_le_i32_e64 s4, s24, v0
	v_cmp_gt_i32_e64 s3, s33, v1
	s_or_b32 s4, s4, vcc_lo
	s_wait_alu 0xfffe
	s_and_saveexec_b32 s5, s4
	s_wait_alu 0xfffe
	s_xor_b32 s4, exec_lo, s5
; %bb.270:                              ;   in Loop: Header=BB19_12 Depth=1
	ds_store_b32 v141, v219 offset:192
                                        ; implicit-def: $vgpr0
; %bb.271:                              ;   in Loop: Header=BB19_12 Depth=1
	s_wait_alu 0xfffe
	s_and_not1_saveexec_b32 s4, s4
	s_cbranch_execz .LBB19_273
; %bb.272:                              ;   in Loop: Header=BB19_12 Depth=1
	v_mad_co_u64_u32 v[0:1], null, v0, s35, v[92:93]
	s_delay_alu instid0(VALU_DEP_1) | instskip(NEXT) | instid1(VALU_DEP_1)
	v_ashrrev_i32_e32 v1, 31, v0
	v_lshlrev_b64_e32 v[0:1], 3, v[0:1]
	s_delay_alu instid0(VALU_DEP_1) | instskip(SKIP_1) | instid1(VALU_DEP_2)
	v_add_co_u32 v0, vcc_lo, s92, v0
	s_wait_alu 0xfffd
	v_add_co_ci_u32_e64 v1, null, s93, v1, vcc_lo
	global_load_b64 v[0:1], v[0:1], off
	s_wait_loadcnt 0x0
	v_cvt_f16_f32_e32 v0, v0
	v_cvt_f16_f32_e32 v1, v1
	s_delay_alu instid0(VALU_DEP_1) | instskip(SKIP_1) | instid1(VALU_DEP_2)
	v_pack_b32_f16 v0, v0, v1
	v_add_nc_u32_e32 v1, v143, v145
	v_pk_mul_f16 v0, v0, s50
	ds_store_b32 v1, v0 offset:192
.LBB19_273:                             ;   in Loop: Header=BB19_12 Depth=1
	s_wait_alu 0xfffe
	s_or_b32 exec_lo, exec_lo, s4
	v_add_nc_u32_e32 v0, s94, v154
	s_xor_b32 s4, s3, -1
	s_delay_alu instid0(VALU_DEP_1)
	v_cmp_le_i32_e32 vcc_lo, s24, v0
	s_wait_alu 0xfffe
	s_or_b32 s4, vcc_lo, s4
	s_wait_alu 0xfffe
	s_and_saveexec_b32 s5, s4
	s_wait_alu 0xfffe
	s_xor_b32 s4, exec_lo, s5
; %bb.274:                              ;   in Loop: Header=BB19_12 Depth=1
	ds_store_b32 v142, v219 offset:192
                                        ; implicit-def: $vgpr0
; %bb.275:                              ;   in Loop: Header=BB19_12 Depth=1
	s_wait_alu 0xfffe
	s_and_not1_saveexec_b32 s4, s4
	s_cbranch_execz .LBB19_277
; %bb.276:                              ;   in Loop: Header=BB19_12 Depth=1
	v_mad_co_u64_u32 v[0:1], null, v0, s35, v[92:93]
	s_delay_alu instid0(VALU_DEP_1) | instskip(NEXT) | instid1(VALU_DEP_1)
	v_ashrrev_i32_e32 v1, 31, v0
	v_lshlrev_b64_e32 v[0:1], 3, v[0:1]
	s_delay_alu instid0(VALU_DEP_1) | instskip(SKIP_1) | instid1(VALU_DEP_2)
	v_add_co_u32 v0, vcc_lo, s92, v0
	s_wait_alu 0xfffd
	v_add_co_ci_u32_e64 v1, null, s93, v1, vcc_lo
	global_load_b64 v[0:1], v[0:1], off
	s_wait_loadcnt 0x0
	v_cvt_f16_f32_e32 v0, v0
	v_cvt_f16_f32_e32 v1, v1
	s_delay_alu instid0(VALU_DEP_1) | instskip(SKIP_1) | instid1(VALU_DEP_2)
	v_pack_b32_f16 v0, v0, v1
	v_add_nc_u32_e32 v1, v143, v145
	v_pk_mul_f16 v0, v0, s50
	ds_store_b32 v1, v0 offset:2112
.LBB19_277:                             ;   in Loop: Header=BB19_12 Depth=1
	s_wait_alu 0xfffe
	s_or_b32 exec_lo, exec_lo, s4
	s_wait_storecnt_dscnt 0x0
	s_barrier_signal -1
	s_barrier_wait -1
	global_inv scope:SCOPE_SE
	ds_load_b128 v[52:55], v129
	ds_load_b128 v[48:51], v129 offset:32
	ds_load_b128 v[40:43], v129 offset:64
	ds_load_b128 v[44:47], v129 offset:96
	ds_load_b128 v[36:39], v129 offset:128
	ds_load_b128 v[32:35], v129 offset:160
	ds_load_b128 v[28:31], v129 offset:192
	s_cmp_gt_i32 s96, 1
	s_mov_b32 s4, -1
	s_wait_loadcnt_dscnt 0x0
	s_barrier_signal -1
	s_barrier_wait -1
	global_inv scope:SCOPE_SE
                                        ; implicit-def: $vgpr107_vgpr108
                                        ; implicit-def: $vgpr105_vgpr106
                                        ; implicit-def: $vgpr245
                                        ; implicit-def: $vgpr99
	s_cbranch_scc1 .LBB19_279
; %bb.278:                              ;   in Loop: Header=BB19_12 Depth=1
	v_dual_mov_b32 v99, 32 :: v_dual_add_nc_u32 v0, s94, v148
	v_add_nc_u32_e32 v1, s94, v221
	v_xor_b32_e32 v245, 16, v246
	s_mov_b32 s4, 0
	s_delay_alu instid0(VALU_DEP_3) | instskip(NEXT) | instid1(VALU_DEP_3)
	v_mul_hi_u32 v2, s38, v0
	v_mul_hi_u32 v3, s38, v1
	s_delay_alu instid0(VALU_DEP_2) | instskip(NEXT) | instid1(VALU_DEP_2)
	v_add_nc_u32_e32 v2, v0, v2
	v_add_nc_u32_e32 v3, v1, v3
	s_delay_alu instid0(VALU_DEP_2) | instskip(NEXT) | instid1(VALU_DEP_2)
	v_lshrrev_b32_e32 v2, s39, v2
	v_lshrrev_b32_e32 v3, s39, v3
	s_delay_alu instid0(VALU_DEP_2) | instskip(NEXT) | instid1(VALU_DEP_2)
	v_mul_lo_u32 v2, v2, s24
	v_mul_lo_u32 v3, v3, s24
	s_delay_alu instid0(VALU_DEP_2) | instskip(NEXT) | instid1(VALU_DEP_2)
	v_sub_nc_u32_e32 v0, v0, v2
	v_sub_nc_u32_e32 v1, v1, v3
	s_delay_alu instid0(VALU_DEP_2) | instskip(NEXT) | instid1(VALU_DEP_2)
	v_mad_co_i64_i32 v[107:108], null, v0, s40, 0
	v_mad_co_i64_i32 v[105:106], null, v1, s40, 0
.LBB19_279:                             ;   in Loop: Header=BB19_12 Depth=1
	s_wait_alu 0xfffe
	s_and_not1_b32 vcc_lo, exec_lo, s4
	s_wait_alu 0xfffe
	s_cbranch_vccnz .LBB19_283
; %bb.280:                              ;   in Loop: Header=BB19_12 Depth=1
	s_clause 0x1
	scratch_load_b32 v4, off, off offset:8
	scratch_load_b32 v56, off, off
	s_add_nc_u64 s[88:89], s[88:89], s[86:87]
	v_dual_mov_b32 v99, 32 :: v_dual_add_nc_u32 v0, s94, v148
	v_add_nc_u32_e32 v1, s94, v221
	v_readlane_b32 s42, v255, 8
	v_xor_b32_e32 v245, 16, v246
	s_delay_alu instid0(VALU_DEP_4)
	v_mul_hi_u32 v2, s38, v0
	s_add_nc_u64 s[4:5], s[82:83], s[84:85]
	v_mul_hi_u32 v3, s38, v1
	s_mov_b32 s6, s42
	v_dual_mov_b32 v112, v70 :: v_dual_mov_b32 v171, 0xfeffffff
	v_mov_b32_e32 v114, v66
	v_dual_mov_b32 v100, 0 :: v_dual_mov_b32 v111, v69
	v_add_nc_u32_e32 v2, v0, v2
	v_add_nc_u32_e32 v3, v1, v3
	v_mov_b32_e32 v113, v65
	s_add_co_i32 s34, s96, -1
	s_wait_alu 0xfffe
	s_add_nc_u64 s[86:87], s[4:5], 0xc0
	v_lshrrev_b32_e32 v2, s39, v2
	v_lshrrev_b32_e32 v3, s39, v3
	s_mov_b32 s42, s34
	v_readlane_b32 s43, v255, 9
	s_delay_alu instid0(VALU_DEP_3) | instskip(NEXT) | instid1(VALU_DEP_3)
	v_mul_lo_u32 v2, v2, s24
	v_mul_lo_u32 v3, v3, s24
	s_delay_alu instid0(VALU_DEP_2) | instskip(NEXT) | instid1(VALU_DEP_2)
	v_sub_nc_u32_e32 v169, v0, v2
	v_sub_nc_u32_e32 v170, v1, v3
	s_delay_alu instid0(VALU_DEP_2) | instskip(NEXT) | instid1(VALU_DEP_2)
	v_mad_co_i64_i32 v[0:1], null, s6, v169, s[90:91]
	v_mad_co_i64_i32 v[2:3], null, s6, v170, s[90:91]
	s_wait_loadcnt 0x1
	v_add_co_u32 v105, vcc_lo, v4, s88
	scratch_load_b32 v4, off, off offset:12 ; 4-byte Folded Reload
	s_wait_loadcnt 0x0
	s_wait_alu 0xfffd
	v_add_co_ci_u32_e64 v106, null, s89, v4, vcc_lo
	v_add_co_u32 v107, vcc_lo, v249, v0
	s_wait_alu 0xfffd
	v_add_co_ci_u32_e64 v108, null, v250, v1, vcc_lo
	v_add_co_u32 v109, vcc_lo, v249, v2
	s_wait_alu 0xfffd
	v_add_co_ci_u32_e64 v110, null, v250, v3, vcc_lo
	v_mov_b32_e32 v0, 0
	v_cmp_gt_i32_e32 vcc_lo, 32, v245
	s_wait_alu 0xfffd
	s_delay_alu instid0(VALU_DEP_2)
	v_dual_mov_b32 v13, v0 :: v_dual_cndmask_b32 v4, v246, v245
	v_add_co_u32 v195, vcc_lo, v56, s84
	scratch_load_b32 v56, off, off offset:4 ; 4-byte Folded Reload
	v_dual_mov_b32 v1, v0 :: v_dual_mov_b32 v8, v0
	v_dual_mov_b32 v2, v0 :: v_dual_mov_b32 v3, v0
	;; [unrolled: 1-line block ×5, first 2 shown]
	v_lshlrev_b32_e32 v168, 2, v4
	v_dual_mov_b32 v16, v0 :: v_dual_mov_b32 v17, v0
	v_dual_mov_b32 v18, v0 :: v_dual_mov_b32 v19, v0
	;; [unrolled: 1-line block ×8, first 2 shown]
	s_wait_loadcnt 0x0
	s_wait_alu 0xfffd
	v_add_co_ci_u32_e64 v196, null, s85, v56, vcc_lo
	scratch_load_b32 v56, off, off offset:32 ; 4-byte Folded Reload
	s_wait_loadcnt 0x0
	v_add_co_u32 v244, vcc_lo, v56, s4
	scratch_load_b32 v56, off, off offset:36 ; 4-byte Folded Reload
	s_wait_loadcnt 0x0
	s_wait_alu 0xfffd
	v_add_co_ci_u32_e64 v98, null, s5, v56, vcc_lo
	scratch_load_b32 v56, off, off offset:40 ; 4-byte Folded Reload
	s_wait_loadcnt 0x0
	v_add_co_u32 v166, vcc_lo, v56, s4
	scratch_load_b32 v56, off, off offset:44 ; 4-byte Folded Reload
	;; [unrolled: 7-line block ×8, first 2 shown]
	s_wait_loadcnt 0x0
	s_wait_alu 0xfffd
	v_add_co_ci_u32_e64 v119, null, s89, v56, vcc_lo
	scratch_load_b32 v56, off, off offset:80 ; 4-byte Folded Reload
	s_wait_loadcnt 0x0
	v_add_co_u32 v162, vcc_lo, v56, s88
	s_wait_alu 0xfffd
	v_add_co_ci_u32_e64 v187, null, s89, v57, vcc_lo
	v_add_co_u32 v188, vcc_lo, v247, s88
	s_wait_alu 0xfffd
	v_add_co_ci_u32_e64 v203, null, s89, v101, vcc_lo
.LBB19_281:                             ;   Parent Loop BB19_12 Depth=1
                                        ; =>  This Inner Loop Header: Depth=2
	global_load_b32 v121, v[107:108], off
	global_load_b32 v122, v[109:110], off
	v_add_nc_u32_e32 v204, v222, v220
	s_wait_alu 0xfffe
	s_add_co_i32 s42, s42, -1
	s_wait_alu 0xfffe
	s_cmp_lg_u32 s42, 0
	v_add_nc_u32_e32 v120, 0x1c00, v204
	s_wait_loadcnt 0x0
	ds_store_2addr_b32 v120, v121, v122 offset0:128 offset1:208
	global_load_b128 v[120:123], v[105:106], off
	s_wait_loadcnt 0x0
	ds_store_b128 v130, v[120:123]
	v_add_co_u32 v120, vcc_lo, v192, v209
	s_wait_alu 0xfffd
	v_add_co_ci_u32_e64 v121, null, 0, v243, vcc_lo
	v_add_co_u32 v124, vcc_lo, v97, v209
	s_wait_alu 0xfffd
	v_add_co_ci_u32_e64 v125, null, 0, v163, vcc_lo
	global_load_b128 v[120:123], v[120:121], off
	global_load_b128 v[124:127], v[124:125], off
	s_wait_loadcnt 0x1
	ds_store_b128 v146, v[120:123]
	s_wait_loadcnt 0x0
	ds_store_b128 v147, v[124:127]
	v_add_co_u32 v120, vcc_lo, v164, v251
	s_wait_alu 0xfffd
	v_add_co_ci_u32_e64 v121, null, 0, v189, vcc_lo
	v_add_co_u32 v124, vcc_lo, v190, v251
	s_wait_alu 0xfffd
	v_add_co_ci_u32_e64 v125, null, 0, v119, vcc_lo
	global_load_b128 v[120:123], v[120:121], off
	global_load_b128 v[124:127], v[124:125], off
	s_wait_loadcnt 0x1
	ds_store_b128 v139, v[120:123]
	;; [unrolled: 12-line block ×3, first 2 shown]
	s_wait_loadcnt 0x0
	ds_store_b128 v224, v[124:127]
	s_wait_dscnt 0x0
	s_barrier_signal -1
	s_barrier_wait -1
	global_inv scope:SCOPE_SE
	ds_load_b128 v[210:213], v132
	ds_load_b128 v[177:180], v132 offset:32
	s_wait_dscnt 0x1
	v_wmma_f32_16x16x16_f16 v[120:127], v[210:213], v[52:55], 0
	s_wait_dscnt 0x0
	s_delay_alu instid0(VALU_DEP_1)
	v_wmma_f32_16x16x16_f16 v[120:127], v[177:180], v[48:51], v[120:127]
	ds_load_b128 v[177:180], v132 offset:64
	ds_load_b128 v[210:213], v132 offset:96
	s_wait_dscnt 0x1
	v_wmma_f32_16x16x16_f16 v[120:127], v[177:180], v[40:43], v[120:127]
	s_wait_dscnt 0x0
	s_delay_alu instid0(VALU_DEP_1)
	v_wmma_f32_16x16x16_f16 v[120:127], v[210:213], v[44:47], v[120:127]
	ds_load_b128 v[177:180], v132 offset:128
	ds_load_b128 v[210:213], v132 offset:160
	s_wait_dscnt 0x1
	v_wmma_f32_16x16x16_f16 v[120:127], v[177:180], v[36:39], v[120:127]
	ds_load_b128 v[177:180], v132 offset:192
	s_wait_loadcnt_dscnt 0x0
	s_barrier_signal -1
	s_barrier_wait -1
	v_wmma_f32_16x16x16_f16 v[120:127], v[210:213], v[32:35], v[120:127]
	global_inv scope:SCOPE_SE
	v_wmma_f32_16x16x16_f16 v[120:127], v[177:180], v[28:31], v[120:127]
	v_add_nc_u32_e32 v172, 0x1e00, v133
	v_add_nc_u32_e32 v174, 0x1e08, v133
	ds_load_2addr_b32 v[172:173], v172 offset1:1
	ds_load_2addr_b32 v[174:175], v174 offset1:1
	s_wait_dscnt 0x1
	v_cvt_f32_f16_e64 v177, v172
	v_lshrrev_b32_e32 v172, 16, v172
	v_cvt_f32_f16_e64 v178, v173
	v_lshrrev_b32_e32 v173, 16, v173
	s_wait_dscnt 0x0
	v_cvt_f32_f16_e64 v179, v174
	v_add_f32_e32 v177, v120, v177
	v_cvt_f32_f16_e64 v172, v172
	v_add_co_u32 v120, vcc_lo, v195, s82
	v_cvt_f32_f16_e64 v173, v173
	v_add_f32_e32 v178, v122, v178
	s_delay_alu instid0(VALU_DEP_4)
	v_add_f32_e32 v172, v121, v172
	s_wait_alu 0xfffd
	v_add_co_ci_u32_e64 v121, null, s83, v196, vcc_lo
	v_add_f32_e32 v173, v123, v173
	v_lshrrev_b32_e32 v174, 16, v174
	v_lshrrev_b32_e32 v180, 16, v175
	global_load_b128 v[120:123], v[120:121], off
	v_add_f32_e32 v179, v124, v179
	v_cvt_f32_f16_e64 v175, v175
	v_cvt_f32_f16_e64 v174, v174
	;; [unrolled: 1-line block ×3, first 2 shown]
	s_delay_alu instid0(VALU_DEP_2) | instskip(NEXT) | instid1(VALU_DEP_2)
	v_dual_add_f32 v175, v126, v175 :: v_dual_add_f32 v174, v125, v174
	v_add_f32_e32 v180, v127, v180
	s_wait_loadcnt 0x0
	ds_store_b128 v130, v[120:123]
	v_add_co_u32 v120, vcc_lo, v113, v209
	s_wait_alu 0xfffd
	v_add_co_ci_u32_e64 v121, null, 0, v114, vcc_lo
	s_delay_alu instid0(VALU_DEP_2) | instskip(SKIP_1) | instid1(VALU_DEP_2)
	v_add_co_u32 v120, vcc_lo, v120, s86
	s_wait_alu 0xfffd
	v_add_co_ci_u32_e64 v121, null, s87, v121, vcc_lo
	v_add_co_u32 v122, vcc_lo, v111, v209
	s_wait_alu 0xfffd
	v_add_co_ci_u32_e64 v123, null, 0, v112, vcc_lo
	s_delay_alu instid0(VALU_DEP_2) | instskip(SKIP_1) | instid1(VALU_DEP_2)
	v_add_co_u32 v124, vcc_lo, v122, s86
	s_wait_alu 0xfffd
	v_add_co_ci_u32_e64 v125, null, s87, v123, vcc_lo
	global_load_b128 v[120:123], v[120:121], off offset:-64
	global_load_b128 v[124:127], v[124:125], off offset:-64
	s_wait_loadcnt 0x1
	ds_store_b128 v146, v[120:123]
	s_wait_loadcnt 0x0
	ds_store_b128 v147, v[124:127]
	v_add_co_u32 v120, vcc_lo, v244, v251
	s_wait_alu 0xfffd
	v_add_co_ci_u32_e64 v121, null, 0, v98, vcc_lo
	v_add_co_u32 v124, vcc_lo, v166, v251
	s_wait_alu 0xfffd
	v_add_co_ci_u32_e64 v125, null, 0, v167, vcc_lo
	global_load_b128 v[120:123], v[120:121], off
	global_load_b128 v[124:127], v[124:125], off
	s_wait_loadcnt 0x1
	ds_store_b128 v139, v[120:123]
	s_wait_loadcnt 0x0
	ds_store_b128 v140, v[124:127]
	v_add_co_u32 v120, vcc_lo, v193, v251
	s_wait_alu 0xfffd
	v_add_co_ci_u32_e64 v121, null, 0, v194, vcc_lo
	v_add_co_u32 v124, vcc_lo, v165, v251
	s_wait_alu 0xfffd
	v_add_co_ci_u32_e64 v125, null, 0, v191, vcc_lo
	global_load_b128 v[120:123], v[120:121], off
	global_load_b128 v[124:127], v[124:125], off
	s_wait_loadcnt 0x1
	ds_store_b128 v223, v[120:123]
	s_wait_loadcnt 0x0
	ds_store_b128 v224, v[124:127]
	v_mov_b32_e32 v124, v171
	v_dual_add_f32 v120, 0x40051340, v177 :: v_dual_add_f32 v121, 0x40051340, v172
	v_add_f32_e32 v122, 0x40051340, v173
	s_wait_dscnt 0x0
	s_barrier_signal -1
	s_barrier_wait -1
	v_max3_num_f32 v120, v124, v120, v121
	v_add_f32_e32 v121, 0x40051340, v178
	global_inv scope:SCOPE_SE
	v_max3_num_f32 v120, v120, v121, v122
	v_dual_add_f32 v121, 0x40051340, v179 :: v_dual_add_f32 v122, 0x40051340, v174
	s_delay_alu instid0(VALU_DEP_1) | instskip(SKIP_1) | instid1(VALU_DEP_1)
	v_max3_num_f32 v120, v120, v121, v122
	v_dual_add_f32 v121, 0x40051340, v175 :: v_dual_add_f32 v122, 0x40051340, v180
	v_max3_num_f32 v120, v120, v121, v122
	ds_bpermute_b32 v121, v168, v120
	s_wait_dscnt 0x0
	v_max_num_f32_e32 v121, v121, v121
	s_delay_alu instid0(VALU_DEP_1) | instskip(NEXT) | instid1(VALU_DEP_1)
	v_max_num_f32_e32 v171, v120, v121
	v_sub_f32_e32 v120, v179, v171
	s_delay_alu instid0(VALU_DEP_1) | instskip(NEXT) | instid1(VALU_DEP_1)
	v_dual_sub_f32 v124, v124, v171 :: v_dual_mul_f32 v121, 0x3fb8aa3b, v120
	v_fma_f32 v122, 0x3fb8aa3b, v120, -v121
	v_rndne_f32_e32 v123, v121
	s_delay_alu instid0(VALU_DEP_1) | instskip(SKIP_1) | instid1(VALU_DEP_2)
	v_dual_fmac_f32 v122, 0x32a5705f, v120 :: v_dual_sub_f32 v121, v121, v123
	v_cvt_i32_f32_e32 v123, v123
	v_dual_add_f32 v121, v121, v122 :: v_dual_sub_f32 v122, v174, v171
	v_cmp_ngt_f32_e64 s6, 0xc2ce8ed0, v120
	s_delay_alu instid0(VALU_DEP_2) | instskip(NEXT) | instid1(VALU_DEP_2)
	v_exp_f32_e32 v121, v121
	v_mul_f32_e32 v125, 0x3fb8aa3b, v122
	v_cmp_ngt_f32_e32 vcc_lo, 0xc2ce8ed0, v122
	s_delay_alu instid0(VALU_DEP_2) | instskip(SKIP_1) | instid1(TRANS32_DEP_1)
	v_fma_f32 v126, 0x3fb8aa3b, v122, -v125
	v_rndne_f32_e32 v127, v125
	v_ldexp_f32 v121, v121, v123
	s_delay_alu instid0(VALU_DEP_2) | instskip(SKIP_2) | instid1(VALU_DEP_3)
	v_dual_fmac_f32 v126, 0x32a5705f, v122 :: v_dual_sub_f32 v125, v125, v127
	v_cvt_i32_f32_e32 v127, v127
	s_wait_alu 0xf1ff
	v_cndmask_b32_e64 v121, 0, v121, s6
	v_cmp_nlt_f32_e64 s6, 0x42b17218, v120
	v_dual_add_f32 v125, v125, v126 :: v_dual_sub_f32 v126, v175, v171
	s_wait_alu 0xf1ff
	s_delay_alu instid0(VALU_DEP_2) | instskip(NEXT) | instid1(VALU_DEP_2)
	v_cndmask_b32_e64 v204, 0x7f800000, v121, s6
	v_exp_f32_e32 v125, v125
	s_delay_alu instid0(VALU_DEP_2) | instskip(NEXT) | instid1(VALU_DEP_2)
	v_cmp_ngt_f32_e64 s4, 0xc2ce8ed0, v126
	v_cvt_f16_f32_e64 v120, v204
	s_delay_alu instid0(TRANS32_DEP_1) | instskip(SKIP_1) | instid1(VALU_DEP_1)
	v_ldexp_f32 v125, v125, v127
	s_wait_alu 0xfffd
	v_dual_mul_f32 v174, 0x3fb8aa3b, v126 :: v_dual_cndmask_b32 v125, 0, v125
	s_delay_alu instid0(VALU_DEP_1) | instskip(SKIP_2) | instid1(VALU_DEP_2)
	v_fma_f32 v175, 0x3fb8aa3b, v126, -v174
	v_rndne_f32_e32 v179, v174
	v_cmp_nlt_f32_e32 vcc_lo, 0x42b17218, v122
	v_dual_fmac_f32 v175, 0x32a5705f, v126 :: v_dual_sub_f32 v174, v174, v179
	v_cvt_i32_f32_e32 v123, v179
	s_wait_alu 0xfffd
	v_cndmask_b32_e32 v254, 0x7f800000, v125, vcc_lo
	s_delay_alu instid0(VALU_DEP_3) | instskip(SKIP_1) | instid1(VALU_DEP_3)
	v_add_f32_e32 v174, v174, v175
	v_sub_f32_e32 v175, v180, v171
	v_cvt_f16_f32_e64 v125, v254
	s_delay_alu instid0(VALU_DEP_3) | instskip(NEXT) | instid1(VALU_DEP_2)
	v_exp_f32_e32 v174, v174
	v_mul_f32_e32 v180, 0x3fb8aa3b, v175
	v_cmp_ngt_f32_e64 s5, 0xc2ce8ed0, v175
	s_delay_alu instid0(VALU_DEP_2) | instskip(SKIP_1) | instid1(TRANS32_DEP_1)
	v_fma_f32 v183, 0x3fb8aa3b, v175, -v180
	v_rndne_f32_e32 v184, v180
	v_ldexp_f32 v123, v174, v123
	s_delay_alu instid0(VALU_DEP_2) | instskip(SKIP_2) | instid1(VALU_DEP_3)
	v_dual_fmac_f32 v183, 0x32a5705f, v175 :: v_dual_sub_f32 v180, v180, v184
	v_cvt_i32_f32_e32 v127, v184
	s_wait_alu 0xf1ff
	v_cndmask_b32_e64 v122, 0, v123, s4
	v_cmp_nlt_f32_e64 s4, 0x42b17218, v126
	v_add_f32_e32 v180, v180, v183
	s_wait_alu 0xf1ff
	s_delay_alu instid0(VALU_DEP_2) | instskip(NEXT) | instid1(VALU_DEP_2)
	v_cndmask_b32_e64 v214, 0x7f800000, v122, s4
	v_exp_f32_e32 v174, v180
	s_delay_alu instid0(VALU_DEP_1) | instskip(NEXT) | instid1(TRANS32_DEP_1)
	v_cvt_f16_f32_e64 v121, v214
	v_ldexp_f32 v127, v174, v127
	s_delay_alu instid0(VALU_DEP_1) | instskip(SKIP_2) | instid1(VALU_DEP_1)
	v_cndmask_b32_e64 v123, 0, v127, s5
	v_cmp_nlt_f32_e64 s5, 0x42b17218, v175
	s_wait_alu 0xf1ff
	v_cndmask_b32_e64 v215, 0x7f800000, v123, s5
	s_delay_alu instid0(VALU_DEP_1) | instskip(NEXT) | instid1(VALU_DEP_1)
	v_cvt_f16_f32_e64 v122, v215
	v_perm_b32 v123, v122, v121, 0x5040100
	v_perm_b32 v122, v125, v120, 0x5040100
	v_sub_f32_e32 v120, v173, v171
	s_delay_alu instid0(VALU_DEP_1) | instskip(NEXT) | instid1(VALU_DEP_1)
	v_mul_f32_e32 v121, 0x3fb8aa3b, v120
	v_fma_f32 v125, 0x3fb8aa3b, v120, -v121
	v_rndne_f32_e32 v126, v121
	s_delay_alu instid0(VALU_DEP_2) | instskip(NEXT) | instid1(VALU_DEP_2)
	v_fmac_f32_e32 v125, 0x32a5705f, v120
	v_sub_f32_e32 v121, v121, v126
	v_cvt_i32_f32_e32 v126, v126
	s_delay_alu instid0(VALU_DEP_2) | instskip(SKIP_1) | instid1(VALU_DEP_2)
	v_add_f32_e32 v121, v121, v125
	v_sub_f32_e32 v125, v178, v171
	v_exp_f32_e32 v121, v121
	s_delay_alu instid0(VALU_DEP_1) | instskip(SKIP_2) | instid1(VALU_DEP_3)
	v_mul_f32_e32 v127, 0x3fb8aa3b, v125
	v_cmp_ngt_f32_e32 vcc_lo, 0xc2ce8ed0, v120
	v_cmp_ngt_f32_e64 s4, 0xc2ce8ed0, v125
	v_fma_f32 v173, 0x3fb8aa3b, v125, -v127
	v_rndne_f32_e32 v174, v127
	s_delay_alu instid0(TRANS32_DEP_1) | instskip(NEXT) | instid1(VALU_DEP_3)
	v_ldexp_f32 v121, v121, v126
	v_fmac_f32_e32 v173, 0x32a5705f, v125
	s_delay_alu instid0(VALU_DEP_3) | instskip(SKIP_1) | instid1(VALU_DEP_3)
	v_cvt_i32_f32_e32 v126, v174
	s_wait_alu 0xfffd
	v_cndmask_b32_e32 v121, 0, v121, vcc_lo
	v_cmp_nlt_f32_e32 vcc_lo, 0x42b17218, v120
	s_wait_alu 0xfffd
	s_delay_alu instid0(VALU_DEP_2) | instskip(NEXT) | instid1(VALU_DEP_1)
	v_dual_sub_f32 v127, v127, v174 :: v_dual_cndmask_b32 v176, 0x7f800000, v121
	v_add_f32_e32 v127, v127, v173
	s_delay_alu instid0(VALU_DEP_2) | instskip(NEXT) | instid1(VALU_DEP_2)
	v_cvt_f16_f32_e64 v121, v176
	v_exp_f32_e32 v127, v127
	s_delay_alu instid0(TRANS32_DEP_1) | instskip(SKIP_1) | instid1(VALU_DEP_1)
	v_ldexp_f32 v126, v127, v126
	s_wait_alu 0xf1ff
	v_cndmask_b32_e64 v120, 0, v126, s4
	v_cmp_nlt_f32_e64 s4, 0x42b17218, v125
	s_wait_alu 0xf1ff
	s_delay_alu instid0(VALU_DEP_1) | instskip(NEXT) | instid1(VALU_DEP_1)
	v_cndmask_b32_e64 v161, 0x7f800000, v120, s4
	v_cvt_f16_f32_e64 v120, v161
	s_delay_alu instid0(VALU_DEP_1) | instskip(SKIP_1) | instid1(VALU_DEP_1)
	v_perm_b32 v121, v121, v120, 0x5040100
	v_sub_f32_e32 v120, v172, v171
	v_mul_f32_e32 v125, 0x3fb8aa3b, v120
	v_cmp_ngt_f32_e32 vcc_lo, 0xc2ce8ed0, v120
	s_delay_alu instid0(VALU_DEP_2) | instskip(SKIP_1) | instid1(VALU_DEP_1)
	v_fma_f32 v126, 0x3fb8aa3b, v120, -v125
	v_rndne_f32_e32 v127, v125
	v_dual_fmac_f32 v126, 0x32a5705f, v120 :: v_dual_sub_f32 v125, v125, v127
	v_cvt_i32_f32_e32 v127, v127
	s_delay_alu instid0(VALU_DEP_2) | instskip(SKIP_1) | instid1(VALU_DEP_1)
	v_add_f32_e32 v125, v125, v126
	v_sub_f32_e32 v126, v177, v171
	v_mul_f32_e32 v172, 0x3fb8aa3b, v126
	v_cmp_ngt_f32_e64 s4, 0xc2ce8ed0, v126
	s_delay_alu instid0(VALU_DEP_2) | instskip(SKIP_1) | instid1(VALU_DEP_2)
	v_fma_f32 v173, 0x3fb8aa3b, v126, -v172
	v_rndne_f32_e32 v174, v172
	v_fmac_f32_e32 v173, 0x32a5705f, v126
	s_delay_alu instid0(VALU_DEP_2) | instskip(NEXT) | instid1(VALU_DEP_1)
	v_sub_f32_e32 v172, v172, v174
	v_add_f32_e32 v172, v172, v173
	v_exp_f32_e32 v125, v125
	s_delay_alu instid0(VALU_DEP_1) | instskip(NEXT) | instid1(TRANS32_DEP_2)
	v_exp_f32_e32 v172, v172
	v_ldexp_f32 v125, v125, v127
	v_cvt_i32_f32_e32 v127, v174
	s_wait_alu 0xfffd
	s_delay_alu instid0(VALU_DEP_2)
	v_cndmask_b32_e32 v125, 0, v125, vcc_lo
	s_delay_alu instid0(TRANS32_DEP_1) | instid1(VALU_DEP_2)
	v_ldexp_f32 v127, v172, v127
	v_cmp_nlt_f32_e32 vcc_lo, 0x42b17218, v120
	s_wait_alu 0xf1ff
	s_delay_alu instid0(VALU_DEP_2)
	v_cndmask_b32_e64 v120, 0, v127, s4
	v_cmp_nlt_f32_e64 s4, 0x42b17218, v126
	s_wait_alu 0xfffd
	v_cndmask_b32_e32 v248, 0x7f800000, v125, vcc_lo
	v_cmp_ngt_f32_e32 vcc_lo, 0xc2ce8ed0, v124
	s_wait_alu 0xf1ff
	v_cndmask_b32_e64 v115, 0x7f800000, v120, s4
	s_delay_alu instid0(VALU_DEP_3) | instskip(NEXT) | instid1(VALU_DEP_2)
	v_cvt_f16_f32_e64 v125, v248
	v_cvt_f16_f32_e32 v120, v115
	s_delay_alu instid0(VALU_DEP_1) | instskip(SKIP_1) | instid1(VALU_DEP_1)
	v_perm_b32 v120, v125, v120, 0x5040100
	v_mul_f32_e32 v125, 0x3fb8aa3b, v124
	v_fma_f32 v126, 0x3fb8aa3b, v124, -v125
	v_rndne_f32_e32 v127, v125
	s_delay_alu instid0(VALU_DEP_1) | instskip(NEXT) | instid1(VALU_DEP_1)
	v_dual_fmac_f32 v126, 0x32a5705f, v124 :: v_dual_sub_f32 v125, v125, v127
	v_add_f32_e32 v125, v125, v126
	v_cvt_i32_f32_e32 v126, v127
	s_delay_alu instid0(VALU_DEP_2) | instskip(NEXT) | instid1(TRANS32_DEP_1)
	v_exp_f32_e32 v125, v125
	v_ldexp_f32 v125, v125, v126
	s_wait_alu 0xfffd
	s_delay_alu instid0(VALU_DEP_1) | instskip(SKIP_2) | instid1(VALU_DEP_2)
	v_cndmask_b32_e32 v125, 0, v125, vcc_lo
	v_cmp_nlt_f32_e32 vcc_lo, 0x42b17218, v124
	s_wait_alu 0xfffd
	v_cndmask_b32_e32 v125, 0x7f800000, v125, vcc_lo
	v_cmp_le_f32_e32 vcc_lo, 0xc1a00000, v124
	s_wait_alu 0xfffd
	s_delay_alu instid0(VALU_DEP_2) | instskip(SKIP_3) | instid1(VALU_DEP_3)
	v_cndmask_b32_e32 v102, 0, v125, vcc_lo
	v_add_co_u32 v107, vcc_lo, v107, 64
	s_wait_alu 0xfffd
	v_add_co_ci_u32_e64 v108, null, 0, v108, vcc_lo
	v_cvt_f16_f32_e32 v124, v102
	v_add_co_u32 v109, vcc_lo, v109, 64
	s_wait_alu 0xfffd
	v_add_co_ci_u32_e64 v110, null, 0, v110, vcc_lo
	s_delay_alu instid0(VALU_DEP_3) | instskip(SKIP_3) | instid1(VALU_DEP_3)
	v_and_b32_e32 v124, 0xffff, v124
	v_add_co_u32 v195, vcc_lo, v195, s68
	s_wait_alu 0xfffd
	v_add_co_ci_u32_e64 v196, null, s69, v196, vcc_lo
	v_mul_u32_u24_e32 v56, 0x10001, v124
	ds_load_u16 v125, v134 offset:512
	ds_load_u16 v126, v134 offset:992
	ds_load_u16 v180, v135
	ds_load_u16 v178, v134 offset:480
	ds_load_u16 v177, v134
	ds_load_u16 v124, v134 offset:32
	ds_load_u16 v210, v134 offset:64
	ds_load_u16 v212, v134 offset:1024
	ds_load_u16 v174, v134 offset:1056
	ds_load_u16 v172, v134 offset:96
	ds_load_u16 v179, v134 offset:960
	ds_load_u16 v238, v134 offset:672
	ds_load_u16 v237, v134 offset:192
	ds_load_u16 v127, v135 offset:32
	ds_load_u16 v213, v135 offset:64
	ds_load_u16 v175, v135 offset:96
	ds_load_u16 v186, v135 offset:128
	ds_load_u16 v183, v134 offset:128
	ds_load_u16 v199, v134 offset:160
	ds_load_u16 v202, v135 offset:160
	s_wait_dscnt 0x10
	ds_load_u16_d16_hi v178, v134 offset:720
	ds_load_u16 v200, v134 offset:640
	s_wait_dscnt 0xa
	ds_load_u16_d16_hi v238, v134 offset:912
	ds_load_u16_d16_hi v126, v134 offset:1232
	;; [unrolled: 1-line block ×4, first 2 shown]
	ds_load_u16 v239, v134 offset:1152
	s_wait_dscnt 0xe
	ds_load_u16_d16_hi v237, v134 offset:432
	ds_load_u16_d16_hi v125, v134 offset:752
	;; [unrolled: 1-line block ×3, first 2 shown]
	ds_load_u16_d16_hi v180, v136
	ds_load_u16_d16_hi v177, v134 offset:240
	ds_load_u16_d16_hi v124, v134 offset:272
	;; [unrolled: 1-line block ×4, first 2 shown]
	s_wait_dscnt 0x11
	ds_load_u16_d16_hi v183, v134 offset:368
	s_wait_dscnt 0x11
	ds_load_u16_d16_hi v199, v134 offset:400
	ds_load_u16 v201, v134 offset:1120
	s_wait_dscnt 0xb
	ds_load_u16_d16_hi v239, v134 offset:1392
	ds_load_u16_d16_hi v127, v136 offset:32
	;; [unrolled: 1-line block ×6, first 2 shown]
	ds_load_u16 v240, v135 offset:192
	ds_load_u16 v211, v134 offset:544
	;; [unrolled: 1-line block ×4, first 2 shown]
	s_wait_dscnt 0x2
	ds_load_u16_d16_hi v211, v134 offset:784
	s_wait_dscnt 0x2
	ds_load_u16_d16_hi v173, v134 offset:816
	s_wait_dscnt 0x2
	ds_load_u16_d16_hi v184, v134 offset:848
	ds_load_u16_d16_hi v200, v134 offset:880
	ds_load_u16 v185, v134 offset:1088
	v_pk_mul_f16 v24, v24, v56
	v_pk_mul_f16 v25, v25, v56
	;; [unrolled: 1-line block ×28, first 2 shown]
	v_add_f32_e32 v56, v115, v248
	v_add_co_u32 v113, vcc_lo, v113, s68
	s_wait_alu 0xfffd
	v_add_co_ci_u32_e64 v114, null, s69, v114, vcc_lo
	s_delay_alu instid0(VALU_DEP_3) | instskip(SKIP_3) | instid1(VALU_DEP_3)
	v_add_f32_e32 v56, v161, v56
	v_add_co_u32 v111, vcc_lo, v111, s68
	s_wait_alu 0xfffd
	v_add_co_ci_u32_e64 v112, null, s69, v112, vcc_lo
	v_add_f32_e32 v56, v176, v56
	v_add_co_u32 v244, vcc_lo, v244, s68
	s_wait_dscnt 0x0
	ds_load_u16_d16_hi v185, v134 offset:1328
	ds_load_u16_d16_hi v201, v134 offset:1360
	;; [unrolled: 1-line block ×3, first 2 shown]
	v_add_f32_e32 v56, v204, v56
	s_wait_alu 0xfffd
	v_add_co_ci_u32_e64 v98, null, s69, v98, vcc_lo
	v_add_co_u32 v166, vcc_lo, v166, s68
	s_wait_alu 0xfffd
	v_add_co_ci_u32_e64 v167, null, s69, v167, vcc_lo
	v_add_co_u32 v193, vcc_lo, v193, s68
	;; [unrolled: 3-line block ×3, first 2 shown]
	v_add_f32_e32 v56, v254, v56
	s_wait_alu 0xfffd
	v_add_co_ci_u32_e64 v191, null, s69, v191, vcc_lo
	v_add_co_u32 v105, vcc_lo, v105, s70
	s_wait_alu 0xfffd
	v_add_co_ci_u32_e64 v106, null, s71, v106, vcc_lo
	v_add_co_u32 v192, vcc_lo, v192, s70
	v_add_f32_e32 v56, v214, v56
	s_wait_alu 0xfffd
	v_add_co_ci_u32_e64 v243, null, s71, v243, vcc_lo
	v_add_co_u32 v97, vcc_lo, v97, s70
	s_wait_alu 0xfffd
	v_add_co_ci_u32_e64 v163, null, s71, v163, vcc_lo
	v_add_co_u32 v164, vcc_lo, v164, s70
	;; [unrolled: 3-line block ×3, first 2 shown]
	v_dual_mov_b32 v115, v100 :: v_dual_add_f32 v100, v215, v56
	s_wait_alu 0xfffd
	v_add_co_ci_u32_e64 v119, null, s71, v119, vcc_lo
	v_add_co_u32 v162, vcc_lo, v162, s70
	s_wait_alu 0xfffd
	v_add_co_ci_u32_e64 v187, null, s71, v187, vcc_lo
	v_add_co_u32 v188, vcc_lo, v188, s70
	v_wmma_f16_16x16x16_f16 v[24:27], v[177:180], v[120:123], v[24:27]
	v_wmma_f16_16x16x16_f16 v[20:23], v[124:127], v[120:123], v[20:23]
	;; [unrolled: 1-line block ×4, first 2 shown]
	s_wait_dscnt 0x2
	v_wmma_f16_16x16x16_f16 v[8:11], v[183:186], v[120:123], v[8:11]
	s_wait_dscnt 0x1
	v_wmma_f16_16x16x16_f16 v[0:3], v[199:202], v[120:123], v[0:3]
	;; [unrolled: 2-line block ×3, first 2 shown]
	v_fmac_f32_e32 v100, v115, v102
	s_wait_alu 0xfffd
	v_add_co_ci_u32_e64 v203, null, s71, v203, vcc_lo
	s_wait_loadcnt 0x0
	s_barrier_signal -1
	s_barrier_wait -1
	global_inv scope:SCOPE_SE
	s_cbranch_scc1 .LBB19_281
; %bb.282:                              ;   in Loop: Header=BB19_12 Depth=1
	v_mad_co_i64_i32 v[107:108], null, v169, s40, 0
	v_mad_co_i64_i32 v[105:106], null, v170, s40, 0
	s_lshl_b32 s56, s34, 5
	s_delay_alu instid0(SALU_CYCLE_1)
	s_mov_b64 s[4:5], s[56:57]
	s_branch .LBB19_284
.LBB19_283:                             ;   in Loop: Header=BB19_12 Depth=1
	v_dual_mov_b32 v7, 0 :: v_dual_mov_b32 v100, 0
	s_mov_b64 s[4:5], 0
	s_delay_alu instid0(VALU_DEP_1)
	v_dual_mov_b32 v171, 0xfeffffff :: v_dual_mov_b32 v0, v7
	v_dual_mov_b32 v6, v7 :: v_dual_mov_b32 v5, v7
	;; [unrolled: 1-line block ×14, first 2 shown]
.LBB19_284:                             ;   in Loop: Header=BB19_12 Depth=1
	v_lshlrev_b32_e32 v56, 1, v144
	s_wait_alu 0xfffe
	s_lshl_b64 s[42:43], s[4:5], 1
	v_lshlrev_b64_e32 v[97:98], 1, v[107:108]
	s_wait_alu 0xfffe
	s_add_nc_u64 s[42:43], s[80:81], s[42:43]
	v_lshlrev_b64_e32 v[105:106], 1, v[105:106]
	s_wait_alu 0xfffe
	v_add_co_u32 v56, s6, s42, v56
	s_wait_alu 0xf1ff
	v_add_co_ci_u32_e64 v102, null, s43, 0, s6
	s_mul_u64 s[42:43], s[4:5], s[26:27]
	v_add_co_u32 v97, vcc_lo, v56, v97
	s_wait_alu 0xfffd
	v_add_co_ci_u32_e64 v98, null, v102, v98, vcc_lo
	v_add_co_u32 v105, vcc_lo, v56, v105
	s_wait_alu 0xfffd
	v_add_co_ci_u32_e64 v106, null, v102, v106, vcc_lo
	s_clause 0x1
	global_load_b32 v56, v[97:98], off
	global_load_b32 v97, v[105:106], off
	v_add_nc_u32_e32 v98, v222, v220
	s_wait_alu 0xfffe
	s_lshl_b64 s[42:43], s[42:43], 2
	s_mul_u64 s[4:5], s[4:5], s[36:37]
	s_wait_alu 0xfffe
	s_add_nc_u64 s[42:43], s[78:79], s[42:43]
	s_lshl_b64 s[4:5], s[4:5], 2
	v_add_nc_u32_e32 v98, 0x1c00, v98
	s_wait_alu 0xfffe
	s_add_nc_u64 s[4:5], s[76:77], s[4:5]
	s_cmp_lg_u64 s[74:75], 0
	s_wait_loadcnt 0x0
	ds_store_2addr_b32 v98, v56, v97 offset0:128 offset1:208
	v_add_co_u32 v56, vcc_lo, s42, v67
	s_wait_alu 0xfffd
	v_add_co_ci_u32_e64 v98, null, s43, v68, vcc_lo
	s_delay_alu instid0(VALU_DEP_2) | instskip(SKIP_1) | instid1(VALU_DEP_2)
	v_add_co_u32 v97, vcc_lo, v56, v216
	s_wait_alu 0xfffd
	v_add_co_ci_u32_e64 v98, null, 0, v98, vcc_lo
	v_add_co_u32 v56, vcc_lo, s42, v79
	s_wait_alu 0xfffd
	v_add_co_ci_u32_e64 v102, null, s43, v80, vcc_lo
	s_delay_alu instid0(VALU_DEP_2) | instskip(SKIP_1) | instid1(VALU_DEP_2)
	v_add_co_u32 v109, vcc_lo, v56, v217
	s_wait_alu 0xfffd
	v_add_co_ci_u32_e64 v110, null, 0, v102, vcc_lo
	s_clause 0x1
	global_load_b128 v[105:108], v[97:98], off offset:192
	global_load_b128 v[109:112], v[109:110], off offset:128
	v_add_co_u32 v56, vcc_lo, s42, v81
	s_wait_alu 0xfffd
	v_add_co_ci_u32_e64 v98, null, s43, v82, vcc_lo
	s_delay_alu instid0(VALU_DEP_2) | instskip(SKIP_1) | instid1(VALU_DEP_2)
	v_add_co_u32 v97, vcc_lo, v56, v217
	s_wait_alu 0xfffd
	v_add_co_ci_u32_e64 v98, null, 0, v98, vcc_lo
	v_add_co_u32 v56, vcc_lo, s42, v84
	s_wait_alu 0xfffd
	v_add_co_ci_u32_e64 v102, null, s43, v85, vcc_lo
	s_delay_alu instid0(VALU_DEP_2) | instskip(SKIP_1) | instid1(VALU_DEP_2)
	v_add_co_u32 v113, vcc_lo, v56, v218
	s_wait_alu 0xfffd
	v_add_co_ci_u32_e64 v114, null, 0, v102, vcc_lo
	v_add_co_u32 v56, vcc_lo, s42, v86
	s_wait_loadcnt 0x1
	ds_store_b128 v130, v[105:108]
	s_clause 0x1
	global_load_b128 v[105:108], v[97:98], off offset:128
	global_load_b128 v[119:122], v[113:114], off
	s_wait_alu 0xfffd
	v_add_co_ci_u32_e64 v98, null, s43, v87, vcc_lo
	v_add_co_u32 v97, vcc_lo, v56, v218
	s_wait_loadcnt 0x2
	ds_store_b128 v146, v[109:112]
	s_wait_loadcnt 0x1
	ds_store_b128 v147, v[105:108]
	s_wait_alu 0xfffd
	v_add_co_ci_u32_e64 v98, null, 0, v98, vcc_lo
	v_add_co_u32 v56, vcc_lo, s42, v88
	s_wait_alu 0xfffd
	v_add_co_ci_u32_e64 v102, null, s43, v89, vcc_lo
	s_delay_alu instid0(VALU_DEP_2) | instskip(SKIP_1) | instid1(VALU_DEP_2)
	v_add_co_u32 v109, vcc_lo, v56, v218
	s_wait_alu 0xfffd
	v_add_co_ci_u32_e64 v110, null, 0, v102, vcc_lo
	s_clause 0x1
	global_load_b128 v[105:108], v[97:98], off
	global_load_b128 v[109:112], v[109:110], off
	v_add_co_u32 v56, vcc_lo, s42, v90
	s_wait_alu 0xfffd
	v_add_co_ci_u32_e64 v98, null, s43, v91, vcc_lo
	s_wait_loadcnt 0x2
	ds_store_b128 v139, v[119:122]
	s_wait_loadcnt 0x1
	ds_store_b128 v140, v[105:108]
	v_add_co_u32 v97, vcc_lo, v56, v218
	s_wait_alu 0xfffd
	v_add_co_ci_u32_e64 v98, null, 0, v98, vcc_lo
	v_cmp_lt_i32_e32 vcc_lo, v245, v99
	global_load_b128 v[105:108], v[97:98], off
	s_wait_loadcnt 0x1
	ds_store_b128 v223, v[109:112]
	s_wait_loadcnt 0x0
	ds_store_b128 v224, v[105:108]
	s_wait_dscnt 0x0
	s_barrier_signal -1
	s_barrier_wait -1
	global_inv scope:SCOPE_SE
	ds_load_b128 v[119:122], v132
	ds_load_b128 v[123:126], v132 offset:32
	s_wait_dscnt 0x1
	v_wmma_f32_16x16x16_f16 v[105:112], v[119:122], v[52:55], 0
	s_wait_dscnt 0x0
	s_delay_alu instid0(VALU_DEP_1)
	v_wmma_f32_16x16x16_f16 v[105:112], v[123:126], v[48:51], v[105:112]
	ds_load_b128 v[48:51], v132 offset:64
	ds_load_b128 v[52:55], v132 offset:96
	s_wait_dscnt 0x1
	v_wmma_f32_16x16x16_f16 v[105:112], v[48:51], v[40:43], v[105:112]
	s_wait_dscnt 0x0
	s_delay_alu instid0(VALU_DEP_1)
	v_wmma_f32_16x16x16_f16 v[105:112], v[52:55], v[44:47], v[105:112]
	ds_load_b128 v[40:43], v132 offset:128
	;; [unrolled: 7-line block ×3, first 2 shown]
	s_wait_loadcnt_dscnt 0x0
	s_barrier_signal -1
	s_barrier_wait -1
	global_inv scope:SCOPE_SE
	v_wmma_f32_16x16x16_f16 v[105:112], v[32:35], v[28:31], v[105:112]
	v_add_nc_u32_e32 v28, 0x1e00, v133
	v_add_nc_u32_e32 v30, 0x1e08, v133
	ds_load_2addr_b32 v[28:29], v28 offset1:1
	ds_load_2addr_b32 v[30:31], v30 offset1:1
	s_wait_dscnt 0x1
	v_cvt_f32_f16_e32 v32, v28
	v_lshrrev_b32_e32 v28, 16, v28
	v_cvt_f32_f16_e32 v33, v29
	v_lshrrev_b32_e32 v29, 16, v29
	s_wait_dscnt 0x0
	v_cvt_f32_f16_e32 v34, v30
	v_lshrrev_b32_e32 v30, 16, v30
	v_cvt_f32_f16_e32 v28, v28
	v_lshrrev_b32_e32 v35, 16, v31
	v_cvt_f32_f16_e32 v36, v31
	v_cvt_f32_f16_e32 v29, v29
	;; [unrolled: 1-line block ×3, first 2 shown]
	v_add_f32_e32 v30, v105, v32
	v_dual_add_f32 v31, v106, v28 :: v_dual_add_f32 v32, v107, v33
	s_delay_alu instid0(VALU_DEP_4) | instskip(NEXT) | instid1(VALU_DEP_4)
	v_dual_add_f32 v33, v108, v29 :: v_dual_add_f32 v46, v109, v34
	v_dual_add_f32 v47, v110, v37 :: v_dual_add_f32 v48, v111, v36
	s_delay_alu instid0(VALU_DEP_3) | instskip(SKIP_1) | instid1(VALU_DEP_4)
	v_dual_add_f32 v28, 0x40051340, v30 :: v_dual_add_f32 v29, 0x40051340, v31
	v_cvt_f32_f16_e32 v35, v35
	v_add_f32_e32 v34, 0x40051340, v33
	s_delay_alu instid0(VALU_DEP_3) | instskip(SKIP_1) | instid1(VALU_DEP_4)
	v_max3_num_f32 v28, v171, v28, v29
	v_add_f32_e32 v29, 0x40051340, v32
	v_add_f32_e32 v49, v112, v35
	s_delay_alu instid0(VALU_DEP_2) | instskip(SKIP_1) | instid1(VALU_DEP_1)
	v_max3_num_f32 v28, v28, v29, v34
	v_dual_add_f32 v29, 0x40051340, v46 :: v_dual_add_f32 v34, 0x40051340, v47
	v_max3_num_f32 v28, v28, v29, v34
	s_delay_alu instid0(VALU_DEP_4) | instskip(NEXT) | instid1(VALU_DEP_1)
	v_dual_add_f32 v29, 0x40051340, v48 :: v_dual_add_f32 v34, 0x40051340, v49
	v_max3_num_f32 v29, v28, v29, v34
	s_wait_alu 0xfffd
	v_cndmask_b32_e32 v28, v246, v245, vcc_lo
	s_delay_alu instid0(VALU_DEP_1) | instskip(SKIP_3) | instid1(VALU_DEP_1)
	v_lshlrev_b32_e32 v28, 2, v28
	ds_bpermute_b32 v34, v28, v29
	s_wait_dscnt 0x0
	v_max_num_f32_e32 v34, v34, v34
	v_max_num_f32_e32 v29, v29, v34
	s_delay_alu instid0(VALU_DEP_1)
	v_sub_f32_e32 v34, v171, v29
	v_sub_f32_e32 v32, v32, v29
	;; [unrolled: 1-line block ×5, first 2 shown]
	v_mul_f32_e32 v35, 0x3fb8aa3b, v34
	v_cmp_ngt_f32_e32 vcc_lo, 0xc2ce8ed0, v34
	s_delay_alu instid0(VALU_DEP_2) | instskip(SKIP_1) | instid1(VALU_DEP_1)
	v_fma_f32 v36, 0x3fb8aa3b, v34, -v35
	v_rndne_f32_e32 v37, v35
	v_dual_fmac_f32 v36, 0x32a5705f, v34 :: v_dual_sub_f32 v35, v35, v37
	s_delay_alu instid0(VALU_DEP_1) | instskip(SKIP_1) | instid1(VALU_DEP_2)
	v_add_f32_e32 v35, v35, v36
	v_cvt_i32_f32_e32 v36, v37
	v_exp_f32_e32 v35, v35
	s_delay_alu instid0(TRANS32_DEP_1) | instskip(SKIP_1) | instid1(VALU_DEP_1)
	v_ldexp_f32 v35, v35, v36
	s_wait_alu 0xfffd
	v_cndmask_b32_e32 v35, 0, v35, vcc_lo
	v_cmp_nlt_f32_e32 vcc_lo, 0x42b17218, v34
	s_wait_alu 0xfffd
	s_delay_alu instid0(VALU_DEP_2) | instskip(SKIP_2) | instid1(VALU_DEP_2)
	v_cndmask_b32_e32 v35, 0x7f800000, v35, vcc_lo
	v_cmp_le_f32_e32 vcc_lo, 0xc1a00000, v34
	s_wait_alu 0xfffd
	v_cndmask_b32_e32 v56, 0, v35, vcc_lo
	s_delay_alu instid0(VALU_DEP_1) | instskip(NEXT) | instid1(VALU_DEP_1)
	v_cvt_f16_f32_e32 v34, v56
	v_and_b32_e32 v34, 0xffff, v34
	s_delay_alu instid0(VALU_DEP_1) | instskip(NEXT) | instid1(VALU_DEP_1)
	v_mul_u32_u24_e32 v34, 0x10001, v34
	v_pk_mul_f16 v24, v24, v34
	v_pk_mul_f16 v25, v25, v34
	;; [unrolled: 1-line block ×28, first 2 shown]
	s_wait_alu 0xfffe
	v_add_co_u32 v34, vcc_lo, s4, v58
	s_wait_alu 0xfffd
	v_add_co_ci_u32_e64 v35, null, s5, v59, vcc_lo
	s_delay_alu instid0(VALU_DEP_2) | instskip(SKIP_1) | instid1(VALU_DEP_2)
	v_add_co_u32 v34, vcc_lo, v34, v216
	s_wait_alu 0xfffd
	v_add_co_ci_u32_e64 v35, null, 0, v35, vcc_lo
	v_add_co_u32 v36, vcc_lo, s4, v61
	s_wait_alu 0xfffd
	v_add_co_ci_u32_e64 v37, null, s5, v62, vcc_lo
	s_delay_alu instid0(VALU_DEP_2) | instskip(SKIP_1) | instid1(VALU_DEP_2)
	v_add_co_u32 v38, vcc_lo, v36, v217
	s_wait_alu 0xfffd
	v_add_co_ci_u32_e64 v39, null, 0, v37, vcc_lo
	s_clause 0x1
	global_load_b128 v[34:37], v[34:35], off offset:192
	global_load_b128 v[38:41], v[38:39], off offset:128
	s_wait_loadcnt 0x1
	ds_store_b128 v130, v[34:37]
	v_add_co_u32 v34, vcc_lo, s4, v63
	s_wait_alu 0xfffd
	v_add_co_ci_u32_e64 v35, null, s5, v64, vcc_lo
	s_delay_alu instid0(VALU_DEP_2) | instskip(SKIP_1) | instid1(VALU_DEP_2)
	v_add_co_u32 v34, vcc_lo, v34, v217
	s_wait_alu 0xfffd
	v_add_co_ci_u32_e64 v35, null, 0, v35, vcc_lo
	v_add_co_u32 v36, vcc_lo, s4, v71
	s_wait_alu 0xfffd
	v_add_co_ci_u32_e64 v37, null, s5, v72, vcc_lo
	s_delay_alu instid0(VALU_DEP_2) | instskip(SKIP_1) | instid1(VALU_DEP_2)
	v_add_co_u32 v42, vcc_lo, v36, v218
	s_wait_alu 0xfffd
	v_add_co_ci_u32_e64 v43, null, 0, v37, vcc_lo
	s_clause 0x1
	global_load_b128 v[34:37], v[34:35], off offset:128
	global_load_b128 v[42:45], v[42:43], off
	s_wait_loadcnt 0x2
	ds_store_b128 v146, v[38:41]
	s_wait_loadcnt 0x1
	ds_store_b128 v147, v[34:37]
	v_add_co_u32 v34, vcc_lo, s4, v73
	s_wait_alu 0xfffd
	v_add_co_ci_u32_e64 v35, null, s5, v74, vcc_lo
	s_delay_alu instid0(VALU_DEP_2) | instskip(SKIP_1) | instid1(VALU_DEP_2)
	v_add_co_u32 v34, vcc_lo, v34, v218
	s_wait_alu 0xfffd
	v_add_co_ci_u32_e64 v35, null, 0, v35, vcc_lo
	v_add_co_u32 v36, vcc_lo, s4, v75
	s_wait_alu 0xfffd
	v_add_co_ci_u32_e64 v37, null, s5, v76, vcc_lo
	s_delay_alu instid0(VALU_DEP_2) | instskip(SKIP_1) | instid1(VALU_DEP_2)
	v_add_co_u32 v38, vcc_lo, v36, v218
	s_wait_alu 0xfffd
	v_add_co_ci_u32_e64 v39, null, 0, v37, vcc_lo
	s_clause 0x1
	global_load_b128 v[34:37], v[34:35], off
	global_load_b128 v[38:41], v[38:39], off
	s_wait_loadcnt 0x2
	ds_store_b128 v139, v[42:45]
	s_wait_loadcnt 0x1
	ds_store_b128 v140, v[34:37]
	v_add_co_u32 v34, vcc_lo, s4, v77
	s_wait_alu 0xfffd
	v_add_co_ci_u32_e64 v35, null, s5, v78, vcc_lo
	s_delay_alu instid0(VALU_DEP_2) | instskip(SKIP_1) | instid1(VALU_DEP_2)
	v_add_co_u32 v34, vcc_lo, v34, v218
	s_wait_alu 0xfffd
	v_add_co_ci_u32_e64 v35, null, 0, v35, vcc_lo
	global_load_b128 v[34:37], v[34:35], off
	s_wait_loadcnt 0x1
	ds_store_b128 v223, v[38:41]
	s_wait_loadcnt 0x0
	ds_store_b128 v224, v[34:37]
	v_sub_f32_e32 v34, v46, v29
	s_wait_dscnt 0x0
	s_barrier_signal -1
	s_barrier_wait -1
	global_inv scope:SCOPE_SE
	v_mul_f32_e32 v35, 0x3fb8aa3b, v34
	s_delay_alu instid0(VALU_DEP_1) | instskip(SKIP_1) | instid1(VALU_DEP_1)
	v_fma_f32 v36, 0x3fb8aa3b, v34, -v35
	v_rndne_f32_e32 v37, v35
	v_dual_fmac_f32 v36, 0x32a5705f, v34 :: v_dual_sub_f32 v35, v35, v37
	v_cvt_i32_f32_e32 v37, v37
	s_delay_alu instid0(VALU_DEP_2) | instskip(SKIP_1) | instid1(VALU_DEP_2)
	v_add_f32_e32 v35, v35, v36
	v_sub_f32_e32 v36, v47, v29
	v_exp_f32_e32 v35, v35
	s_delay_alu instid0(VALU_DEP_1) | instskip(NEXT) | instid1(VALU_DEP_1)
	v_mul_f32_e32 v38, 0x3fb8aa3b, v36
	v_fma_f32 v39, 0x3fb8aa3b, v36, -v38
	v_rndne_f32_e32 v40, v38
	s_delay_alu instid0(TRANS32_DEP_1) | instskip(NEXT) | instid1(VALU_DEP_3)
	v_ldexp_f32 v35, v35, v37
	v_fmac_f32_e32 v39, 0x32a5705f, v36
	s_delay_alu instid0(VALU_DEP_3) | instskip(NEXT) | instid1(VALU_DEP_1)
	v_sub_f32_e32 v38, v38, v40
	v_dual_add_f32 v38, v38, v39 :: v_dual_sub_f32 v39, v48, v29
	s_delay_alu instid0(VALU_DEP_1) | instskip(NEXT) | instid1(VALU_DEP_1)
	v_exp_f32_e32 v37, v38
	v_mul_f32_e32 v41, 0x3fb8aa3b, v39
	v_cvt_i32_f32_e32 v38, v40
	v_cmp_ngt_f32_e64 s4, 0xc2ce8ed0, v39
	v_cmp_ngt_f32_e64 s6, 0xc2ce8ed0, v34
	s_delay_alu instid0(VALU_DEP_4) | instskip(SKIP_2) | instid1(VALU_DEP_3)
	v_fma_f32 v42, 0x3fb8aa3b, v39, -v41
	v_rndne_f32_e32 v43, v41
	s_wait_alu 0xf1ff
	v_cndmask_b32_e64 v35, 0, v35, s6
	s_delay_alu instid0(TRANS32_DEP_1) | instskip(SKIP_4) | instid1(VALU_DEP_3)
	v_ldexp_f32 v37, v37, v38
	v_fmac_f32_e32 v42, 0x32a5705f, v39
	v_sub_f32_e32 v41, v41, v43
	v_cvt_i32_f32_e32 v40, v43
	v_cmp_nlt_f32_e64 s6, 0x42b17218, v34
	v_add_f32_e32 v41, v41, v42
	v_sub_f32_e32 v42, v49, v29
	v_cmp_ngt_f32_e32 vcc_lo, 0xc2ce8ed0, v36
	s_wait_alu 0xf1ff
	v_cndmask_b32_e64 v97, 0x7f800000, v35, s6
	v_exp_f32_e32 v38, v41
	v_mul_f32_e32 v44, 0x3fb8aa3b, v42
	v_cmp_ngt_f32_e64 s5, 0xc2ce8ed0, v42
	s_wait_alu 0xfffd
	v_cndmask_b32_e32 v37, 0, v37, vcc_lo
	v_cmp_nlt_f32_e32 vcc_lo, 0x42b17218, v36
	v_cvt_f16_f32_e32 v34, v97
	v_fma_f32 v45, 0x3fb8aa3b, v42, -v44
	v_rndne_f32_e32 v46, v44
	s_wait_alu 0xfffd
	v_cndmask_b32_e32 v102, 0x7f800000, v37, vcc_lo
	v_ldexp_f32 v38, v38, v40
	v_fmac_f32_e32 v45, 0x32a5705f, v42
	v_sub_f32_e32 v44, v44, v46
	v_cvt_i32_f32_e32 v41, v46
	v_cvt_f16_f32_e32 v37, v102
	v_cndmask_b32_e64 v36, 0, v38, s4
	v_cmp_nlt_f32_e64 s4, 0x42b17218, v39
	v_add_f32_e32 v44, v44, v45
	v_cmp_ngt_f32_e32 vcc_lo, 0xc2ce8ed0, v33
	v_perm_b32 v34, v37, v34, 0x5040100
	s_wait_alu 0xf1ff
	v_cndmask_b32_e64 v98, 0x7f800000, v36, s4
	v_exp_f32_e32 v40, v44
	v_cmp_ngt_f32_e64 s4, 0xc2ce8ed0, v32
	s_delay_alu instid0(VALU_DEP_2) | instskip(NEXT) | instid1(TRANS32_DEP_1)
	v_cvt_f16_f32_e32 v35, v98
	v_ldexp_f32 v40, v40, v41
	s_delay_alu instid0(VALU_DEP_1) | instskip(SKIP_2) | instid1(VALU_DEP_1)
	v_cndmask_b32_e64 v38, 0, v40, s5
	v_cmp_nlt_f32_e64 s5, 0x42b17218, v42
	s_wait_alu 0xf1ff
	v_cndmask_b32_e64 v99, 0x7f800000, v38, s5
	s_delay_alu instid0(VALU_DEP_1) | instskip(NEXT) | instid1(VALU_DEP_1)
	v_cvt_f16_f32_e32 v36, v99
	v_perm_b32 v35, v36, v35, 0x5040100
	v_mul_f32_e32 v36, 0x3fb8aa3b, v33
	s_delay_alu instid0(VALU_DEP_1) | instskip(SKIP_1) | instid1(VALU_DEP_1)
	v_fma_f32 v37, 0x3fb8aa3b, v33, -v36
	v_rndne_f32_e32 v38, v36
	v_dual_fmac_f32 v37, 0x32a5705f, v33 :: v_dual_sub_f32 v36, v36, v38
	v_cvt_i32_f32_e32 v38, v38
	s_delay_alu instid0(VALU_DEP_2) | instskip(NEXT) | instid1(VALU_DEP_1)
	v_dual_add_f32 v36, v36, v37 :: v_dual_mul_f32 v37, 0x3fb8aa3b, v32
	v_exp_f32_e32 v36, v36
	s_delay_alu instid0(VALU_DEP_1) | instskip(SKIP_1) | instid1(VALU_DEP_2)
	v_fma_f32 v39, 0x3fb8aa3b, v32, -v37
	v_rndne_f32_e32 v40, v37
	v_fmac_f32_e32 v39, 0x32a5705f, v32
	s_delay_alu instid0(VALU_DEP_2) | instskip(NEXT) | instid1(TRANS32_DEP_1)
	v_sub_f32_e32 v37, v37, v40
	v_ldexp_f32 v36, v36, v38
	v_cvt_i32_f32_e32 v38, v40
	s_wait_alu 0xfffd
	s_delay_alu instid0(VALU_DEP_2) | instskip(SKIP_1) | instid1(VALU_DEP_2)
	v_dual_add_f32 v37, v37, v39 :: v_dual_cndmask_b32 v36, 0, v36
	v_cmp_nlt_f32_e32 vcc_lo, 0x42b17218, v33
	v_exp_f32_e32 v37, v37
	s_wait_alu 0xfffd
	s_delay_alu instid0(VALU_DEP_2) | instskip(SKIP_1) | instid1(TRANS32_DEP_1)
	v_cndmask_b32_e32 v114, 0x7f800000, v36, vcc_lo
	v_cmp_ngt_f32_e32 vcc_lo, 0xc2ce8ed0, v31
	v_ldexp_f32 v37, v37, v38
	s_delay_alu instid0(VALU_DEP_1) | instskip(SKIP_2) | instid1(VALU_DEP_1)
	v_cndmask_b32_e64 v33, 0, v37, s4
	v_cmp_nlt_f32_e64 s4, 0x42b17218, v32
	s_wait_alu 0xf1ff
	v_cndmask_b32_e64 v113, 0x7f800000, v33, s4
	v_cvt_f16_f32_e32 v33, v114
	v_cmp_ngt_f32_e64 s4, 0xc2ce8ed0, v30
	s_delay_alu instid0(VALU_DEP_3) | instskip(NEXT) | instid1(VALU_DEP_1)
	v_cvt_f16_f32_e32 v32, v113
	v_perm_b32 v33, v33, v32, 0x5040100
	v_mul_f32_e32 v32, 0x3fb8aa3b, v31
	s_delay_alu instid0(VALU_DEP_1) | instskip(SKIP_1) | instid1(VALU_DEP_2)
	v_fma_f32 v36, 0x3fb8aa3b, v31, -v32
	v_rndne_f32_e32 v37, v32
	v_fmac_f32_e32 v36, 0x32a5705f, v31
	s_delay_alu instid0(VALU_DEP_2) | instskip(SKIP_1) | instid1(VALU_DEP_2)
	v_sub_f32_e32 v32, v32, v37
	v_cvt_i32_f32_e32 v37, v37
	v_add_f32_e32 v32, v32, v36
	v_mul_f32_e32 v36, 0x3fb8aa3b, v30
	s_delay_alu instid0(VALU_DEP_2) | instskip(NEXT) | instid1(VALU_DEP_1)
	v_exp_f32_e32 v32, v32
	v_fma_f32 v38, 0x3fb8aa3b, v30, -v36
	v_rndne_f32_e32 v39, v36
	s_delay_alu instid0(VALU_DEP_2) | instskip(NEXT) | instid1(VALU_DEP_2)
	v_fmac_f32_e32 v38, 0x32a5705f, v30
	v_sub_f32_e32 v36, v36, v39
	s_delay_alu instid0(TRANS32_DEP_1) | instskip(SKIP_1) | instid1(VALU_DEP_3)
	v_ldexp_f32 v32, v32, v37
	v_cvt_i32_f32_e32 v37, v39
	v_add_f32_e32 v36, v36, v38
	s_wait_alu 0xfffd
	s_delay_alu instid0(VALU_DEP_3) | instskip(SKIP_1) | instid1(VALU_DEP_3)
	v_cndmask_b32_e32 v32, 0, v32, vcc_lo
	v_cmp_nlt_f32_e32 vcc_lo, 0x42b17218, v31
	v_exp_f32_e32 v36, v36
	s_delay_alu instid0(TRANS32_DEP_1) | instskip(SKIP_1) | instid1(VALU_DEP_1)
	v_ldexp_f32 v36, v36, v37
	s_wait_alu 0xf1ff
	v_cndmask_b32_e64 v31, 0, v36, s4
	v_cmp_nlt_f32_e64 s4, 0x42b17218, v30
	s_wait_alu 0xf1ff
	s_delay_alu instid0(VALU_DEP_1)
	v_cndmask_b32_e64 v30, 0x7f800000, v31, s4
	s_wait_alu 0xfffd
	v_cndmask_b32_e32 v31, 0x7f800000, v32, vcc_lo
	s_cselect_b32 s4, -1, 0
	s_wait_alu 0xfffe
	s_and_b32 s5, s0, s4
	v_cvt_f16_f32_e32 v32, v30
	v_cvt_f16_f32_e32 v36, v31
	v_add_f32_e32 v30, v30, v31
	s_delay_alu instid0(VALU_DEP_2)
	v_perm_b32 v32, v36, v32, 0x5040100
	ds_load_u16 v38, v134 offset:960
	ds_load_u16 v37, v134 offset:480
	ds_load_u16 v36, v134
	ds_load_u16 v40, v134 offset:192
	ds_load_u16 v42, v134 offset:1152
	ds_load_u16 v39, v135
	ds_load_u16 v45, v134 offset:512
	ds_load_u16 v44, v134 offset:32
	;; [unrolled: 1-line block ×13, first 2 shown]
	s_wait_dscnt 0xc
	ds_load_u16_d16_hi v45, v134 offset:752
	ds_load_u16_d16_hi v37, v134 offset:720
	s_wait_dscnt 0xb
	ds_load_u16_d16_hi v50, v134 offset:1264
	s_wait_dscnt 0xb
	ds_load_u16_d16_hi v54, v134 offset:1296
	ds_load_u16_d16_hi v38, v134 offset:1200
	ds_load_u16_d16_hi v39, v136
	ds_load_u16_d16_hi v36, v134 offset:240
	ds_load_u16_d16_hi v44, v134 offset:272
	;; [unrolled: 1-line block ×3, first 2 shown]
	s_wait_dscnt 0x10
	ds_load_u16_d16_hi v52, v134 offset:336
	s_wait_dscnt 0xc
	ds_load_u16_d16_hi v105, v134 offset:368
	;; [unrolled: 2-line block ×3, first 2 shown]
	ds_load_u16 v111, v134 offset:1120
	ds_load_u16_d16_hi v42, v134 offset:1392
	ds_load_u16_d16_hi v47, v136 offset:32
	;; [unrolled: 1-line block ×5, first 2 shown]
	s_wait_dscnt 0x12
	ds_load_u16_d16_hi v112, v136 offset:160
	ds_load_u16 v43, v135 offset:192
	ds_load_u16 v41, v134 offset:672
	;; [unrolled: 1-line block ×4, first 2 shown]
	s_wait_dscnt 0x2
	ds_load_u16_d16_hi v41, v134 offset:912
	s_wait_dscnt 0x2
	ds_load_u16_d16_hi v46, v134 offset:1232
	ds_load_u16 v49, v134 offset:544
	ds_load_u16 v53, v134 offset:576
	;; [unrolled: 1-line block ×3, first 2 shown]
	v_add_f32_e32 v30, v113, v30
	s_wait_dscnt 0x2
	ds_load_u16_d16_hi v49, v134 offset:784
	s_wait_dscnt 0x2
	ds_load_u16_d16_hi v53, v134 offset:816
	;; [unrolled: 2-line block ×3, first 2 shown]
	ds_load_u16_d16_hi v110, v134 offset:880
	v_add_f32_e32 v30, v114, v30
	ds_load_u16 v107, v134 offset:1088
	s_wait_dscnt 0x0
	ds_load_u16_d16_hi v107, v134 offset:1328
	ds_load_u16_d16_hi v111, v134 offset:1360
	v_add_f32_e32 v30, v97, v30
	ds_load_u16_d16_hi v40, v134 offset:432
	ds_load_u16_d16_hi v43, v136 offset:192
	v_wmma_f16_16x16x16_f16 v[24:27], v[36:39], v[32:35], v[24:27]
	v_wmma_f16_16x16x16_f16 v[20:23], v[44:47], v[32:35], v[20:23]
	;; [unrolled: 1-line block ×3, first 2 shown]
	v_add_f32_e32 v30, v102, v30
	v_wmma_f16_16x16x16_f16 v[12:15], v[52:55], v[32:35], v[12:15]
	s_wait_loadcnt_dscnt 0x0
	s_barrier_signal -1
	s_barrier_wait -1
	v_add_f32_e32 v30, v98, v30
	global_inv scope:SCOPE_SE
	v_add_f32_e32 v30, v99, v30
	v_wmma_f16_16x16x16_f16 v[8:11], v[105:108], v[32:35], v[8:11]
	v_wmma_f16_16x16x16_f16 v[0:3], v[109:112], v[32:35], v[0:3]
	s_delay_alu instid0(VALU_DEP_3)
	v_fmac_f32_e32 v30, v100, v56
	v_wmma_f16_16x16x16_f16 v[4:7], v[40:43], v[32:35], v[4:7]
	ds_bpermute_b32 v31, v28, v30
	s_wait_dscnt 0x0
	v_add_f32_e32 v30, v30, v31
	s_wait_alu 0xfffe
	s_and_saveexec_b32 s4, s5
	s_cbranch_execz .LBB19_286
; %bb.285:                              ;   in Loop: Header=BB19_12 Depth=1
	v_lshlrev_b32_e32 v31, 2, v205
	global_load_b32 v31, v31, s[74:75]
	s_wait_loadcnt 0x0
	v_dual_max_num_f32 v32, v29, v29 :: v_dual_max_num_f32 v33, v31, v31
	s_delay_alu instid0(VALU_DEP_1) | instskip(NEXT) | instid1(VALU_DEP_1)
	v_max_num_f32_e32 v32, v32, v33
	v_sub_f32_e32 v29, v29, v32
	s_delay_alu instid0(VALU_DEP_1) | instskip(NEXT) | instid1(VALU_DEP_1)
	v_mul_f32_e32 v33, 0x3fb8aa3b, v29
	v_fma_f32 v34, 0x3fb8aa3b, v29, -v33
	v_rndne_f32_e32 v35, v33
	s_delay_alu instid0(VALU_DEP_1) | instskip(SKIP_2) | instid1(VALU_DEP_2)
	v_dual_sub_f32 v33, v33, v35 :: v_dual_fmac_f32 v34, 0x32a5705f, v29
	v_sub_f32_e32 v31, v31, v32
	v_cvt_i32_f32_e32 v35, v35
	v_dual_add_f32 v33, v33, v34 :: v_dual_mul_f32 v34, 0x3fb8aa3b, v31
	v_cmp_ngt_f32_e32 vcc_lo, 0xc2ce8ed0, v29
	s_delay_alu instid0(VALU_DEP_2) | instskip(SKIP_1) | instid1(VALU_DEP_2)
	v_fma_f32 v36, 0x3fb8aa3b, v31, -v34
	v_rndne_f32_e32 v37, v34
	v_fmac_f32_e32 v36, 0x32a5705f, v31
	v_exp_f32_e32 v33, v33
	s_delay_alu instid0(VALU_DEP_2) | instskip(NEXT) | instid1(VALU_DEP_1)
	v_sub_f32_e32 v34, v34, v37
	v_add_f32_e32 v34, v34, v36
	s_delay_alu instid0(TRANS32_DEP_1) | instskip(NEXT) | instid1(VALU_DEP_2)
	v_ldexp_f32 v33, v33, v35
	v_exp_f32_e32 v34, v34
	v_cvt_i32_f32_e32 v35, v37
	s_wait_alu 0xfffd
	s_delay_alu instid0(VALU_DEP_2) | instskip(SKIP_2) | instid1(VALU_DEP_2)
	v_cndmask_b32_e32 v33, 0, v33, vcc_lo
	v_cmp_nlt_f32_e32 vcc_lo, 0x42b17218, v29
	s_wait_alu 0xfffd
	v_cndmask_b32_e32 v33, 0x7f800000, v33, vcc_lo
	v_cmp_le_f32_e32 vcc_lo, 0xc1a00000, v29
	s_delay_alu instid0(TRANS32_DEP_1) | instskip(SKIP_1) | instid1(VALU_DEP_3)
	v_ldexp_f32 v29, v34, v35
	s_wait_alu 0xfffd
	v_cndmask_b32_e32 v33, 0, v33, vcc_lo
	v_cmp_ngt_f32_e32 vcc_lo, 0xc2ce8ed0, v31
	s_delay_alu instid0(VALU_DEP_2) | instskip(SKIP_3) | instid1(VALU_DEP_3)
	v_cvt_f16_f32_e32 v34, v33
	s_wait_alu 0xfffd
	v_cndmask_b32_e32 v29, 0, v29, vcc_lo
	v_cmp_nlt_f32_e32 vcc_lo, 0x42b17218, v31
	v_and_b32_e32 v34, 0xffff, v34
	s_wait_alu 0xfffd
	s_delay_alu instid0(VALU_DEP_3) | instskip(SKIP_1) | instid1(VALU_DEP_3)
	v_cndmask_b32_e32 v31, 0x7f800000, v29, vcc_lo
	v_mov_b32_e32 v29, v32
	v_mul_u32_u24_e32 v34, 0x10001, v34
	s_delay_alu instid0(VALU_DEP_3) | instskip(NEXT) | instid1(VALU_DEP_2)
	v_fmac_f32_e32 v31, v30, v33
	v_pk_mul_f16 v24, v24, v34
	v_pk_mul_f16 v25, v25, v34
	;; [unrolled: 1-line block ×28, first 2 shown]
	v_mov_b32_e32 v30, v31
.LBB19_286:                             ;   in Loop: Header=BB19_12 Depth=1
	s_wait_alu 0xfffe
	s_or_b32 exec_lo, exec_lo, s4
	s_and_saveexec_b32 s4, s2
; %bb.287:                              ;   in Loop: Header=BB19_12 Depth=1
	v_add_nc_u32_e32 v31, 0, v155
	ds_store_2addr_b32 v31, v29, v30 offset0:56 offset1:57
; %bb.288:                              ;   in Loop: Header=BB19_12 Depth=1
	s_wait_alu 0xfffe
	s_or_b32 exec_lo, exec_lo, s4
	s_wait_loadcnt_dscnt 0x0
	s_barrier_signal -1
	s_barrier_wait -1
	global_inv scope:SCOPE_SE
	s_and_saveexec_b32 s4, s1
	s_wait_alu 0xfffe
	s_xor_b32 s4, exec_lo, s4
	s_cbranch_execz .LBB19_290
; %bb.289:                              ;   in Loop: Header=BB19_12 Depth=1
	s_wait_loadcnt 0x0
	s_barrier_signal -1
	s_barrier_wait -1
	global_inv scope:SCOPE_SE
                                        ; implicit-def: $vgpr28
.LBB19_290:                             ;   in Loop: Header=BB19_12 Depth=1
	s_wait_alu 0xfffe
	s_and_not1_saveexec_b32 s4, s4
	s_cbranch_execz .LBB19_292
; %bb.291:                              ;   in Loop: Header=BB19_12 Depth=1
	v_add_nc_u32_e32 v33, 0, v156
	ds_load_b64 v[29:30], v33 offset:224
	s_wait_loadcnt_dscnt 0x0
	s_barrier_signal -1
	s_barrier_wait -1
	global_inv scope:SCOPE_SE
	ds_bpermute_b32 v31, v28, v29
	s_wait_dscnt 0x0
	v_dual_max_num_f32 v32, v29, v29 :: v_dual_max_num_f32 v31, v31, v31
	s_delay_alu instid0(VALU_DEP_1) | instskip(NEXT) | instid1(VALU_DEP_1)
	v_max_num_f32_e32 v31, v32, v31
	v_sub_f32_e32 v29, v29, v31
	s_delay_alu instid0(VALU_DEP_1) | instskip(SKIP_1) | instid1(VALU_DEP_2)
	v_mul_f32_e32 v31, 0x3fb8aa3b, v29
	v_cmp_ngt_f32_e32 vcc_lo, 0xc2ce8ed0, v29
	v_fma_f32 v32, 0x3fb8aa3b, v29, -v31
	v_rndne_f32_e32 v34, v31
	s_delay_alu instid0(VALU_DEP_1) | instskip(NEXT) | instid1(VALU_DEP_1)
	v_dual_fmac_f32 v32, 0x32a5705f, v29 :: v_dual_sub_f32 v31, v31, v34
	v_add_f32_e32 v31, v31, v32
	v_cvt_i32_f32_e32 v32, v34
	s_delay_alu instid0(VALU_DEP_2) | instskip(NEXT) | instid1(TRANS32_DEP_1)
	v_exp_f32_e32 v31, v31
	v_ldexp_f32 v31, v31, v32
	s_wait_alu 0xfffd
	s_delay_alu instid0(VALU_DEP_1) | instskip(SKIP_2) | instid1(VALU_DEP_2)
	v_cndmask_b32_e32 v31, 0, v31, vcc_lo
	v_cmp_nlt_f32_e32 vcc_lo, 0x42b17218, v29
	s_wait_alu 0xfffd
	v_cndmask_b32_e32 v31, 0x7f800000, v31, vcc_lo
	s_delay_alu instid0(VALU_DEP_1)
	v_mul_f32_e32 v29, v30, v31
	ds_bpermute_b32 v32, v28, v29
	s_wait_dscnt 0x0
	v_fmac_f32_e32 v32, v30, v31
	ds_store_b64 v33, v[31:32] offset:224
.LBB19_292:                             ;   in Loop: Header=BB19_12 Depth=1
	s_wait_alu 0xfffe
	s_or_b32 exec_lo, exec_lo, s4
	v_add_nc_u32_e32 v28, v149, v157
	ds_store_2addr_b32 v28, v24, v25 offset1:1
	ds_store_2addr_b32 v28, v26, v27 offset0:2 offset1:3
	ds_store_2addr_b32 v28, v20, v21 offset0:8 offset1:9
	;; [unrolled: 1-line block ×13, first 2 shown]
	s_wait_loadcnt_dscnt 0x0
	s_barrier_signal -1
	s_barrier_wait -1
	global_inv scope:SCOPE_SE
	s_and_saveexec_b32 s34, s0
	s_cbranch_execz .LBB19_10
; %bb.293:                              ;   in Loop: Header=BB19_12 Depth=1
	v_add_nc_u32_e32 v0, s94, v96
	v_or_b32_e32 v1, s41, v104
	s_delay_alu instid0(VALU_DEP_1) | instskip(SKIP_1) | instid1(VALU_DEP_4)
	v_cmp_gt_i32_e64 s4, s33, v1
	v_mov_b32_e32 v1, 0x47
	v_cmp_gt_i32_e32 vcc_lo, s24, v0
	s_and_b32 s5, vcc_lo, s4
	s_wait_alu 0xfffe
	s_and_saveexec_b32 s6, s5
	s_cbranch_execz .LBB19_295
; %bb.294:                              ;   in Loop: Header=BB19_12 Depth=1
	v_add_nc_u32_e32 v1, v138, v158
	v_add_nc_u32_e32 v5, 0, v158
	ds_load_2addr_stride64_b32 v[1:2], v1 offset1:15
	ds_load_2addr_b32 v[3:4], v5 offset0:56 offset1:57
	ds_load_b32 v5, v5 offset:4064
	s_wait_dscnt 0x1
	v_fma_mix_f32 v6, v3, v1, 0 op_sel_hi:[0,1,0]
	v_fma_mix_f32 v1, v3, v1, 0 op_sel:[0,1,0] op_sel_hi:[0,1,0]
	s_wait_dscnt 0x0
	s_delay_alu instid0(VALU_DEP_2) | instskip(NEXT) | instid1(VALU_DEP_2)
	v_fma_mix_f32 v3, v5, v2, v6 op_sel_hi:[0,1,0]
	v_fma_mix_f32 v5, v5, v2, v1 op_sel:[0,1,0] op_sel_hi:[0,1,0]
	s_delay_alu instid0(VALU_DEP_2) | instskip(NEXT) | instid1(VALU_DEP_2)
	v_div_scale_f32 v2, null, v4, v4, v3
	v_div_scale_f32 v6, null, v4, v4, v5
	v_div_scale_f32 v11, s5, v5, v4, v5
	s_delay_alu instid0(VALU_DEP_3) | instskip(NEXT) | instid1(VALU_DEP_2)
	v_rcp_f32_e32 v7, v2
	v_rcp_f32_e32 v8, v6
	v_div_scale_f32 v10, vcc_lo, v3, v4, v3
	s_delay_alu instid0(TRANS32_DEP_2) | instskip(NEXT) | instid1(TRANS32_DEP_1)
	v_fma_f32 v1, -v2, v7, 1.0
	v_fma_f32 v9, -v6, v8, 1.0
	s_delay_alu instid0(VALU_DEP_1) | instskip(NEXT) | instid1(VALU_DEP_1)
	v_fmac_f32_e32 v8, v9, v8
	v_mul_f32_e32 v12, v11, v8
	s_delay_alu instid0(VALU_DEP_1) | instskip(SKIP_2) | instid1(VALU_DEP_3)
	v_fma_f32 v14, -v6, v12, v11
	v_fmac_f32_e32 v7, v1, v7
	v_mad_co_u64_u32 v[0:1], null, v0, s25, v[104:105]
	v_fmac_f32_e32 v12, v14, v8
	s_delay_alu instid0(VALU_DEP_3) | instskip(NEXT) | instid1(VALU_DEP_3)
	v_mul_f32_e32 v9, v10, v7
	v_mad_co_u64_u32 v[0:1], null, v0, 56, v[60:61]
	s_delay_alu instid0(VALU_DEP_2) | instskip(NEXT) | instid1(VALU_DEP_4)
	v_fma_f32 v13, -v2, v9, v10
	v_fma_f32 v6, -v6, v12, v11
	s_delay_alu instid0(VALU_DEP_2) | instskip(NEXT) | instid1(VALU_DEP_4)
	v_fmac_f32_e32 v9, v13, v7
	v_ashrrev_i32_e32 v1, 31, v0
	s_delay_alu instid0(VALU_DEP_2) | instskip(NEXT) | instid1(VALU_DEP_2)
	v_fma_f32 v2, -v2, v9, v10
	v_lshlrev_b64_e32 v[0:1], 3, v[0:1]
	s_wait_alu 0xfffd
	s_delay_alu instid0(VALU_DEP_2) | instskip(SKIP_3) | instid1(VALU_DEP_2)
	v_div_fmas_f32 v2, v2, v7, v9
	s_mov_b32 vcc_lo, s5
	s_wait_alu 0xfffe
	v_div_fmas_f32 v6, v6, v8, v12
	v_div_fixup_f32 v2, v2, v4, v3
	s_delay_alu instid0(VALU_DEP_2)
	v_div_fixup_f32 v3, v6, v4, v5
	v_add_co_u32 v4, vcc_lo, s72, v0
	s_wait_alu 0xfffd
	v_add_co_ci_u32_e64 v5, null, s73, v1, vcc_lo
	v_mov_b32_e32 v1, 0
	global_store_b64 v[4:5], v[2:3], off
.LBB19_295:                             ;   in Loop: Header=BB19_12 Depth=1
	s_wait_alu 0xfffe
	s_or_b32 exec_lo, exec_lo, s6
	s_mov_b32 s5, -1
	s_mov_b32 s6, exec_lo
	v_cmpx_gt_i32_e32 0x47, v1
; %bb.296:                              ;   in Loop: Header=BB19_12 Depth=1
	v_cmp_eq_u32_e32 vcc_lo, 0, v1
	s_or_not1_b32 s5, vcc_lo, exec_lo
; %bb.297:                              ;   in Loop: Header=BB19_12 Depth=1
	s_wait_alu 0xfffe
	s_or_b32 exec_lo, exec_lo, s6
	s_and_saveexec_b32 s6, s5
	s_cbranch_execz .LBB19_370
; %bb.298:                              ;   in Loop: Header=BB19_12 Depth=1
	v_add_nc_u32_e32 v0, s94, v241
	v_or_b32_e32 v1, s41, v95
	s_delay_alu instid0(VALU_DEP_1) | instskip(SKIP_1) | instid1(VALU_DEP_4)
	v_cmp_gt_i32_e64 s5, s33, v1
	v_mov_b32_e32 v1, 0x47
	v_cmp_gt_i32_e32 vcc_lo, s24, v0
	s_and_b32 s5, vcc_lo, s5
	s_wait_alu 0xfffe
	s_and_saveexec_b32 s42, s5
	s_cbranch_execz .LBB19_300
; %bb.299:                              ;   in Loop: Header=BB19_12 Depth=1
	v_add_nc_u32_e32 v1, v138, v159
	v_add_nc_u32_e32 v5, 0, v159
	ds_load_2addr_stride64_b32 v[1:2], v1 offset1:15
	ds_load_2addr_b32 v[3:4], v5 offset0:56 offset1:57
	ds_load_b32 v5, v5 offset:4064
	s_wait_dscnt 0x1
	v_fma_mix_f32 v6, v3, v1, 0 op_sel_hi:[0,1,0]
	v_fma_mix_f32 v1, v3, v1, 0 op_sel:[0,1,0] op_sel_hi:[0,1,0]
	s_wait_dscnt 0x0
	s_delay_alu instid0(VALU_DEP_2) | instskip(NEXT) | instid1(VALU_DEP_2)
	v_fma_mix_f32 v3, v5, v2, v6 op_sel_hi:[0,1,0]
	v_fma_mix_f32 v5, v5, v2, v1 op_sel:[0,1,0] op_sel_hi:[0,1,0]
	s_delay_alu instid0(VALU_DEP_2) | instskip(NEXT) | instid1(VALU_DEP_2)
	v_div_scale_f32 v2, null, v4, v4, v3
	v_div_scale_f32 v6, null, v4, v4, v5
	v_div_scale_f32 v11, s5, v5, v4, v5
	s_delay_alu instid0(VALU_DEP_3) | instskip(NEXT) | instid1(VALU_DEP_2)
	v_rcp_f32_e32 v7, v2
	v_rcp_f32_e32 v8, v6
	v_div_scale_f32 v10, vcc_lo, v3, v4, v3
	s_delay_alu instid0(TRANS32_DEP_2) | instskip(NEXT) | instid1(TRANS32_DEP_1)
	v_fma_f32 v1, -v2, v7, 1.0
	v_fma_f32 v9, -v6, v8, 1.0
	s_delay_alu instid0(VALU_DEP_1) | instskip(NEXT) | instid1(VALU_DEP_1)
	v_fmac_f32_e32 v8, v9, v8
	v_mul_f32_e32 v12, v11, v8
	s_delay_alu instid0(VALU_DEP_1) | instskip(SKIP_2) | instid1(VALU_DEP_3)
	v_fma_f32 v14, -v6, v12, v11
	v_fmac_f32_e32 v7, v1, v7
	v_mad_co_u64_u32 v[0:1], null, v0, s25, v[95:96]
	v_fmac_f32_e32 v12, v14, v8
	s_delay_alu instid0(VALU_DEP_3) | instskip(NEXT) | instid1(VALU_DEP_3)
	v_mul_f32_e32 v9, v10, v7
	v_mad_co_u64_u32 v[0:1], null, v0, 56, v[60:61]
	s_delay_alu instid0(VALU_DEP_2) | instskip(NEXT) | instid1(VALU_DEP_4)
	v_fma_f32 v13, -v2, v9, v10
	v_fma_f32 v6, -v6, v12, v11
	s_delay_alu instid0(VALU_DEP_2) | instskip(NEXT) | instid1(VALU_DEP_4)
	v_fmac_f32_e32 v9, v13, v7
	v_ashrrev_i32_e32 v1, 31, v0
	s_delay_alu instid0(VALU_DEP_2) | instskip(NEXT) | instid1(VALU_DEP_2)
	v_fma_f32 v2, -v2, v9, v10
	v_lshlrev_b64_e32 v[0:1], 3, v[0:1]
	s_wait_alu 0xfffd
	s_delay_alu instid0(VALU_DEP_2) | instskip(SKIP_3) | instid1(VALU_DEP_2)
	v_div_fmas_f32 v2, v2, v7, v9
	s_mov_b32 vcc_lo, s5
	s_wait_alu 0xfffe
	v_div_fmas_f32 v6, v6, v8, v12
	v_div_fixup_f32 v2, v2, v4, v3
	s_delay_alu instid0(VALU_DEP_2)
	v_div_fixup_f32 v3, v6, v4, v5
	v_add_co_u32 v4, vcc_lo, s72, v0
	s_wait_alu 0xfffd
	v_add_co_ci_u32_e64 v5, null, s73, v1, vcc_lo
	v_mov_b32_e32 v1, 0
	global_store_b64 v[4:5], v[2:3], off
.LBB19_300:                             ;   in Loop: Header=BB19_12 Depth=1
	s_wait_alu 0xfffe
	s_or_b32 exec_lo, exec_lo, s42
	s_mov_b32 s5, -1
	s_mov_b32 s42, exec_lo
	v_cmpx_gt_i32_e32 0x47, v1
; %bb.301:                              ;   in Loop: Header=BB19_12 Depth=1
	v_cmp_eq_u32_e32 vcc_lo, 0, v1
	s_or_not1_b32 s5, vcc_lo, exec_lo
; %bb.302:                              ;   in Loop: Header=BB19_12 Depth=1
	s_wait_alu 0xfffe
	s_or_b32 exec_lo, exec_lo, s42
	s_delay_alu instid0(SALU_CYCLE_1)
	s_and_b32 exec_lo, exec_lo, s5
	s_cbranch_execz .LBB19_370
; %bb.303:                              ;   in Loop: Header=BB19_12 Depth=1
	scratch_load_b32 v0, off, off offset:92 ; 4-byte Folded Reload
	s_wait_loadcnt 0x0
	v_dual_mov_b32 v1, 0x47 :: v_dual_add_nc_u32 v0, s94, v0
	s_delay_alu instid0(VALU_DEP_1)
	v_cmp_gt_i32_e32 vcc_lo, s24, v0
	s_and_b32 s5, vcc_lo, s4
	s_wait_alu 0xfffe
	s_and_saveexec_b32 s42, s5
	s_cbranch_execz .LBB19_305
; %bb.304:                              ;   in Loop: Header=BB19_12 Depth=1
	scratch_load_b32 v2, off, off offset:112 ; 4-byte Folded Reload
	s_wait_loadcnt 0x0
	v_add_nc_u32_e32 v1, v138, v2
	v_add_nc_u32_e32 v5, 0, v2
	ds_load_2addr_stride64_b32 v[1:2], v1 offset1:15
	ds_load_2addr_b32 v[3:4], v5 offset0:56 offset1:57
	ds_load_b32 v5, v5 offset:4064
	s_wait_dscnt 0x1
	v_fma_mix_f32 v6, v3, v1, 0 op_sel_hi:[0,1,0]
	v_fma_mix_f32 v1, v3, v1, 0 op_sel:[0,1,0] op_sel_hi:[0,1,0]
	s_wait_dscnt 0x0
	s_delay_alu instid0(VALU_DEP_2) | instskip(NEXT) | instid1(VALU_DEP_2)
	v_fma_mix_f32 v3, v5, v2, v6 op_sel_hi:[0,1,0]
	v_fma_mix_f32 v5, v5, v2, v1 op_sel:[0,1,0] op_sel_hi:[0,1,0]
	s_delay_alu instid0(VALU_DEP_2) | instskip(NEXT) | instid1(VALU_DEP_2)
	v_div_scale_f32 v2, null, v4, v4, v3
	v_div_scale_f32 v6, null, v4, v4, v5
	v_div_scale_f32 v11, s5, v5, v4, v5
	s_delay_alu instid0(VALU_DEP_3) | instskip(NEXT) | instid1(VALU_DEP_2)
	v_rcp_f32_e32 v7, v2
	v_rcp_f32_e32 v8, v6
	v_div_scale_f32 v10, vcc_lo, v3, v4, v3
	s_delay_alu instid0(TRANS32_DEP_2) | instskip(NEXT) | instid1(TRANS32_DEP_1)
	v_fma_f32 v1, -v2, v7, 1.0
	v_fma_f32 v9, -v6, v8, 1.0
	s_delay_alu instid0(VALU_DEP_1) | instskip(NEXT) | instid1(VALU_DEP_1)
	v_fmac_f32_e32 v8, v9, v8
	v_mul_f32_e32 v12, v11, v8
	s_delay_alu instid0(VALU_DEP_1) | instskip(SKIP_2) | instid1(VALU_DEP_3)
	v_fma_f32 v14, -v6, v12, v11
	v_fmac_f32_e32 v7, v1, v7
	v_mad_co_u64_u32 v[0:1], null, v0, s25, v[104:105]
	v_fmac_f32_e32 v12, v14, v8
	s_delay_alu instid0(VALU_DEP_3) | instskip(NEXT) | instid1(VALU_DEP_3)
	v_mul_f32_e32 v9, v10, v7
	v_mad_co_u64_u32 v[0:1], null, v0, 56, v[60:61]
	s_delay_alu instid0(VALU_DEP_2) | instskip(NEXT) | instid1(VALU_DEP_4)
	v_fma_f32 v13, -v2, v9, v10
	v_fma_f32 v6, -v6, v12, v11
	s_delay_alu instid0(VALU_DEP_2) | instskip(NEXT) | instid1(VALU_DEP_4)
	v_fmac_f32_e32 v9, v13, v7
	v_ashrrev_i32_e32 v1, 31, v0
	s_delay_alu instid0(VALU_DEP_2) | instskip(NEXT) | instid1(VALU_DEP_2)
	v_fma_f32 v2, -v2, v9, v10
	v_lshlrev_b64_e32 v[0:1], 3, v[0:1]
	s_wait_alu 0xfffd
	s_delay_alu instid0(VALU_DEP_2) | instskip(SKIP_3) | instid1(VALU_DEP_2)
	v_div_fmas_f32 v2, v2, v7, v9
	s_mov_b32 vcc_lo, s5
	s_wait_alu 0xfffe
	v_div_fmas_f32 v6, v6, v8, v12
	v_div_fixup_f32 v2, v2, v4, v3
	s_delay_alu instid0(VALU_DEP_2)
	v_div_fixup_f32 v3, v6, v4, v5
	v_add_co_u32 v4, vcc_lo, s72, v0
	s_wait_alu 0xfffd
	v_add_co_ci_u32_e64 v5, null, s73, v1, vcc_lo
	v_mov_b32_e32 v1, 0
	global_store_b64 v[4:5], v[2:3], off
.LBB19_305:                             ;   in Loop: Header=BB19_12 Depth=1
	s_wait_alu 0xfffe
	s_or_b32 exec_lo, exec_lo, s42
	s_mov_b32 s5, -1
	s_mov_b32 s42, exec_lo
	v_cmpx_gt_i32_e32 0x47, v1
; %bb.306:                              ;   in Loop: Header=BB19_12 Depth=1
	v_cmp_eq_u32_e32 vcc_lo, 0, v1
	s_or_not1_b32 s5, vcc_lo, exec_lo
; %bb.307:                              ;   in Loop: Header=BB19_12 Depth=1
	s_wait_alu 0xfffe
	s_or_b32 exec_lo, exec_lo, s42
	s_delay_alu instid0(SALU_CYCLE_1)
	s_and_b32 exec_lo, exec_lo, s5
	s_cbranch_execz .LBB19_370
; %bb.308:                              ;   in Loop: Header=BB19_12 Depth=1
	s_clause 0x1
	scratch_load_b32 v0, off, off offset:132
	scratch_load_b64 v[1:2], off, off offset:104
	s_wait_loadcnt 0x1
	v_add_nc_u32_e32 v0, s94, v0
	s_wait_loadcnt 0x0
	v_or_b32_e32 v1, s41, v1
	s_delay_alu instid0(VALU_DEP_1)
	v_cmp_gt_i32_e64 s5, s33, v1
	v_mov_b32_e32 v1, 0x47
	v_cmp_gt_i32_e32 vcc_lo, s24, v0
	s_and_b32 s5, vcc_lo, s5
	s_wait_alu 0xfffe
	s_and_saveexec_b32 s42, s5
	s_cbranch_execz .LBB19_310
; %bb.309:                              ;   in Loop: Header=BB19_12 Depth=1
	scratch_load_b32 v2, off, off offset:136 ; 4-byte Folded Reload
	s_wait_loadcnt 0x0
	v_add_nc_u32_e32 v1, v138, v2
	v_add_nc_u32_e32 v5, 0, v2
	ds_load_2addr_stride64_b32 v[1:2], v1 offset1:15
	ds_load_2addr_b32 v[3:4], v5 offset0:56 offset1:57
	ds_load_b32 v5, v5 offset:4064
	scratch_load_b64 v[12:13], off, off offset:104 ; 8-byte Folded Reload
	s_wait_dscnt 0x1
	v_fma_mix_f32 v6, v3, v1, 0 op_sel_hi:[0,1,0]
	v_fma_mix_f32 v1, v3, v1, 0 op_sel:[0,1,0] op_sel_hi:[0,1,0]
	s_wait_dscnt 0x0
	s_delay_alu instid0(VALU_DEP_2) | instskip(NEXT) | instid1(VALU_DEP_2)
	v_fma_mix_f32 v3, v5, v2, v6 op_sel_hi:[0,1,0]
	v_fma_mix_f32 v5, v5, v2, v1 op_sel:[0,1,0] op_sel_hi:[0,1,0]
	s_delay_alu instid0(VALU_DEP_2) | instskip(NEXT) | instid1(VALU_DEP_2)
	v_div_scale_f32 v2, null, v4, v4, v3
	v_div_scale_f32 v6, null, v4, v4, v5
	v_div_scale_f32 v11, s5, v5, v4, v5
	s_delay_alu instid0(VALU_DEP_3) | instskip(NEXT) | instid1(VALU_DEP_2)
	v_rcp_f32_e32 v7, v2
	v_rcp_f32_e32 v8, v6
	v_div_scale_f32 v10, vcc_lo, v3, v4, v3
	s_delay_alu instid0(TRANS32_DEP_2) | instskip(NEXT) | instid1(TRANS32_DEP_1)
	v_fma_f32 v1, -v2, v7, 1.0
	v_fma_f32 v9, -v6, v8, 1.0
	s_delay_alu instid0(VALU_DEP_1) | instskip(NEXT) | instid1(VALU_DEP_3)
	v_fmac_f32_e32 v8, v9, v8
	v_fmac_f32_e32 v7, v1, v7
	s_wait_loadcnt 0x0
	v_mad_co_u64_u32 v[0:1], null, v0, s25, v[12:13]
	s_delay_alu instid0(VALU_DEP_3) | instskip(NEXT) | instid1(VALU_DEP_1)
	v_mul_f32_e32 v12, v11, v8
	v_fma_f32 v14, -v6, v12, v11
	s_delay_alu instid0(VALU_DEP_3) | instskip(NEXT) | instid1(VALU_DEP_2)
	v_mad_co_u64_u32 v[0:1], null, v0, 56, v[60:61]
	v_fmac_f32_e32 v12, v14, v8
	v_mul_f32_e32 v9, v10, v7
	s_delay_alu instid0(VALU_DEP_3) | instskip(NEXT) | instid1(VALU_DEP_3)
	v_ashrrev_i32_e32 v1, 31, v0
	v_fma_f32 v6, -v6, v12, v11
	s_delay_alu instid0(VALU_DEP_3) | instskip(NEXT) | instid1(VALU_DEP_3)
	v_fma_f32 v13, -v2, v9, v10
	v_lshlrev_b64_e32 v[0:1], 3, v[0:1]
	s_delay_alu instid0(VALU_DEP_2) | instskip(NEXT) | instid1(VALU_DEP_1)
	v_fmac_f32_e32 v9, v13, v7
	v_fma_f32 v2, -v2, v9, v10
	s_wait_alu 0xfffd
	s_delay_alu instid0(VALU_DEP_1) | instskip(SKIP_3) | instid1(VALU_DEP_2)
	v_div_fmas_f32 v2, v2, v7, v9
	s_mov_b32 vcc_lo, s5
	s_wait_alu 0xfffe
	v_div_fmas_f32 v6, v6, v8, v12
	v_div_fixup_f32 v2, v2, v4, v3
	s_delay_alu instid0(VALU_DEP_2)
	v_div_fixup_f32 v3, v6, v4, v5
	v_add_co_u32 v4, vcc_lo, s72, v0
	s_wait_alu 0xfffd
	v_add_co_ci_u32_e64 v5, null, s73, v1, vcc_lo
	v_mov_b32_e32 v1, 0
	global_store_b64 v[4:5], v[2:3], off
.LBB19_310:                             ;   in Loop: Header=BB19_12 Depth=1
	s_wait_alu 0xfffe
	s_or_b32 exec_lo, exec_lo, s42
	s_mov_b32 s5, -1
	s_mov_b32 s42, exec_lo
	v_cmpx_gt_i32_e32 0x47, v1
; %bb.311:                              ;   in Loop: Header=BB19_12 Depth=1
	v_cmp_eq_u32_e32 vcc_lo, 0, v1
	s_or_not1_b32 s5, vcc_lo, exec_lo
; %bb.312:                              ;   in Loop: Header=BB19_12 Depth=1
	s_wait_alu 0xfffe
	s_or_b32 exec_lo, exec_lo, s42
	s_delay_alu instid0(SALU_CYCLE_1)
	s_and_b32 exec_lo, exec_lo, s5
	s_cbranch_execz .LBB19_370
; %bb.313:                              ;   in Loop: Header=BB19_12 Depth=1
	scratch_load_b32 v0, off, off offset:140 ; 4-byte Folded Reload
	s_wait_loadcnt 0x0
	v_dual_mov_b32 v1, 0x47 :: v_dual_add_nc_u32 v0, s94, v0
	s_delay_alu instid0(VALU_DEP_1)
	v_cmp_gt_i32_e32 vcc_lo, s24, v0
	s_and_b32 s5, vcc_lo, s4
	s_wait_alu 0xfffe
	s_and_saveexec_b32 s42, s5
	s_cbranch_execz .LBB19_315
; %bb.314:                              ;   in Loop: Header=BB19_12 Depth=1
	scratch_load_b32 v2, off, off offset:168 ; 4-byte Folded Reload
	s_wait_loadcnt 0x0
	v_add_nc_u32_e32 v1, v138, v2
	v_add_nc_u32_e32 v5, 0, v2
	ds_load_2addr_stride64_b32 v[1:2], v1 offset1:15
	ds_load_2addr_b32 v[3:4], v5 offset0:56 offset1:57
	ds_load_b32 v5, v5 offset:4064
	s_wait_dscnt 0x1
	v_fma_mix_f32 v6, v3, v1, 0 op_sel_hi:[0,1,0]
	v_fma_mix_f32 v1, v3, v1, 0 op_sel:[0,1,0] op_sel_hi:[0,1,0]
	s_wait_dscnt 0x0
	s_delay_alu instid0(VALU_DEP_2) | instskip(NEXT) | instid1(VALU_DEP_2)
	v_fma_mix_f32 v3, v5, v2, v6 op_sel_hi:[0,1,0]
	v_fma_mix_f32 v5, v5, v2, v1 op_sel:[0,1,0] op_sel_hi:[0,1,0]
	s_delay_alu instid0(VALU_DEP_2) | instskip(NEXT) | instid1(VALU_DEP_2)
	v_div_scale_f32 v2, null, v4, v4, v3
	v_div_scale_f32 v6, null, v4, v4, v5
	v_div_scale_f32 v11, s5, v5, v4, v5
	s_delay_alu instid0(VALU_DEP_3) | instskip(NEXT) | instid1(VALU_DEP_2)
	v_rcp_f32_e32 v7, v2
	v_rcp_f32_e32 v8, v6
	v_div_scale_f32 v10, vcc_lo, v3, v4, v3
	s_delay_alu instid0(TRANS32_DEP_2) | instskip(NEXT) | instid1(TRANS32_DEP_1)
	v_fma_f32 v1, -v2, v7, 1.0
	v_fma_f32 v9, -v6, v8, 1.0
	s_delay_alu instid0(VALU_DEP_1) | instskip(NEXT) | instid1(VALU_DEP_1)
	v_fmac_f32_e32 v8, v9, v8
	v_mul_f32_e32 v12, v11, v8
	s_delay_alu instid0(VALU_DEP_1) | instskip(SKIP_2) | instid1(VALU_DEP_3)
	v_fma_f32 v14, -v6, v12, v11
	v_fmac_f32_e32 v7, v1, v7
	v_mad_co_u64_u32 v[0:1], null, v0, s25, v[104:105]
	v_fmac_f32_e32 v12, v14, v8
	s_delay_alu instid0(VALU_DEP_3) | instskip(NEXT) | instid1(VALU_DEP_3)
	v_mul_f32_e32 v9, v10, v7
	v_mad_co_u64_u32 v[0:1], null, v0, 56, v[60:61]
	s_delay_alu instid0(VALU_DEP_2) | instskip(NEXT) | instid1(VALU_DEP_4)
	v_fma_f32 v13, -v2, v9, v10
	v_fma_f32 v6, -v6, v12, v11
	s_delay_alu instid0(VALU_DEP_2) | instskip(NEXT) | instid1(VALU_DEP_4)
	v_fmac_f32_e32 v9, v13, v7
	v_ashrrev_i32_e32 v1, 31, v0
	s_delay_alu instid0(VALU_DEP_2) | instskip(NEXT) | instid1(VALU_DEP_2)
	v_fma_f32 v2, -v2, v9, v10
	v_lshlrev_b64_e32 v[0:1], 3, v[0:1]
	s_wait_alu 0xfffd
	s_delay_alu instid0(VALU_DEP_2) | instskip(SKIP_3) | instid1(VALU_DEP_2)
	v_div_fmas_f32 v2, v2, v7, v9
	s_mov_b32 vcc_lo, s5
	s_wait_alu 0xfffe
	v_div_fmas_f32 v6, v6, v8, v12
	v_div_fixup_f32 v2, v2, v4, v3
	s_delay_alu instid0(VALU_DEP_2)
	v_div_fixup_f32 v3, v6, v4, v5
	v_add_co_u32 v4, vcc_lo, s72, v0
	s_wait_alu 0xfffd
	v_add_co_ci_u32_e64 v5, null, s73, v1, vcc_lo
	v_mov_b32_e32 v1, 0
	global_store_b64 v[4:5], v[2:3], off
.LBB19_315:                             ;   in Loop: Header=BB19_12 Depth=1
	s_wait_alu 0xfffe
	s_or_b32 exec_lo, exec_lo, s42
	s_mov_b32 s5, -1
	s_mov_b32 s42, exec_lo
	v_cmpx_gt_i32_e32 0x47, v1
; %bb.316:                              ;   in Loop: Header=BB19_12 Depth=1
	v_cmp_eq_u32_e32 vcc_lo, 0, v1
	s_or_not1_b32 s5, vcc_lo, exec_lo
; %bb.317:                              ;   in Loop: Header=BB19_12 Depth=1
	s_wait_alu 0xfffe
	s_or_b32 exec_lo, exec_lo, s42
	s_delay_alu instid0(SALU_CYCLE_1)
	s_and_b32 exec_lo, exec_lo, s5
	s_cbranch_execz .LBB19_370
; %bb.318:                              ;   in Loop: Header=BB19_12 Depth=1
	s_clause 0x1
	scratch_load_b32 v0, off, off offset:180
	scratch_load_b64 v[1:2], off, off offset:160
	s_wait_loadcnt 0x1
	v_add_nc_u32_e32 v0, s94, v0
	s_wait_loadcnt 0x0
	v_or_b32_e32 v1, s41, v1
	s_delay_alu instid0(VALU_DEP_1)
	v_cmp_gt_i32_e64 s5, s33, v1
	v_mov_b32_e32 v1, 0x47
	v_cmp_gt_i32_e32 vcc_lo, s24, v0
	s_and_b32 s5, vcc_lo, s5
	s_wait_alu 0xfffe
	s_and_saveexec_b32 s42, s5
	s_cbranch_execz .LBB19_320
; %bb.319:                              ;   in Loop: Header=BB19_12 Depth=1
	scratch_load_b32 v2, off, off offset:184 ; 4-byte Folded Reload
	s_wait_loadcnt 0x0
	v_add_nc_u32_e32 v1, v138, v2
	v_add_nc_u32_e32 v5, 0, v2
	ds_load_2addr_stride64_b32 v[1:2], v1 offset1:15
	ds_load_2addr_b32 v[3:4], v5 offset0:56 offset1:57
	ds_load_b32 v5, v5 offset:4064
	scratch_load_b64 v[12:13], off, off offset:160 ; 8-byte Folded Reload
	s_wait_dscnt 0x1
	v_fma_mix_f32 v6, v3, v1, 0 op_sel_hi:[0,1,0]
	v_fma_mix_f32 v1, v3, v1, 0 op_sel:[0,1,0] op_sel_hi:[0,1,0]
	s_wait_dscnt 0x0
	s_delay_alu instid0(VALU_DEP_2) | instskip(NEXT) | instid1(VALU_DEP_2)
	v_fma_mix_f32 v3, v5, v2, v6 op_sel_hi:[0,1,0]
	v_fma_mix_f32 v5, v5, v2, v1 op_sel:[0,1,0] op_sel_hi:[0,1,0]
	s_delay_alu instid0(VALU_DEP_2) | instskip(NEXT) | instid1(VALU_DEP_2)
	v_div_scale_f32 v2, null, v4, v4, v3
	v_div_scale_f32 v6, null, v4, v4, v5
	v_div_scale_f32 v11, s5, v5, v4, v5
	s_delay_alu instid0(VALU_DEP_3) | instskip(NEXT) | instid1(VALU_DEP_2)
	v_rcp_f32_e32 v7, v2
	v_rcp_f32_e32 v8, v6
	v_div_scale_f32 v10, vcc_lo, v3, v4, v3
	s_delay_alu instid0(TRANS32_DEP_2) | instskip(NEXT) | instid1(TRANS32_DEP_1)
	v_fma_f32 v1, -v2, v7, 1.0
	v_fma_f32 v9, -v6, v8, 1.0
	s_delay_alu instid0(VALU_DEP_1) | instskip(NEXT) | instid1(VALU_DEP_3)
	v_fmac_f32_e32 v8, v9, v8
	v_fmac_f32_e32 v7, v1, v7
	s_wait_loadcnt 0x0
	v_mad_co_u64_u32 v[0:1], null, v0, s25, v[12:13]
	s_delay_alu instid0(VALU_DEP_3) | instskip(NEXT) | instid1(VALU_DEP_1)
	v_mul_f32_e32 v12, v11, v8
	v_fma_f32 v14, -v6, v12, v11
	s_delay_alu instid0(VALU_DEP_3) | instskip(NEXT) | instid1(VALU_DEP_2)
	v_mad_co_u64_u32 v[0:1], null, v0, 56, v[60:61]
	v_fmac_f32_e32 v12, v14, v8
	v_mul_f32_e32 v9, v10, v7
	s_delay_alu instid0(VALU_DEP_3) | instskip(NEXT) | instid1(VALU_DEP_3)
	v_ashrrev_i32_e32 v1, 31, v0
	v_fma_f32 v6, -v6, v12, v11
	s_delay_alu instid0(VALU_DEP_3) | instskip(NEXT) | instid1(VALU_DEP_3)
	v_fma_f32 v13, -v2, v9, v10
	v_lshlrev_b64_e32 v[0:1], 3, v[0:1]
	s_delay_alu instid0(VALU_DEP_2) | instskip(NEXT) | instid1(VALU_DEP_1)
	v_fmac_f32_e32 v9, v13, v7
	v_fma_f32 v2, -v2, v9, v10
	s_wait_alu 0xfffd
	s_delay_alu instid0(VALU_DEP_1) | instskip(SKIP_3) | instid1(VALU_DEP_2)
	v_div_fmas_f32 v2, v2, v7, v9
	s_mov_b32 vcc_lo, s5
	s_wait_alu 0xfffe
	v_div_fmas_f32 v6, v6, v8, v12
	v_div_fixup_f32 v2, v2, v4, v3
	s_delay_alu instid0(VALU_DEP_2)
	v_div_fixup_f32 v3, v6, v4, v5
	v_add_co_u32 v4, vcc_lo, s72, v0
	s_wait_alu 0xfffd
	v_add_co_ci_u32_e64 v5, null, s73, v1, vcc_lo
	v_mov_b32_e32 v1, 0
	global_store_b64 v[4:5], v[2:3], off
.LBB19_320:                             ;   in Loop: Header=BB19_12 Depth=1
	s_wait_alu 0xfffe
	s_or_b32 exec_lo, exec_lo, s42
	s_mov_b32 s5, -1
	s_mov_b32 s42, exec_lo
	v_cmpx_gt_i32_e32 0x47, v1
; %bb.321:                              ;   in Loop: Header=BB19_12 Depth=1
	v_cmp_eq_u32_e32 vcc_lo, 0, v1
	s_or_not1_b32 s5, vcc_lo, exec_lo
; %bb.322:                              ;   in Loop: Header=BB19_12 Depth=1
	s_wait_alu 0xfffe
	s_or_b32 exec_lo, exec_lo, s42
	s_delay_alu instid0(SALU_CYCLE_1)
	s_and_b32 exec_lo, exec_lo, s5
	s_cbranch_execz .LBB19_370
; %bb.323:                              ;   in Loop: Header=BB19_12 Depth=1
	scratch_load_b32 v0, off, off offset:188 ; 4-byte Folded Reload
	s_wait_loadcnt 0x0
	v_dual_mov_b32 v1, 0x47 :: v_dual_add_nc_u32 v0, s94, v0
	s_delay_alu instid0(VALU_DEP_1)
	v_cmp_gt_i32_e32 vcc_lo, s24, v0
	s_and_b32 s5, vcc_lo, s4
	s_wait_alu 0xfffe
	s_and_saveexec_b32 s42, s5
	s_cbranch_execz .LBB19_325
; %bb.324:                              ;   in Loop: Header=BB19_12 Depth=1
	scratch_load_b32 v2, off, off offset:208 ; 4-byte Folded Reload
	s_wait_loadcnt 0x0
	v_add_nc_u32_e32 v1, v138, v2
	v_add_nc_u32_e32 v5, 0, v2
	ds_load_2addr_stride64_b32 v[1:2], v1 offset1:15
	ds_load_2addr_b32 v[3:4], v5 offset0:56 offset1:57
	ds_load_b32 v5, v5 offset:4064
	s_wait_dscnt 0x1
	v_fma_mix_f32 v6, v3, v1, 0 op_sel_hi:[0,1,0]
	v_fma_mix_f32 v1, v3, v1, 0 op_sel:[0,1,0] op_sel_hi:[0,1,0]
	s_wait_dscnt 0x0
	s_delay_alu instid0(VALU_DEP_2) | instskip(NEXT) | instid1(VALU_DEP_2)
	v_fma_mix_f32 v3, v5, v2, v6 op_sel_hi:[0,1,0]
	v_fma_mix_f32 v5, v5, v2, v1 op_sel:[0,1,0] op_sel_hi:[0,1,0]
	s_delay_alu instid0(VALU_DEP_2) | instskip(NEXT) | instid1(VALU_DEP_2)
	v_div_scale_f32 v2, null, v4, v4, v3
	v_div_scale_f32 v6, null, v4, v4, v5
	v_div_scale_f32 v11, s5, v5, v4, v5
	s_delay_alu instid0(VALU_DEP_3) | instskip(NEXT) | instid1(VALU_DEP_2)
	v_rcp_f32_e32 v7, v2
	v_rcp_f32_e32 v8, v6
	v_div_scale_f32 v10, vcc_lo, v3, v4, v3
	s_delay_alu instid0(TRANS32_DEP_2) | instskip(NEXT) | instid1(TRANS32_DEP_1)
	v_fma_f32 v1, -v2, v7, 1.0
	v_fma_f32 v9, -v6, v8, 1.0
	s_delay_alu instid0(VALU_DEP_1) | instskip(NEXT) | instid1(VALU_DEP_1)
	v_fmac_f32_e32 v8, v9, v8
	v_mul_f32_e32 v12, v11, v8
	s_delay_alu instid0(VALU_DEP_1) | instskip(SKIP_2) | instid1(VALU_DEP_3)
	v_fma_f32 v14, -v6, v12, v11
	v_fmac_f32_e32 v7, v1, v7
	v_mad_co_u64_u32 v[0:1], null, v0, s25, v[104:105]
	v_fmac_f32_e32 v12, v14, v8
	s_delay_alu instid0(VALU_DEP_3) | instskip(NEXT) | instid1(VALU_DEP_3)
	v_mul_f32_e32 v9, v10, v7
	v_mad_co_u64_u32 v[0:1], null, v0, 56, v[60:61]
	s_delay_alu instid0(VALU_DEP_2) | instskip(NEXT) | instid1(VALU_DEP_4)
	v_fma_f32 v13, -v2, v9, v10
	v_fma_f32 v6, -v6, v12, v11
	s_delay_alu instid0(VALU_DEP_2) | instskip(NEXT) | instid1(VALU_DEP_4)
	v_fmac_f32_e32 v9, v13, v7
	v_ashrrev_i32_e32 v1, 31, v0
	s_delay_alu instid0(VALU_DEP_2) | instskip(NEXT) | instid1(VALU_DEP_2)
	v_fma_f32 v2, -v2, v9, v10
	v_lshlrev_b64_e32 v[0:1], 3, v[0:1]
	s_wait_alu 0xfffd
	s_delay_alu instid0(VALU_DEP_2) | instskip(SKIP_3) | instid1(VALU_DEP_2)
	v_div_fmas_f32 v2, v2, v7, v9
	s_mov_b32 vcc_lo, s5
	s_wait_alu 0xfffe
	v_div_fmas_f32 v6, v6, v8, v12
	v_div_fixup_f32 v2, v2, v4, v3
	s_delay_alu instid0(VALU_DEP_2)
	v_div_fixup_f32 v3, v6, v4, v5
	v_add_co_u32 v4, vcc_lo, s72, v0
	s_wait_alu 0xfffd
	v_add_co_ci_u32_e64 v5, null, s73, v1, vcc_lo
	v_mov_b32_e32 v1, 0
	global_store_b64 v[4:5], v[2:3], off
.LBB19_325:                             ;   in Loop: Header=BB19_12 Depth=1
	s_wait_alu 0xfffe
	s_or_b32 exec_lo, exec_lo, s42
	s_mov_b32 s5, -1
	s_mov_b32 s42, exec_lo
	v_cmpx_gt_i32_e32 0x47, v1
; %bb.326:                              ;   in Loop: Header=BB19_12 Depth=1
	v_cmp_eq_u32_e32 vcc_lo, 0, v1
	s_or_not1_b32 s5, vcc_lo, exec_lo
; %bb.327:                              ;   in Loop: Header=BB19_12 Depth=1
	s_wait_alu 0xfffe
	s_or_b32 exec_lo, exec_lo, s42
	s_delay_alu instid0(SALU_CYCLE_1)
	s_and_b32 exec_lo, exec_lo, s5
	s_cbranch_execz .LBB19_370
; %bb.328:                              ;   in Loop: Header=BB19_12 Depth=1
	s_clause 0x1
	scratch_load_b32 v0, off, off offset:220
	scratch_load_b64 v[1:2], off, off offset:200
	s_wait_loadcnt 0x1
	v_add_nc_u32_e32 v0, s94, v0
	s_wait_loadcnt 0x0
	v_or_b32_e32 v1, s41, v1
	s_delay_alu instid0(VALU_DEP_1)
	v_cmp_gt_i32_e64 s5, s33, v1
	v_mov_b32_e32 v1, 0x47
	v_cmp_gt_i32_e32 vcc_lo, s24, v0
	s_and_b32 s5, vcc_lo, s5
	s_wait_alu 0xfffe
	s_and_saveexec_b32 s42, s5
	s_cbranch_execz .LBB19_330
; %bb.329:                              ;   in Loop: Header=BB19_12 Depth=1
	scratch_load_b32 v2, off, off offset:224 ; 4-byte Folded Reload
	s_wait_loadcnt 0x0
	v_add_nc_u32_e32 v1, v138, v2
	v_add_nc_u32_e32 v5, 0, v2
	ds_load_2addr_stride64_b32 v[1:2], v1 offset1:15
	ds_load_2addr_b32 v[3:4], v5 offset0:56 offset1:57
	ds_load_b32 v5, v5 offset:4064
	scratch_load_b64 v[12:13], off, off offset:200 ; 8-byte Folded Reload
	s_wait_dscnt 0x1
	v_fma_mix_f32 v6, v3, v1, 0 op_sel_hi:[0,1,0]
	v_fma_mix_f32 v1, v3, v1, 0 op_sel:[0,1,0] op_sel_hi:[0,1,0]
	s_wait_dscnt 0x0
	s_delay_alu instid0(VALU_DEP_2) | instskip(NEXT) | instid1(VALU_DEP_2)
	v_fma_mix_f32 v3, v5, v2, v6 op_sel_hi:[0,1,0]
	v_fma_mix_f32 v5, v5, v2, v1 op_sel:[0,1,0] op_sel_hi:[0,1,0]
	s_delay_alu instid0(VALU_DEP_2) | instskip(NEXT) | instid1(VALU_DEP_2)
	v_div_scale_f32 v2, null, v4, v4, v3
	v_div_scale_f32 v6, null, v4, v4, v5
	v_div_scale_f32 v11, s5, v5, v4, v5
	s_delay_alu instid0(VALU_DEP_3) | instskip(NEXT) | instid1(VALU_DEP_2)
	v_rcp_f32_e32 v7, v2
	v_rcp_f32_e32 v8, v6
	v_div_scale_f32 v10, vcc_lo, v3, v4, v3
	s_delay_alu instid0(TRANS32_DEP_2) | instskip(NEXT) | instid1(TRANS32_DEP_1)
	v_fma_f32 v1, -v2, v7, 1.0
	v_fma_f32 v9, -v6, v8, 1.0
	s_delay_alu instid0(VALU_DEP_1) | instskip(NEXT) | instid1(VALU_DEP_3)
	v_fmac_f32_e32 v8, v9, v8
	v_fmac_f32_e32 v7, v1, v7
	s_wait_loadcnt 0x0
	v_mad_co_u64_u32 v[0:1], null, v0, s25, v[12:13]
	s_delay_alu instid0(VALU_DEP_3) | instskip(NEXT) | instid1(VALU_DEP_1)
	v_mul_f32_e32 v12, v11, v8
	v_fma_f32 v14, -v6, v12, v11
	s_delay_alu instid0(VALU_DEP_3) | instskip(NEXT) | instid1(VALU_DEP_2)
	v_mad_co_u64_u32 v[0:1], null, v0, 56, v[60:61]
	v_fmac_f32_e32 v12, v14, v8
	v_mul_f32_e32 v9, v10, v7
	s_delay_alu instid0(VALU_DEP_3) | instskip(NEXT) | instid1(VALU_DEP_3)
	v_ashrrev_i32_e32 v1, 31, v0
	v_fma_f32 v6, -v6, v12, v11
	s_delay_alu instid0(VALU_DEP_3) | instskip(NEXT) | instid1(VALU_DEP_3)
	v_fma_f32 v13, -v2, v9, v10
	v_lshlrev_b64_e32 v[0:1], 3, v[0:1]
	s_delay_alu instid0(VALU_DEP_2) | instskip(NEXT) | instid1(VALU_DEP_1)
	v_fmac_f32_e32 v9, v13, v7
	v_fma_f32 v2, -v2, v9, v10
	s_wait_alu 0xfffd
	s_delay_alu instid0(VALU_DEP_1) | instskip(SKIP_3) | instid1(VALU_DEP_2)
	v_div_fmas_f32 v2, v2, v7, v9
	s_mov_b32 vcc_lo, s5
	s_wait_alu 0xfffe
	v_div_fmas_f32 v6, v6, v8, v12
	v_div_fixup_f32 v2, v2, v4, v3
	s_delay_alu instid0(VALU_DEP_2)
	v_div_fixup_f32 v3, v6, v4, v5
	v_add_co_u32 v4, vcc_lo, s72, v0
	s_wait_alu 0xfffd
	v_add_co_ci_u32_e64 v5, null, s73, v1, vcc_lo
	v_mov_b32_e32 v1, 0
	global_store_b64 v[4:5], v[2:3], off
.LBB19_330:                             ;   in Loop: Header=BB19_12 Depth=1
	s_wait_alu 0xfffe
	s_or_b32 exec_lo, exec_lo, s42
	s_mov_b32 s5, -1
	s_mov_b32 s42, exec_lo
	v_cmpx_gt_i32_e32 0x47, v1
; %bb.331:                              ;   in Loop: Header=BB19_12 Depth=1
	v_cmp_eq_u32_e32 vcc_lo, 0, v1
	s_or_not1_b32 s5, vcc_lo, exec_lo
; %bb.332:                              ;   in Loop: Header=BB19_12 Depth=1
	s_wait_alu 0xfffe
	s_or_b32 exec_lo, exec_lo, s42
	s_delay_alu instid0(SALU_CYCLE_1)
	s_and_b32 exec_lo, exec_lo, s5
	s_cbranch_execz .LBB19_370
; %bb.333:                              ;   in Loop: Header=BB19_12 Depth=1
	scratch_load_b32 v0, off, off offset:228 ; 4-byte Folded Reload
	s_wait_loadcnt 0x0
	v_dual_mov_b32 v1, 0x47 :: v_dual_add_nc_u32 v0, s94, v0
	s_delay_alu instid0(VALU_DEP_1)
	v_cmp_gt_i32_e32 vcc_lo, s24, v0
	s_and_b32 s5, vcc_lo, s4
	s_wait_alu 0xfffe
	s_and_saveexec_b32 s42, s5
	s_cbranch_execz .LBB19_335
; %bb.334:                              ;   in Loop: Header=BB19_12 Depth=1
	scratch_load_b32 v2, off, off offset:244 ; 4-byte Folded Reload
	s_wait_loadcnt 0x0
	v_add_nc_u32_e32 v1, v138, v2
	v_add_nc_u32_e32 v5, 0, v2
	ds_load_2addr_stride64_b32 v[1:2], v1 offset1:15
	ds_load_2addr_b32 v[3:4], v5 offset0:56 offset1:57
	ds_load_b32 v5, v5 offset:4064
	s_wait_dscnt 0x1
	v_fma_mix_f32 v6, v3, v1, 0 op_sel_hi:[0,1,0]
	v_fma_mix_f32 v1, v3, v1, 0 op_sel:[0,1,0] op_sel_hi:[0,1,0]
	s_wait_dscnt 0x0
	s_delay_alu instid0(VALU_DEP_2) | instskip(NEXT) | instid1(VALU_DEP_2)
	v_fma_mix_f32 v3, v5, v2, v6 op_sel_hi:[0,1,0]
	v_fma_mix_f32 v5, v5, v2, v1 op_sel:[0,1,0] op_sel_hi:[0,1,0]
	s_delay_alu instid0(VALU_DEP_2) | instskip(NEXT) | instid1(VALU_DEP_2)
	v_div_scale_f32 v2, null, v4, v4, v3
	v_div_scale_f32 v6, null, v4, v4, v5
	v_div_scale_f32 v11, s5, v5, v4, v5
	s_delay_alu instid0(VALU_DEP_3) | instskip(NEXT) | instid1(VALU_DEP_2)
	v_rcp_f32_e32 v7, v2
	v_rcp_f32_e32 v8, v6
	v_div_scale_f32 v10, vcc_lo, v3, v4, v3
	s_delay_alu instid0(TRANS32_DEP_2) | instskip(NEXT) | instid1(TRANS32_DEP_1)
	v_fma_f32 v1, -v2, v7, 1.0
	v_fma_f32 v9, -v6, v8, 1.0
	s_delay_alu instid0(VALU_DEP_1) | instskip(NEXT) | instid1(VALU_DEP_1)
	v_fmac_f32_e32 v8, v9, v8
	v_mul_f32_e32 v12, v11, v8
	s_delay_alu instid0(VALU_DEP_1) | instskip(SKIP_2) | instid1(VALU_DEP_3)
	v_fma_f32 v14, -v6, v12, v11
	v_fmac_f32_e32 v7, v1, v7
	v_mad_co_u64_u32 v[0:1], null, v0, s25, v[104:105]
	v_fmac_f32_e32 v12, v14, v8
	s_delay_alu instid0(VALU_DEP_3) | instskip(NEXT) | instid1(VALU_DEP_3)
	v_mul_f32_e32 v9, v10, v7
	v_mad_co_u64_u32 v[0:1], null, v0, 56, v[60:61]
	s_delay_alu instid0(VALU_DEP_2) | instskip(NEXT) | instid1(VALU_DEP_4)
	v_fma_f32 v13, -v2, v9, v10
	v_fma_f32 v6, -v6, v12, v11
	s_delay_alu instid0(VALU_DEP_2) | instskip(NEXT) | instid1(VALU_DEP_4)
	v_fmac_f32_e32 v9, v13, v7
	v_ashrrev_i32_e32 v1, 31, v0
	s_delay_alu instid0(VALU_DEP_2) | instskip(NEXT) | instid1(VALU_DEP_2)
	v_fma_f32 v2, -v2, v9, v10
	v_lshlrev_b64_e32 v[0:1], 3, v[0:1]
	s_wait_alu 0xfffd
	s_delay_alu instid0(VALU_DEP_2) | instskip(SKIP_3) | instid1(VALU_DEP_2)
	v_div_fmas_f32 v2, v2, v7, v9
	s_mov_b32 vcc_lo, s5
	s_wait_alu 0xfffe
	v_div_fmas_f32 v6, v6, v8, v12
	v_div_fixup_f32 v2, v2, v4, v3
	s_delay_alu instid0(VALU_DEP_2)
	v_div_fixup_f32 v3, v6, v4, v5
	v_add_co_u32 v4, vcc_lo, s72, v0
	s_wait_alu 0xfffd
	v_add_co_ci_u32_e64 v5, null, s73, v1, vcc_lo
	v_mov_b32_e32 v1, 0
	global_store_b64 v[4:5], v[2:3], off
.LBB19_335:                             ;   in Loop: Header=BB19_12 Depth=1
	s_wait_alu 0xfffe
	s_or_b32 exec_lo, exec_lo, s42
	s_mov_b32 s5, -1
	s_mov_b32 s42, exec_lo
	v_cmpx_gt_i32_e32 0x47, v1
; %bb.336:                              ;   in Loop: Header=BB19_12 Depth=1
	v_cmp_eq_u32_e32 vcc_lo, 0, v1
	s_or_not1_b32 s5, vcc_lo, exec_lo
; %bb.337:                              ;   in Loop: Header=BB19_12 Depth=1
	s_wait_alu 0xfffe
	s_or_b32 exec_lo, exec_lo, s42
	s_delay_alu instid0(SALU_CYCLE_1)
	s_and_b32 exec_lo, exec_lo, s5
	s_cbranch_execz .LBB19_370
; %bb.338:                              ;   in Loop: Header=BB19_12 Depth=1
	s_clause 0x1
	scratch_load_b32 v0, off, off offset:248
	scratch_load_b64 v[1:2], off, off offset:236
	s_wait_loadcnt 0x1
	v_add_nc_u32_e32 v0, s94, v0
	s_wait_loadcnt 0x0
	v_or_b32_e32 v1, s41, v1
	s_delay_alu instid0(VALU_DEP_1)
	v_cmp_gt_i32_e64 s5, s33, v1
	v_mov_b32_e32 v1, 0x47
	v_cmp_gt_i32_e32 vcc_lo, s24, v0
	s_and_b32 s5, vcc_lo, s5
	s_wait_alu 0xfffe
	s_and_saveexec_b32 s42, s5
	s_cbranch_execz .LBB19_340
; %bb.339:                              ;   in Loop: Header=BB19_12 Depth=1
	scratch_load_b32 v2, off, off offset:252 ; 4-byte Folded Reload
	s_wait_loadcnt 0x0
	v_add_nc_u32_e32 v1, v138, v2
	v_add_nc_u32_e32 v5, 0, v2
	ds_load_2addr_stride64_b32 v[1:2], v1 offset1:15
	ds_load_2addr_b32 v[3:4], v5 offset0:56 offset1:57
	ds_load_b32 v5, v5 offset:4064
	scratch_load_b64 v[12:13], off, off offset:236 ; 8-byte Folded Reload
	s_wait_dscnt 0x1
	v_fma_mix_f32 v6, v3, v1, 0 op_sel_hi:[0,1,0]
	v_fma_mix_f32 v1, v3, v1, 0 op_sel:[0,1,0] op_sel_hi:[0,1,0]
	s_wait_dscnt 0x0
	s_delay_alu instid0(VALU_DEP_2) | instskip(NEXT) | instid1(VALU_DEP_2)
	v_fma_mix_f32 v3, v5, v2, v6 op_sel_hi:[0,1,0]
	v_fma_mix_f32 v5, v5, v2, v1 op_sel:[0,1,0] op_sel_hi:[0,1,0]
	s_delay_alu instid0(VALU_DEP_2) | instskip(NEXT) | instid1(VALU_DEP_2)
	v_div_scale_f32 v2, null, v4, v4, v3
	v_div_scale_f32 v6, null, v4, v4, v5
	v_div_scale_f32 v11, s5, v5, v4, v5
	s_delay_alu instid0(VALU_DEP_3) | instskip(NEXT) | instid1(VALU_DEP_2)
	v_rcp_f32_e32 v7, v2
	v_rcp_f32_e32 v8, v6
	v_div_scale_f32 v10, vcc_lo, v3, v4, v3
	s_delay_alu instid0(TRANS32_DEP_2) | instskip(NEXT) | instid1(TRANS32_DEP_1)
	v_fma_f32 v1, -v2, v7, 1.0
	v_fma_f32 v9, -v6, v8, 1.0
	s_delay_alu instid0(VALU_DEP_1) | instskip(NEXT) | instid1(VALU_DEP_3)
	v_fmac_f32_e32 v8, v9, v8
	v_fmac_f32_e32 v7, v1, v7
	s_wait_loadcnt 0x0
	v_mad_co_u64_u32 v[0:1], null, v0, s25, v[12:13]
	s_delay_alu instid0(VALU_DEP_3) | instskip(NEXT) | instid1(VALU_DEP_1)
	v_mul_f32_e32 v12, v11, v8
	v_fma_f32 v14, -v6, v12, v11
	s_delay_alu instid0(VALU_DEP_3) | instskip(NEXT) | instid1(VALU_DEP_2)
	v_mad_co_u64_u32 v[0:1], null, v0, 56, v[60:61]
	v_fmac_f32_e32 v12, v14, v8
	v_mul_f32_e32 v9, v10, v7
	s_delay_alu instid0(VALU_DEP_3) | instskip(NEXT) | instid1(VALU_DEP_3)
	v_ashrrev_i32_e32 v1, 31, v0
	v_fma_f32 v6, -v6, v12, v11
	s_delay_alu instid0(VALU_DEP_3) | instskip(NEXT) | instid1(VALU_DEP_3)
	v_fma_f32 v13, -v2, v9, v10
	v_lshlrev_b64_e32 v[0:1], 3, v[0:1]
	s_delay_alu instid0(VALU_DEP_2) | instskip(NEXT) | instid1(VALU_DEP_1)
	v_fmac_f32_e32 v9, v13, v7
	v_fma_f32 v2, -v2, v9, v10
	s_wait_alu 0xfffd
	s_delay_alu instid0(VALU_DEP_1) | instskip(SKIP_3) | instid1(VALU_DEP_2)
	v_div_fmas_f32 v2, v2, v7, v9
	s_mov_b32 vcc_lo, s5
	s_wait_alu 0xfffe
	v_div_fmas_f32 v6, v6, v8, v12
	v_div_fixup_f32 v2, v2, v4, v3
	s_delay_alu instid0(VALU_DEP_2)
	v_div_fixup_f32 v3, v6, v4, v5
	v_add_co_u32 v4, vcc_lo, s72, v0
	s_wait_alu 0xfffd
	v_add_co_ci_u32_e64 v5, null, s73, v1, vcc_lo
	v_mov_b32_e32 v1, 0
	global_store_b64 v[4:5], v[2:3], off
.LBB19_340:                             ;   in Loop: Header=BB19_12 Depth=1
	s_wait_alu 0xfffe
	s_or_b32 exec_lo, exec_lo, s42
	s_mov_b32 s5, -1
	s_mov_b32 s42, exec_lo
	v_cmpx_gt_i32_e32 0x47, v1
; %bb.341:                              ;   in Loop: Header=BB19_12 Depth=1
	v_cmp_eq_u32_e32 vcc_lo, 0, v1
	s_or_not1_b32 s5, vcc_lo, exec_lo
; %bb.342:                              ;   in Loop: Header=BB19_12 Depth=1
	s_wait_alu 0xfffe
	s_or_b32 exec_lo, exec_lo, s42
	s_delay_alu instid0(SALU_CYCLE_1)
	s_and_b32 exec_lo, exec_lo, s5
	s_cbranch_execz .LBB19_370
; %bb.343:                              ;   in Loop: Header=BB19_12 Depth=1
	scratch_load_b32 v0, off, off offset:256 ; 4-byte Folded Reload
	s_wait_loadcnt 0x0
	v_dual_mov_b32 v1, 0x47 :: v_dual_add_nc_u32 v0, s94, v0
	s_delay_alu instid0(VALU_DEP_1)
	v_cmp_gt_i32_e32 vcc_lo, s24, v0
	s_and_b32 s5, vcc_lo, s4
	s_wait_alu 0xfffe
	s_and_saveexec_b32 s42, s5
	s_cbranch_execz .LBB19_345
; %bb.344:                              ;   in Loop: Header=BB19_12 Depth=1
	scratch_load_b32 v2, off, off offset:268 ; 4-byte Folded Reload
	s_wait_loadcnt 0x0
	v_add_nc_u32_e32 v1, v138, v2
	v_add_nc_u32_e32 v5, 0, v2
	ds_load_2addr_stride64_b32 v[1:2], v1 offset1:15
	ds_load_2addr_b32 v[3:4], v5 offset0:56 offset1:57
	ds_load_b32 v5, v5 offset:4064
	s_wait_dscnt 0x1
	v_fma_mix_f32 v6, v3, v1, 0 op_sel_hi:[0,1,0]
	v_fma_mix_f32 v1, v3, v1, 0 op_sel:[0,1,0] op_sel_hi:[0,1,0]
	s_wait_dscnt 0x0
	s_delay_alu instid0(VALU_DEP_2) | instskip(NEXT) | instid1(VALU_DEP_2)
	v_fma_mix_f32 v3, v5, v2, v6 op_sel_hi:[0,1,0]
	v_fma_mix_f32 v5, v5, v2, v1 op_sel:[0,1,0] op_sel_hi:[0,1,0]
	s_delay_alu instid0(VALU_DEP_2) | instskip(NEXT) | instid1(VALU_DEP_2)
	v_div_scale_f32 v2, null, v4, v4, v3
	v_div_scale_f32 v6, null, v4, v4, v5
	v_div_scale_f32 v11, s5, v5, v4, v5
	s_delay_alu instid0(VALU_DEP_3) | instskip(NEXT) | instid1(VALU_DEP_2)
	v_rcp_f32_e32 v7, v2
	v_rcp_f32_e32 v8, v6
	v_div_scale_f32 v10, vcc_lo, v3, v4, v3
	s_delay_alu instid0(TRANS32_DEP_2) | instskip(NEXT) | instid1(TRANS32_DEP_1)
	v_fma_f32 v1, -v2, v7, 1.0
	v_fma_f32 v9, -v6, v8, 1.0
	s_delay_alu instid0(VALU_DEP_1) | instskip(NEXT) | instid1(VALU_DEP_1)
	v_fmac_f32_e32 v8, v9, v8
	v_mul_f32_e32 v12, v11, v8
	s_delay_alu instid0(VALU_DEP_1) | instskip(SKIP_2) | instid1(VALU_DEP_3)
	v_fma_f32 v14, -v6, v12, v11
	v_fmac_f32_e32 v7, v1, v7
	v_mad_co_u64_u32 v[0:1], null, v0, s25, v[104:105]
	v_fmac_f32_e32 v12, v14, v8
	s_delay_alu instid0(VALU_DEP_3) | instskip(NEXT) | instid1(VALU_DEP_3)
	v_mul_f32_e32 v9, v10, v7
	v_mad_co_u64_u32 v[0:1], null, v0, 56, v[60:61]
	s_delay_alu instid0(VALU_DEP_2) | instskip(NEXT) | instid1(VALU_DEP_4)
	v_fma_f32 v13, -v2, v9, v10
	v_fma_f32 v6, -v6, v12, v11
	s_delay_alu instid0(VALU_DEP_2) | instskip(NEXT) | instid1(VALU_DEP_4)
	v_fmac_f32_e32 v9, v13, v7
	v_ashrrev_i32_e32 v1, 31, v0
	s_delay_alu instid0(VALU_DEP_2) | instskip(NEXT) | instid1(VALU_DEP_2)
	v_fma_f32 v2, -v2, v9, v10
	v_lshlrev_b64_e32 v[0:1], 3, v[0:1]
	s_wait_alu 0xfffd
	s_delay_alu instid0(VALU_DEP_2) | instskip(SKIP_3) | instid1(VALU_DEP_2)
	v_div_fmas_f32 v2, v2, v7, v9
	s_mov_b32 vcc_lo, s5
	s_wait_alu 0xfffe
	v_div_fmas_f32 v6, v6, v8, v12
	v_div_fixup_f32 v2, v2, v4, v3
	s_delay_alu instid0(VALU_DEP_2)
	v_div_fixup_f32 v3, v6, v4, v5
	v_add_co_u32 v4, vcc_lo, s72, v0
	s_wait_alu 0xfffd
	v_add_co_ci_u32_e64 v5, null, s73, v1, vcc_lo
	v_mov_b32_e32 v1, 0
	global_store_b64 v[4:5], v[2:3], off
.LBB19_345:                             ;   in Loop: Header=BB19_12 Depth=1
	s_wait_alu 0xfffe
	s_or_b32 exec_lo, exec_lo, s42
	s_mov_b32 s5, -1
	s_mov_b32 s42, exec_lo
	v_cmpx_gt_i32_e32 0x47, v1
; %bb.346:                              ;   in Loop: Header=BB19_12 Depth=1
	v_cmp_eq_u32_e32 vcc_lo, 0, v1
	s_or_not1_b32 s5, vcc_lo, exec_lo
; %bb.347:                              ;   in Loop: Header=BB19_12 Depth=1
	s_wait_alu 0xfffe
	s_or_b32 exec_lo, exec_lo, s42
	s_delay_alu instid0(SALU_CYCLE_1)
	s_and_b32 exec_lo, exec_lo, s5
	s_cbranch_execz .LBB19_370
; %bb.348:                              ;   in Loop: Header=BB19_12 Depth=1
	s_clause 0x1
	scratch_load_b32 v0, off, off offset:272
	scratch_load_b64 v[1:2], off, off offset:260
	s_wait_loadcnt 0x1
	v_add_nc_u32_e32 v0, s94, v0
	s_wait_loadcnt 0x0
	v_or_b32_e32 v1, s41, v1
	s_delay_alu instid0(VALU_DEP_1)
	v_cmp_gt_i32_e64 s5, s33, v1
	v_mov_b32_e32 v1, 0x47
	v_cmp_gt_i32_e32 vcc_lo, s24, v0
	s_and_b32 s5, vcc_lo, s5
	s_wait_alu 0xfffe
	s_and_saveexec_b32 s42, s5
	s_cbranch_execz .LBB19_350
; %bb.349:                              ;   in Loop: Header=BB19_12 Depth=1
	scratch_load_b32 v2, off, off offset:276 ; 4-byte Folded Reload
	s_wait_loadcnt 0x0
	v_add_nc_u32_e32 v1, v138, v2
	v_add_nc_u32_e32 v5, 0, v2
	ds_load_2addr_stride64_b32 v[1:2], v1 offset1:15
	ds_load_2addr_b32 v[3:4], v5 offset0:56 offset1:57
	ds_load_b32 v5, v5 offset:4064
	scratch_load_b64 v[12:13], off, off offset:260 ; 8-byte Folded Reload
	s_wait_dscnt 0x1
	v_fma_mix_f32 v6, v3, v1, 0 op_sel_hi:[0,1,0]
	v_fma_mix_f32 v1, v3, v1, 0 op_sel:[0,1,0] op_sel_hi:[0,1,0]
	s_wait_dscnt 0x0
	s_delay_alu instid0(VALU_DEP_2) | instskip(NEXT) | instid1(VALU_DEP_2)
	v_fma_mix_f32 v3, v5, v2, v6 op_sel_hi:[0,1,0]
	v_fma_mix_f32 v5, v5, v2, v1 op_sel:[0,1,0] op_sel_hi:[0,1,0]
	s_delay_alu instid0(VALU_DEP_2) | instskip(NEXT) | instid1(VALU_DEP_2)
	v_div_scale_f32 v2, null, v4, v4, v3
	v_div_scale_f32 v6, null, v4, v4, v5
	v_div_scale_f32 v11, s5, v5, v4, v5
	s_delay_alu instid0(VALU_DEP_3) | instskip(NEXT) | instid1(VALU_DEP_2)
	v_rcp_f32_e32 v7, v2
	v_rcp_f32_e32 v8, v6
	v_div_scale_f32 v10, vcc_lo, v3, v4, v3
	s_delay_alu instid0(TRANS32_DEP_2) | instskip(NEXT) | instid1(TRANS32_DEP_1)
	v_fma_f32 v1, -v2, v7, 1.0
	v_fma_f32 v9, -v6, v8, 1.0
	s_delay_alu instid0(VALU_DEP_1) | instskip(NEXT) | instid1(VALU_DEP_3)
	v_fmac_f32_e32 v8, v9, v8
	v_fmac_f32_e32 v7, v1, v7
	s_wait_loadcnt 0x0
	v_mad_co_u64_u32 v[0:1], null, v0, s25, v[12:13]
	s_delay_alu instid0(VALU_DEP_3) | instskip(NEXT) | instid1(VALU_DEP_1)
	v_mul_f32_e32 v12, v11, v8
	v_fma_f32 v14, -v6, v12, v11
	s_delay_alu instid0(VALU_DEP_3) | instskip(NEXT) | instid1(VALU_DEP_2)
	v_mad_co_u64_u32 v[0:1], null, v0, 56, v[60:61]
	v_fmac_f32_e32 v12, v14, v8
	v_mul_f32_e32 v9, v10, v7
	s_delay_alu instid0(VALU_DEP_3) | instskip(NEXT) | instid1(VALU_DEP_3)
	v_ashrrev_i32_e32 v1, 31, v0
	v_fma_f32 v6, -v6, v12, v11
	s_delay_alu instid0(VALU_DEP_3) | instskip(NEXT) | instid1(VALU_DEP_3)
	v_fma_f32 v13, -v2, v9, v10
	v_lshlrev_b64_e32 v[0:1], 3, v[0:1]
	s_delay_alu instid0(VALU_DEP_2) | instskip(NEXT) | instid1(VALU_DEP_1)
	v_fmac_f32_e32 v9, v13, v7
	v_fma_f32 v2, -v2, v9, v10
	s_wait_alu 0xfffd
	s_delay_alu instid0(VALU_DEP_1) | instskip(SKIP_3) | instid1(VALU_DEP_2)
	v_div_fmas_f32 v2, v2, v7, v9
	s_mov_b32 vcc_lo, s5
	s_wait_alu 0xfffe
	v_div_fmas_f32 v6, v6, v8, v12
	v_div_fixup_f32 v2, v2, v4, v3
	s_delay_alu instid0(VALU_DEP_2)
	v_div_fixup_f32 v3, v6, v4, v5
	v_add_co_u32 v4, vcc_lo, s72, v0
	s_wait_alu 0xfffd
	v_add_co_ci_u32_e64 v5, null, s73, v1, vcc_lo
	v_mov_b32_e32 v1, 0
	global_store_b64 v[4:5], v[2:3], off
.LBB19_350:                             ;   in Loop: Header=BB19_12 Depth=1
	s_wait_alu 0xfffe
	s_or_b32 exec_lo, exec_lo, s42
	s_mov_b32 s5, -1
	s_mov_b32 s42, exec_lo
	v_cmpx_gt_i32_e32 0x47, v1
; %bb.351:                              ;   in Loop: Header=BB19_12 Depth=1
	v_cmp_eq_u32_e32 vcc_lo, 0, v1
	s_or_not1_b32 s5, vcc_lo, exec_lo
; %bb.352:                              ;   in Loop: Header=BB19_12 Depth=1
	s_wait_alu 0xfffe
	s_or_b32 exec_lo, exec_lo, s42
	s_delay_alu instid0(SALU_CYCLE_1)
	s_and_b32 exec_lo, exec_lo, s5
	s_cbranch_execz .LBB19_370
; %bb.353:                              ;   in Loop: Header=BB19_12 Depth=1
	scratch_load_b32 v0, off, off offset:280 ; 4-byte Folded Reload
	s_wait_loadcnt 0x0
	v_dual_mov_b32 v1, 0x47 :: v_dual_add_nc_u32 v0, s94, v0
	s_delay_alu instid0(VALU_DEP_1)
	v_cmp_gt_i32_e32 vcc_lo, s24, v0
	s_and_b32 s5, vcc_lo, s4
	s_wait_alu 0xfffe
	s_and_saveexec_b32 s42, s5
	s_cbranch_execz .LBB19_355
; %bb.354:                              ;   in Loop: Header=BB19_12 Depth=1
	scratch_load_b32 v2, off, off offset:292 ; 4-byte Folded Reload
	s_wait_loadcnt 0x0
	v_add_nc_u32_e32 v1, v138, v2
	v_add_nc_u32_e32 v5, 0, v2
	ds_load_2addr_stride64_b32 v[1:2], v1 offset1:15
	ds_load_2addr_b32 v[3:4], v5 offset0:56 offset1:57
	ds_load_b32 v5, v5 offset:4064
	s_wait_dscnt 0x1
	v_fma_mix_f32 v6, v3, v1, 0 op_sel_hi:[0,1,0]
	v_fma_mix_f32 v1, v3, v1, 0 op_sel:[0,1,0] op_sel_hi:[0,1,0]
	s_wait_dscnt 0x0
	s_delay_alu instid0(VALU_DEP_2) | instskip(NEXT) | instid1(VALU_DEP_2)
	v_fma_mix_f32 v3, v5, v2, v6 op_sel_hi:[0,1,0]
	v_fma_mix_f32 v5, v5, v2, v1 op_sel:[0,1,0] op_sel_hi:[0,1,0]
	s_delay_alu instid0(VALU_DEP_2) | instskip(NEXT) | instid1(VALU_DEP_2)
	v_div_scale_f32 v2, null, v4, v4, v3
	v_div_scale_f32 v6, null, v4, v4, v5
	v_div_scale_f32 v11, s5, v5, v4, v5
	s_delay_alu instid0(VALU_DEP_3) | instskip(NEXT) | instid1(VALU_DEP_2)
	v_rcp_f32_e32 v7, v2
	v_rcp_f32_e32 v8, v6
	v_div_scale_f32 v10, vcc_lo, v3, v4, v3
	s_delay_alu instid0(TRANS32_DEP_2) | instskip(NEXT) | instid1(TRANS32_DEP_1)
	v_fma_f32 v1, -v2, v7, 1.0
	v_fma_f32 v9, -v6, v8, 1.0
	s_delay_alu instid0(VALU_DEP_1) | instskip(NEXT) | instid1(VALU_DEP_1)
	v_fmac_f32_e32 v8, v9, v8
	v_mul_f32_e32 v12, v11, v8
	s_delay_alu instid0(VALU_DEP_1) | instskip(SKIP_2) | instid1(VALU_DEP_3)
	v_fma_f32 v14, -v6, v12, v11
	v_fmac_f32_e32 v7, v1, v7
	v_mad_co_u64_u32 v[0:1], null, v0, s25, v[104:105]
	v_fmac_f32_e32 v12, v14, v8
	s_delay_alu instid0(VALU_DEP_3) | instskip(NEXT) | instid1(VALU_DEP_3)
	v_mul_f32_e32 v9, v10, v7
	v_mad_co_u64_u32 v[0:1], null, v0, 56, v[60:61]
	s_delay_alu instid0(VALU_DEP_2) | instskip(NEXT) | instid1(VALU_DEP_4)
	v_fma_f32 v13, -v2, v9, v10
	v_fma_f32 v6, -v6, v12, v11
	s_delay_alu instid0(VALU_DEP_2) | instskip(NEXT) | instid1(VALU_DEP_4)
	v_fmac_f32_e32 v9, v13, v7
	v_ashrrev_i32_e32 v1, 31, v0
	s_delay_alu instid0(VALU_DEP_2) | instskip(NEXT) | instid1(VALU_DEP_2)
	v_fma_f32 v2, -v2, v9, v10
	v_lshlrev_b64_e32 v[0:1], 3, v[0:1]
	s_wait_alu 0xfffd
	s_delay_alu instid0(VALU_DEP_2) | instskip(SKIP_3) | instid1(VALU_DEP_2)
	v_div_fmas_f32 v2, v2, v7, v9
	s_mov_b32 vcc_lo, s5
	s_wait_alu 0xfffe
	v_div_fmas_f32 v6, v6, v8, v12
	v_div_fixup_f32 v2, v2, v4, v3
	s_delay_alu instid0(VALU_DEP_2)
	v_div_fixup_f32 v3, v6, v4, v5
	v_add_co_u32 v4, vcc_lo, s72, v0
	s_wait_alu 0xfffd
	v_add_co_ci_u32_e64 v5, null, s73, v1, vcc_lo
	v_mov_b32_e32 v1, 0
	global_store_b64 v[4:5], v[2:3], off
.LBB19_355:                             ;   in Loop: Header=BB19_12 Depth=1
	s_wait_alu 0xfffe
	s_or_b32 exec_lo, exec_lo, s42
	s_mov_b32 s5, -1
	s_mov_b32 s42, exec_lo
	v_cmpx_gt_i32_e32 0x47, v1
; %bb.356:                              ;   in Loop: Header=BB19_12 Depth=1
	v_cmp_eq_u32_e32 vcc_lo, 0, v1
	s_or_not1_b32 s5, vcc_lo, exec_lo
; %bb.357:                              ;   in Loop: Header=BB19_12 Depth=1
	s_wait_alu 0xfffe
	s_or_b32 exec_lo, exec_lo, s42
	s_delay_alu instid0(SALU_CYCLE_1)
	s_and_b32 exec_lo, exec_lo, s5
	s_cbranch_execz .LBB19_370
; %bb.358:                              ;   in Loop: Header=BB19_12 Depth=1
	s_clause 0x1
	scratch_load_b32 v0, off, off offset:296
	scratch_load_b64 v[1:2], off, off offset:284
	s_wait_loadcnt 0x1
	v_add_nc_u32_e32 v0, s94, v0
	s_wait_loadcnt 0x0
	v_or_b32_e32 v1, s41, v1
	s_delay_alu instid0(VALU_DEP_1)
	v_cmp_gt_i32_e64 s5, s33, v1
	v_mov_b32_e32 v1, 0x47
	v_cmp_gt_i32_e32 vcc_lo, s24, v0
	s_and_b32 s5, vcc_lo, s5
	s_wait_alu 0xfffe
	s_and_saveexec_b32 s42, s5
	s_cbranch_execz .LBB19_360
; %bb.359:                              ;   in Loop: Header=BB19_12 Depth=1
	scratch_load_b32 v2, off, off offset:300 ; 4-byte Folded Reload
	s_wait_loadcnt 0x0
	v_add_nc_u32_e32 v1, v138, v2
	v_add_nc_u32_e32 v5, 0, v2
	ds_load_2addr_stride64_b32 v[1:2], v1 offset1:15
	ds_load_2addr_b32 v[3:4], v5 offset0:56 offset1:57
	ds_load_b32 v5, v5 offset:4064
	scratch_load_b64 v[12:13], off, off offset:284 ; 8-byte Folded Reload
	s_wait_dscnt 0x1
	v_fma_mix_f32 v6, v3, v1, 0 op_sel_hi:[0,1,0]
	v_fma_mix_f32 v1, v3, v1, 0 op_sel:[0,1,0] op_sel_hi:[0,1,0]
	s_wait_dscnt 0x0
	s_delay_alu instid0(VALU_DEP_2) | instskip(NEXT) | instid1(VALU_DEP_2)
	v_fma_mix_f32 v3, v5, v2, v6 op_sel_hi:[0,1,0]
	v_fma_mix_f32 v5, v5, v2, v1 op_sel:[0,1,0] op_sel_hi:[0,1,0]
	s_delay_alu instid0(VALU_DEP_2) | instskip(NEXT) | instid1(VALU_DEP_2)
	v_div_scale_f32 v2, null, v4, v4, v3
	v_div_scale_f32 v6, null, v4, v4, v5
	v_div_scale_f32 v11, s5, v5, v4, v5
	s_delay_alu instid0(VALU_DEP_3) | instskip(NEXT) | instid1(VALU_DEP_2)
	v_rcp_f32_e32 v7, v2
	v_rcp_f32_e32 v8, v6
	v_div_scale_f32 v10, vcc_lo, v3, v4, v3
	s_delay_alu instid0(TRANS32_DEP_2) | instskip(NEXT) | instid1(TRANS32_DEP_1)
	v_fma_f32 v1, -v2, v7, 1.0
	v_fma_f32 v9, -v6, v8, 1.0
	s_delay_alu instid0(VALU_DEP_1) | instskip(NEXT) | instid1(VALU_DEP_3)
	v_fmac_f32_e32 v8, v9, v8
	v_fmac_f32_e32 v7, v1, v7
	s_wait_loadcnt 0x0
	v_mad_co_u64_u32 v[0:1], null, v0, s25, v[12:13]
	s_delay_alu instid0(VALU_DEP_3) | instskip(NEXT) | instid1(VALU_DEP_1)
	v_mul_f32_e32 v12, v11, v8
	v_fma_f32 v14, -v6, v12, v11
	s_delay_alu instid0(VALU_DEP_3) | instskip(NEXT) | instid1(VALU_DEP_2)
	v_mad_co_u64_u32 v[0:1], null, v0, 56, v[60:61]
	v_fmac_f32_e32 v12, v14, v8
	v_mul_f32_e32 v9, v10, v7
	s_delay_alu instid0(VALU_DEP_3) | instskip(NEXT) | instid1(VALU_DEP_3)
	v_ashrrev_i32_e32 v1, 31, v0
	v_fma_f32 v6, -v6, v12, v11
	s_delay_alu instid0(VALU_DEP_3) | instskip(NEXT) | instid1(VALU_DEP_3)
	v_fma_f32 v13, -v2, v9, v10
	v_lshlrev_b64_e32 v[0:1], 3, v[0:1]
	s_delay_alu instid0(VALU_DEP_2) | instskip(NEXT) | instid1(VALU_DEP_1)
	v_fmac_f32_e32 v9, v13, v7
	v_fma_f32 v2, -v2, v9, v10
	s_wait_alu 0xfffd
	s_delay_alu instid0(VALU_DEP_1) | instskip(SKIP_3) | instid1(VALU_DEP_2)
	v_div_fmas_f32 v2, v2, v7, v9
	s_mov_b32 vcc_lo, s5
	s_wait_alu 0xfffe
	v_div_fmas_f32 v6, v6, v8, v12
	v_div_fixup_f32 v2, v2, v4, v3
	s_delay_alu instid0(VALU_DEP_2)
	v_div_fixup_f32 v3, v6, v4, v5
	v_add_co_u32 v4, vcc_lo, s72, v0
	s_wait_alu 0xfffd
	v_add_co_ci_u32_e64 v5, null, s73, v1, vcc_lo
	v_mov_b32_e32 v1, 0
	global_store_b64 v[4:5], v[2:3], off
.LBB19_360:                             ;   in Loop: Header=BB19_12 Depth=1
	s_wait_alu 0xfffe
	s_or_b32 exec_lo, exec_lo, s42
	s_mov_b32 s5, -1
	s_mov_b32 s42, exec_lo
	v_cmpx_gt_i32_e32 0x47, v1
; %bb.361:                              ;   in Loop: Header=BB19_12 Depth=1
	v_cmp_eq_u32_e32 vcc_lo, 0, v1
	s_or_not1_b32 s5, vcc_lo, exec_lo
; %bb.362:                              ;   in Loop: Header=BB19_12 Depth=1
	s_wait_alu 0xfffe
	s_or_b32 exec_lo, exec_lo, s42
	s_delay_alu instid0(SALU_CYCLE_1)
	s_and_b32 exec_lo, exec_lo, s5
	s_cbranch_execz .LBB19_370
; %bb.363:                              ;   in Loop: Header=BB19_12 Depth=1
	scratch_load_b32 v0, off, off offset:304 ; 4-byte Folded Reload
	s_wait_loadcnt 0x0
	v_dual_mov_b32 v1, 0x47 :: v_dual_add_nc_u32 v0, s94, v0
	s_delay_alu instid0(VALU_DEP_1)
	v_cmp_gt_i32_e32 vcc_lo, s24, v0
	s_and_b32 s4, vcc_lo, s4
	s_wait_alu 0xfffe
	s_and_saveexec_b32 s5, s4
	s_cbranch_execz .LBB19_365
; %bb.364:                              ;   in Loop: Header=BB19_12 Depth=1
	scratch_load_b32 v2, off, off offset:316 ; 4-byte Folded Reload
	s_wait_loadcnt 0x0
	v_add_nc_u32_e32 v1, v138, v2
	v_add_nc_u32_e32 v5, 0, v2
	ds_load_2addr_stride64_b32 v[1:2], v1 offset1:15
	ds_load_2addr_b32 v[3:4], v5 offset0:56 offset1:57
	ds_load_b32 v5, v5 offset:4064
	s_wait_dscnt 0x1
	v_fma_mix_f32 v6, v3, v1, 0 op_sel_hi:[0,1,0]
	v_fma_mix_f32 v1, v3, v1, 0 op_sel:[0,1,0] op_sel_hi:[0,1,0]
	s_wait_dscnt 0x0
	s_delay_alu instid0(VALU_DEP_2) | instskip(NEXT) | instid1(VALU_DEP_2)
	v_fma_mix_f32 v3, v5, v2, v6 op_sel_hi:[0,1,0]
	v_fma_mix_f32 v5, v5, v2, v1 op_sel:[0,1,0] op_sel_hi:[0,1,0]
	s_delay_alu instid0(VALU_DEP_2) | instskip(NEXT) | instid1(VALU_DEP_2)
	v_div_scale_f32 v2, null, v4, v4, v3
	v_div_scale_f32 v6, null, v4, v4, v5
	v_div_scale_f32 v11, s4, v5, v4, v5
	s_delay_alu instid0(VALU_DEP_3) | instskip(NEXT) | instid1(VALU_DEP_2)
	v_rcp_f32_e32 v7, v2
	v_rcp_f32_e32 v8, v6
	v_div_scale_f32 v10, vcc_lo, v3, v4, v3
	s_delay_alu instid0(TRANS32_DEP_2) | instskip(NEXT) | instid1(TRANS32_DEP_1)
	v_fma_f32 v1, -v2, v7, 1.0
	v_fma_f32 v9, -v6, v8, 1.0
	s_delay_alu instid0(VALU_DEP_1) | instskip(NEXT) | instid1(VALU_DEP_1)
	v_fmac_f32_e32 v8, v9, v8
	v_mul_f32_e32 v12, v11, v8
	s_delay_alu instid0(VALU_DEP_1) | instskip(SKIP_2) | instid1(VALU_DEP_3)
	v_fma_f32 v14, -v6, v12, v11
	v_fmac_f32_e32 v7, v1, v7
	v_mad_co_u64_u32 v[0:1], null, v0, s25, v[104:105]
	v_fmac_f32_e32 v12, v14, v8
	s_delay_alu instid0(VALU_DEP_3) | instskip(NEXT) | instid1(VALU_DEP_3)
	v_mul_f32_e32 v9, v10, v7
	v_mad_co_u64_u32 v[0:1], null, v0, 56, v[60:61]
	s_delay_alu instid0(VALU_DEP_2) | instskip(NEXT) | instid1(VALU_DEP_4)
	v_fma_f32 v13, -v2, v9, v10
	v_fma_f32 v6, -v6, v12, v11
	s_delay_alu instid0(VALU_DEP_2) | instskip(NEXT) | instid1(VALU_DEP_4)
	v_fmac_f32_e32 v9, v13, v7
	v_ashrrev_i32_e32 v1, 31, v0
	s_delay_alu instid0(VALU_DEP_2) | instskip(NEXT) | instid1(VALU_DEP_2)
	v_fma_f32 v2, -v2, v9, v10
	v_lshlrev_b64_e32 v[0:1], 3, v[0:1]
	s_wait_alu 0xfffd
	s_delay_alu instid0(VALU_DEP_2) | instskip(SKIP_3) | instid1(VALU_DEP_2)
	v_div_fmas_f32 v2, v2, v7, v9
	s_mov_b32 vcc_lo, s4
	s_wait_alu 0xfffe
	v_div_fmas_f32 v6, v6, v8, v12
	v_div_fixup_f32 v2, v2, v4, v3
	s_delay_alu instid0(VALU_DEP_2)
	v_div_fixup_f32 v3, v6, v4, v5
	v_add_co_u32 v4, vcc_lo, s72, v0
	s_wait_alu 0xfffd
	v_add_co_ci_u32_e64 v5, null, s73, v1, vcc_lo
	v_mov_b32_e32 v1, 0
	global_store_b64 v[4:5], v[2:3], off
.LBB19_365:                             ;   in Loop: Header=BB19_12 Depth=1
	s_wait_alu 0xfffe
	s_or_b32 exec_lo, exec_lo, s5
	s_mov_b32 s4, -1
	s_mov_b32 s5, exec_lo
	v_cmpx_gt_i32_e32 0x47, v1
; %bb.366:                              ;   in Loop: Header=BB19_12 Depth=1
	v_cmp_eq_u32_e32 vcc_lo, 0, v1
	s_or_not1_b32 s4, vcc_lo, exec_lo
; %bb.367:                              ;   in Loop: Header=BB19_12 Depth=1
	s_wait_alu 0xfffe
	s_or_b32 exec_lo, exec_lo, s5
	s_delay_alu instid0(SALU_CYCLE_1)
	s_and_b32 exec_lo, exec_lo, s4
	s_cbranch_execz .LBB19_370
; %bb.368:                              ;   in Loop: Header=BB19_12 Depth=1
	s_clause 0x1
	scratch_load_b32 v0, off, off offset:320
	scratch_load_b64 v[1:2], off, off offset:308
	s_wait_loadcnt 0x1
	v_add_nc_u32_e32 v0, s94, v0
	s_wait_loadcnt 0x0
	v_or_b32_e32 v1, s41, v1
	s_delay_alu instid0(VALU_DEP_2) | instskip(NEXT) | instid1(VALU_DEP_2)
	v_cmp_gt_i32_e32 vcc_lo, s24, v0
	v_cmp_gt_i32_e64 s4, s33, v1
	s_and_b32 s4, vcc_lo, s4
	s_wait_alu 0xfffe
	s_and_b32 exec_lo, exec_lo, s4
	s_cbranch_execz .LBB19_370
; %bb.369:                              ;   in Loop: Header=BB19_12 Depth=1
	scratch_load_b32 v2, off, off offset:324 ; 4-byte Folded Reload
	s_wait_loadcnt 0x0
	v_add_nc_u32_e32 v1, v138, v2
	v_add_nc_u32_e32 v5, 0, v2
	ds_load_2addr_stride64_b32 v[1:2], v1 offset1:15
	ds_load_2addr_b32 v[3:4], v5 offset0:56 offset1:57
	ds_load_b32 v5, v5 offset:4064
	scratch_load_b64 v[12:13], off, off offset:308 ; 8-byte Folded Reload
	s_wait_dscnt 0x1
	v_fma_mix_f32 v6, v3, v1, 0 op_sel_hi:[0,1,0]
	v_fma_mix_f32 v1, v3, v1, 0 op_sel:[0,1,0] op_sel_hi:[0,1,0]
	s_wait_dscnt 0x0
	s_delay_alu instid0(VALU_DEP_2) | instskip(NEXT) | instid1(VALU_DEP_2)
	v_fma_mix_f32 v3, v5, v2, v6 op_sel_hi:[0,1,0]
	v_fma_mix_f32 v5, v5, v2, v1 op_sel:[0,1,0] op_sel_hi:[0,1,0]
	s_delay_alu instid0(VALU_DEP_2) | instskip(NEXT) | instid1(VALU_DEP_2)
	v_div_scale_f32 v2, null, v4, v4, v3
	v_div_scale_f32 v6, null, v4, v4, v5
	v_div_scale_f32 v11, s4, v5, v4, v5
	s_delay_alu instid0(VALU_DEP_3) | instskip(NEXT) | instid1(VALU_DEP_2)
	v_rcp_f32_e32 v7, v2
	v_rcp_f32_e32 v8, v6
	v_div_scale_f32 v10, vcc_lo, v3, v4, v3
	s_delay_alu instid0(TRANS32_DEP_2) | instskip(NEXT) | instid1(TRANS32_DEP_1)
	v_fma_f32 v1, -v2, v7, 1.0
	v_fma_f32 v9, -v6, v8, 1.0
	s_delay_alu instid0(VALU_DEP_1) | instskip(NEXT) | instid1(VALU_DEP_3)
	v_fmac_f32_e32 v8, v9, v8
	v_fmac_f32_e32 v7, v1, v7
	s_wait_loadcnt 0x0
	v_mad_co_u64_u32 v[0:1], null, v0, s25, v[12:13]
	s_delay_alu instid0(VALU_DEP_3) | instskip(NEXT) | instid1(VALU_DEP_1)
	v_mul_f32_e32 v12, v11, v8
	v_fma_f32 v14, -v6, v12, v11
	s_delay_alu instid0(VALU_DEP_3) | instskip(NEXT) | instid1(VALU_DEP_2)
	v_mad_co_u64_u32 v[0:1], null, v0, 56, v[60:61]
	v_fmac_f32_e32 v12, v14, v8
	v_mul_f32_e32 v9, v10, v7
	s_delay_alu instid0(VALU_DEP_3) | instskip(NEXT) | instid1(VALU_DEP_3)
	v_ashrrev_i32_e32 v1, 31, v0
	v_fma_f32 v6, -v6, v12, v11
	s_delay_alu instid0(VALU_DEP_3) | instskip(NEXT) | instid1(VALU_DEP_3)
	v_fma_f32 v13, -v2, v9, v10
	v_lshlrev_b64_e32 v[0:1], 3, v[0:1]
	s_delay_alu instid0(VALU_DEP_2) | instskip(NEXT) | instid1(VALU_DEP_1)
	v_fmac_f32_e32 v9, v13, v7
	v_fma_f32 v2, -v2, v9, v10
	s_wait_alu 0xfffd
	s_delay_alu instid0(VALU_DEP_1)
	v_div_fmas_f32 v2, v2, v7, v9
	s_mov_b32 vcc_lo, s4
	s_wait_alu 0xfffe
	v_div_fmas_f32 v6, v6, v8, v12
	v_add_co_u32 v0, vcc_lo, s72, v0
	v_div_fixup_f32 v2, v2, v4, v3
	s_wait_alu 0xfffd
	v_add_co_ci_u32_e64 v1, null, s73, v1, vcc_lo
	v_div_fixup_f32 v3, v6, v4, v5
	global_store_b64 v[0:1], v[2:3], off
.LBB19_370:                             ;   in Loop: Header=BB19_12 Depth=1
	s_wait_alu 0xfffe
	s_or_b32 exec_lo, exec_lo, s6
	v_add_nc_u32_e32 v0, s94, v181
	v_or_b32_e32 v1, s41, v93
	s_delay_alu instid0(VALU_DEP_1) | instskip(SKIP_1) | instid1(VALU_DEP_4)
	v_cmp_gt_i32_e64 s4, s33, v1
	v_mov_b32_e32 v1, 0x47
	v_cmp_gt_i32_e32 vcc_lo, s24, v0
	s_and_b32 s5, vcc_lo, s4
	s_wait_alu 0xfffe
	s_and_saveexec_b32 s41, s5
	s_cbranch_execz .LBB19_372
; %bb.371:                              ;   in Loop: Header=BB19_12 Depth=1
	v_add_nc_u32_e32 v1, v206, v182
	v_add_nc_u32_e32 v5, 0, v182
	s_delay_alu instid0(VALU_DEP_2)
	v_add_nc_u32_e32 v1, 0x80, v1
	ds_load_2addr_stride64_b32 v[1:2], v1 offset1:15
	ds_load_2addr_b32 v[3:4], v5 offset0:56 offset1:57
	ds_load_b32 v5, v5 offset:4064
	s_wait_dscnt 0x1
	v_fma_mix_f32 v6, v3, v1, 0 op_sel_hi:[0,1,0]
	v_fma_mix_f32 v1, v3, v1, 0 op_sel:[0,1,0] op_sel_hi:[0,1,0]
	s_wait_dscnt 0x0
	s_delay_alu instid0(VALU_DEP_2) | instskip(NEXT) | instid1(VALU_DEP_2)
	v_fma_mix_f32 v3, v5, v2, v6 op_sel_hi:[0,1,0]
	v_fma_mix_f32 v5, v5, v2, v1 op_sel:[0,1,0] op_sel_hi:[0,1,0]
	v_mad_co_u64_u32 v[0:1], null, v0, s25, v[93:94]
	s_delay_alu instid0(VALU_DEP_3) | instskip(NEXT) | instid1(VALU_DEP_3)
	v_div_scale_f32 v2, null, v4, v4, v3
	v_div_scale_f32 v6, null, v4, v4, v5
	v_div_scale_f32 v1, vcc_lo, v3, v4, v3
	s_delay_alu instid0(VALU_DEP_3) | instskip(NEXT) | instid1(VALU_DEP_2)
	v_rcp_f32_e32 v7, v2
	v_rcp_f32_e32 v8, v6
	s_delay_alu instid0(VALU_DEP_4) | instskip(NEXT) | instid1(TRANS32_DEP_2)
	v_mul_lo_u32 v0, v0, 56
	v_fma_f32 v9, -v2, v7, 1.0
	s_delay_alu instid0(TRANS32_DEP_1) | instskip(NEXT) | instid1(VALU_DEP_2)
	v_fma_f32 v10, -v6, v8, 1.0
	v_fmac_f32_e32 v7, v9, v7
	v_div_scale_f32 v9, s5, v5, v4, v5
	s_delay_alu instid0(VALU_DEP_3) | instskip(NEXT) | instid1(VALU_DEP_3)
	v_fmac_f32_e32 v8, v10, v8
	v_mul_f32_e32 v10, v1, v7
	s_delay_alu instid0(VALU_DEP_2) | instskip(NEXT) | instid1(VALU_DEP_2)
	v_mul_f32_e32 v11, v9, v8
	v_fma_f32 v12, -v2, v10, v1
	s_delay_alu instid0(VALU_DEP_2) | instskip(NEXT) | instid1(VALU_DEP_2)
	v_fma_f32 v13, -v6, v11, v9
	v_fmac_f32_e32 v10, v12, v7
	v_ashrrev_i32_e32 v12, 31, v0
	v_add_co_u32 v0, s6, v0, v128
	s_delay_alu instid0(VALU_DEP_4) | instskip(NEXT) | instid1(VALU_DEP_4)
	v_fmac_f32_e32 v11, v13, v8
	v_fma_f32 v2, -v2, v10, v1
	s_wait_alu 0xf1ff
	v_add_co_ci_u32_e64 v1, null, 0, v12, s6
	s_delay_alu instid0(VALU_DEP_3)
	v_fma_f32 v6, -v6, v11, v9
	s_wait_alu 0xfffd
	v_div_fmas_f32 v2, v2, v7, v10
	s_mov_b32 vcc_lo, s5
	v_lshlrev_b64_e32 v[0:1], 3, v[0:1]
	s_wait_alu 0xfffe
	v_div_fmas_f32 v6, v6, v8, v11
	v_div_fixup_f32 v2, v2, v4, v3
	s_delay_alu instid0(VALU_DEP_2) | instskip(NEXT) | instid1(VALU_DEP_4)
	v_div_fixup_f32 v3, v6, v4, v5
	v_add_co_u32 v4, vcc_lo, s72, v0
	s_wait_alu 0xfffd
	v_add_co_ci_u32_e64 v5, null, s73, v1, vcc_lo
	v_mov_b32_e32 v1, 0
	global_store_b64 v[4:5], v[2:3], off offset:256
.LBB19_372:                             ;   in Loop: Header=BB19_12 Depth=1
	s_wait_alu 0xfffe
	s_or_b32 exec_lo, exec_lo, s41
	s_mov_b32 s5, -1
	s_mov_b32 s6, exec_lo
	v_cmpx_gt_i32_e32 0x47, v1
; %bb.373:                              ;   in Loop: Header=BB19_12 Depth=1
	v_cmp_eq_u32_e32 vcc_lo, 0, v1
	s_or_not1_b32 s5, vcc_lo, exec_lo
; %bb.374:                              ;   in Loop: Header=BB19_12 Depth=1
	s_wait_alu 0xfffe
	s_or_b32 exec_lo, exec_lo, s6
	s_and_saveexec_b32 s41, s5
	s_cbranch_execz .LBB19_407
; %bb.375:                              ;   in Loop: Header=BB19_12 Depth=1
	v_dual_mov_b32 v1, 0x47 :: v_dual_add_nc_u32 v0, s94, v117
	s_delay_alu instid0(VALU_DEP_1)
	v_cmp_gt_i32_e32 vcc_lo, s24, v0
	s_and_b32 s5, vcc_lo, s4
	s_wait_alu 0xfffe
	s_and_saveexec_b32 s42, s5
	s_cbranch_execz .LBB19_377
; %bb.376:                              ;   in Loop: Header=BB19_12 Depth=1
	v_add_nc_u32_e32 v1, v206, v160
	v_add_nc_u32_e32 v5, 0, v160
	s_delay_alu instid0(VALU_DEP_2)
	v_add_nc_u32_e32 v1, 0x80, v1
	ds_load_2addr_stride64_b32 v[1:2], v1 offset1:15
	ds_load_2addr_b32 v[3:4], v5 offset0:56 offset1:57
	ds_load_b32 v5, v5 offset:4064
	s_wait_dscnt 0x1
	v_fma_mix_f32 v6, v3, v1, 0 op_sel_hi:[0,1,0]
	v_fma_mix_f32 v1, v3, v1, 0 op_sel:[0,1,0] op_sel_hi:[0,1,0]
	s_wait_dscnt 0x0
	s_delay_alu instid0(VALU_DEP_2) | instskip(NEXT) | instid1(VALU_DEP_2)
	v_fma_mix_f32 v3, v5, v2, v6 op_sel_hi:[0,1,0]
	v_fma_mix_f32 v5, v5, v2, v1 op_sel:[0,1,0] op_sel_hi:[0,1,0]
	v_mad_co_u64_u32 v[0:1], null, v0, s25, v[93:94]
	s_delay_alu instid0(VALU_DEP_3) | instskip(NEXT) | instid1(VALU_DEP_3)
	v_div_scale_f32 v2, null, v4, v4, v3
	v_div_scale_f32 v6, null, v4, v4, v5
	v_div_scale_f32 v1, vcc_lo, v3, v4, v3
	s_delay_alu instid0(VALU_DEP_3) | instskip(NEXT) | instid1(VALU_DEP_2)
	v_rcp_f32_e32 v7, v2
	v_rcp_f32_e32 v8, v6
	s_delay_alu instid0(VALU_DEP_4) | instskip(NEXT) | instid1(TRANS32_DEP_2)
	v_mul_lo_u32 v0, v0, 56
	v_fma_f32 v9, -v2, v7, 1.0
	s_delay_alu instid0(TRANS32_DEP_1) | instskip(NEXT) | instid1(VALU_DEP_2)
	v_fma_f32 v10, -v6, v8, 1.0
	v_fmac_f32_e32 v7, v9, v7
	v_div_scale_f32 v9, s5, v5, v4, v5
	s_delay_alu instid0(VALU_DEP_3) | instskip(NEXT) | instid1(VALU_DEP_3)
	v_fmac_f32_e32 v8, v10, v8
	v_mul_f32_e32 v10, v1, v7
	s_delay_alu instid0(VALU_DEP_2) | instskip(NEXT) | instid1(VALU_DEP_2)
	v_mul_f32_e32 v11, v9, v8
	v_fma_f32 v12, -v2, v10, v1
	s_delay_alu instid0(VALU_DEP_2) | instskip(NEXT) | instid1(VALU_DEP_2)
	v_fma_f32 v13, -v6, v11, v9
	v_fmac_f32_e32 v10, v12, v7
	v_ashrrev_i32_e32 v12, 31, v0
	v_add_co_u32 v0, s6, v0, v128
	s_delay_alu instid0(VALU_DEP_4) | instskip(NEXT) | instid1(VALU_DEP_4)
	v_fmac_f32_e32 v11, v13, v8
	v_fma_f32 v2, -v2, v10, v1
	s_wait_alu 0xf1ff
	v_add_co_ci_u32_e64 v1, null, 0, v12, s6
	s_delay_alu instid0(VALU_DEP_3)
	v_fma_f32 v6, -v6, v11, v9
	s_wait_alu 0xfffd
	v_div_fmas_f32 v2, v2, v7, v10
	s_mov_b32 vcc_lo, s5
	v_lshlrev_b64_e32 v[0:1], 3, v[0:1]
	s_wait_alu 0xfffe
	v_div_fmas_f32 v6, v6, v8, v11
	v_div_fixup_f32 v2, v2, v4, v3
	s_delay_alu instid0(VALU_DEP_2) | instskip(NEXT) | instid1(VALU_DEP_4)
	v_div_fixup_f32 v3, v6, v4, v5
	v_add_co_u32 v4, vcc_lo, s72, v0
	s_wait_alu 0xfffd
	v_add_co_ci_u32_e64 v5, null, s73, v1, vcc_lo
	v_mov_b32_e32 v1, 0
	global_store_b64 v[4:5], v[2:3], off offset:256
.LBB19_377:                             ;   in Loop: Header=BB19_12 Depth=1
	s_wait_alu 0xfffe
	s_or_b32 exec_lo, exec_lo, s42
	s_mov_b32 s5, -1
	s_mov_b32 s6, exec_lo
	v_cmpx_gt_i32_e32 0x47, v1
; %bb.378:                              ;   in Loop: Header=BB19_12 Depth=1
	v_cmp_eq_u32_e32 vcc_lo, 0, v1
	s_or_not1_b32 s5, vcc_lo, exec_lo
; %bb.379:                              ;   in Loop: Header=BB19_12 Depth=1
	s_wait_alu 0xfffe
	s_or_b32 exec_lo, exec_lo, s6
	s_delay_alu instid0(SALU_CYCLE_1)
	s_and_b32 exec_lo, exec_lo, s5
	s_cbranch_execz .LBB19_407
; %bb.380:                              ;   in Loop: Header=BB19_12 Depth=1
	scratch_load_b32 v0, off, off offset:96 ; 4-byte Folded Reload
	s_wait_loadcnt 0x0
	v_dual_mov_b32 v1, 0x47 :: v_dual_add_nc_u32 v0, s94, v0
	s_delay_alu instid0(VALU_DEP_1)
	v_cmp_gt_i32_e32 vcc_lo, s24, v0
	s_and_b32 s5, vcc_lo, s4
	s_wait_alu 0xfffe
	s_and_saveexec_b32 s42, s5
	s_cbranch_execz .LBB19_382
; %bb.381:                              ;   in Loop: Header=BB19_12 Depth=1
	scratch_load_b32 v2, off, off offset:116 ; 4-byte Folded Reload
	s_wait_loadcnt 0x0
	v_add_nc_u32_e32 v1, v206, v2
	v_add_nc_u32_e32 v5, 0, v2
	s_delay_alu instid0(VALU_DEP_2)
	v_add_nc_u32_e32 v1, 0x80, v1
	ds_load_2addr_stride64_b32 v[1:2], v1 offset1:15
	ds_load_2addr_b32 v[3:4], v5 offset0:56 offset1:57
	ds_load_b32 v5, v5 offset:4064
	s_wait_dscnt 0x1
	v_fma_mix_f32 v6, v3, v1, 0 op_sel_hi:[0,1,0]
	v_fma_mix_f32 v1, v3, v1, 0 op_sel:[0,1,0] op_sel_hi:[0,1,0]
	s_wait_dscnt 0x0
	s_delay_alu instid0(VALU_DEP_2) | instskip(NEXT) | instid1(VALU_DEP_2)
	v_fma_mix_f32 v3, v5, v2, v6 op_sel_hi:[0,1,0]
	v_fma_mix_f32 v5, v5, v2, v1 op_sel:[0,1,0] op_sel_hi:[0,1,0]
	v_mad_co_u64_u32 v[0:1], null, v0, s25, v[93:94]
	s_delay_alu instid0(VALU_DEP_3) | instskip(NEXT) | instid1(VALU_DEP_3)
	v_div_scale_f32 v2, null, v4, v4, v3
	v_div_scale_f32 v6, null, v4, v4, v5
	v_div_scale_f32 v1, vcc_lo, v3, v4, v3
	s_delay_alu instid0(VALU_DEP_3) | instskip(NEXT) | instid1(VALU_DEP_2)
	v_rcp_f32_e32 v7, v2
	v_rcp_f32_e32 v8, v6
	s_delay_alu instid0(VALU_DEP_4) | instskip(NEXT) | instid1(TRANS32_DEP_2)
	v_mul_lo_u32 v0, v0, 56
	v_fma_f32 v9, -v2, v7, 1.0
	s_delay_alu instid0(TRANS32_DEP_1) | instskip(NEXT) | instid1(VALU_DEP_2)
	v_fma_f32 v10, -v6, v8, 1.0
	v_fmac_f32_e32 v7, v9, v7
	v_div_scale_f32 v9, s5, v5, v4, v5
	s_delay_alu instid0(VALU_DEP_3) | instskip(NEXT) | instid1(VALU_DEP_3)
	v_fmac_f32_e32 v8, v10, v8
	v_mul_f32_e32 v10, v1, v7
	s_delay_alu instid0(VALU_DEP_2) | instskip(NEXT) | instid1(VALU_DEP_2)
	v_mul_f32_e32 v11, v9, v8
	v_fma_f32 v12, -v2, v10, v1
	s_delay_alu instid0(VALU_DEP_2) | instskip(NEXT) | instid1(VALU_DEP_2)
	v_fma_f32 v13, -v6, v11, v9
	v_fmac_f32_e32 v10, v12, v7
	v_ashrrev_i32_e32 v12, 31, v0
	v_add_co_u32 v0, s6, v0, v128
	s_delay_alu instid0(VALU_DEP_4) | instskip(NEXT) | instid1(VALU_DEP_4)
	v_fmac_f32_e32 v11, v13, v8
	v_fma_f32 v2, -v2, v10, v1
	s_wait_alu 0xf1ff
	v_add_co_ci_u32_e64 v1, null, 0, v12, s6
	s_delay_alu instid0(VALU_DEP_3)
	v_fma_f32 v6, -v6, v11, v9
	s_wait_alu 0xfffd
	v_div_fmas_f32 v2, v2, v7, v10
	s_mov_b32 vcc_lo, s5
	v_lshlrev_b64_e32 v[0:1], 3, v[0:1]
	s_wait_alu 0xfffe
	v_div_fmas_f32 v6, v6, v8, v11
	v_div_fixup_f32 v2, v2, v4, v3
	s_delay_alu instid0(VALU_DEP_2) | instskip(NEXT) | instid1(VALU_DEP_4)
	v_div_fixup_f32 v3, v6, v4, v5
	v_add_co_u32 v4, vcc_lo, s72, v0
	s_wait_alu 0xfffd
	v_add_co_ci_u32_e64 v5, null, s73, v1, vcc_lo
	v_mov_b32_e32 v1, 0
	global_store_b64 v[4:5], v[2:3], off offset:256
.LBB19_382:                             ;   in Loop: Header=BB19_12 Depth=1
	s_wait_alu 0xfffe
	s_or_b32 exec_lo, exec_lo, s42
	s_mov_b32 s5, -1
	s_mov_b32 s6, exec_lo
	v_cmpx_gt_i32_e32 0x47, v1
; %bb.383:                              ;   in Loop: Header=BB19_12 Depth=1
	v_cmp_eq_u32_e32 vcc_lo, 0, v1
	s_or_not1_b32 s5, vcc_lo, exec_lo
; %bb.384:                              ;   in Loop: Header=BB19_12 Depth=1
	s_wait_alu 0xfffe
	s_or_b32 exec_lo, exec_lo, s6
	s_delay_alu instid0(SALU_CYCLE_1)
	s_and_b32 exec_lo, exec_lo, s5
	s_cbranch_execz .LBB19_407
; %bb.385:                              ;   in Loop: Header=BB19_12 Depth=1
	scratch_load_b32 v0, off, off offset:120 ; 4-byte Folded Reload
	s_wait_loadcnt 0x0
	v_dual_mov_b32 v1, 0x47 :: v_dual_add_nc_u32 v0, s94, v0
	s_delay_alu instid0(VALU_DEP_1)
	v_cmp_gt_i32_e32 vcc_lo, s24, v0
	s_and_b32 s5, vcc_lo, s4
	s_wait_alu 0xfffe
	s_and_saveexec_b32 s42, s5
	s_cbranch_execz .LBB19_387
; %bb.386:                              ;   in Loop: Header=BB19_12 Depth=1
	scratch_load_b32 v2, off, off offset:144 ; 4-byte Folded Reload
	s_wait_loadcnt 0x0
	v_add_nc_u32_e32 v1, v206, v2
	v_add_nc_u32_e32 v5, 0, v2
	s_delay_alu instid0(VALU_DEP_2)
	v_add_nc_u32_e32 v1, 0x80, v1
	ds_load_2addr_stride64_b32 v[1:2], v1 offset1:15
	ds_load_2addr_b32 v[3:4], v5 offset0:56 offset1:57
	ds_load_b32 v5, v5 offset:4064
	s_wait_dscnt 0x1
	v_fma_mix_f32 v6, v3, v1, 0 op_sel_hi:[0,1,0]
	v_fma_mix_f32 v1, v3, v1, 0 op_sel:[0,1,0] op_sel_hi:[0,1,0]
	s_wait_dscnt 0x0
	s_delay_alu instid0(VALU_DEP_2) | instskip(NEXT) | instid1(VALU_DEP_2)
	v_fma_mix_f32 v3, v5, v2, v6 op_sel_hi:[0,1,0]
	v_fma_mix_f32 v5, v5, v2, v1 op_sel:[0,1,0] op_sel_hi:[0,1,0]
	v_mad_co_u64_u32 v[0:1], null, v0, s25, v[93:94]
	s_delay_alu instid0(VALU_DEP_3) | instskip(NEXT) | instid1(VALU_DEP_3)
	v_div_scale_f32 v2, null, v4, v4, v3
	v_div_scale_f32 v6, null, v4, v4, v5
	v_div_scale_f32 v1, vcc_lo, v3, v4, v3
	s_delay_alu instid0(VALU_DEP_3) | instskip(NEXT) | instid1(VALU_DEP_2)
	v_rcp_f32_e32 v7, v2
	v_rcp_f32_e32 v8, v6
	s_delay_alu instid0(VALU_DEP_4) | instskip(NEXT) | instid1(TRANS32_DEP_2)
	v_mul_lo_u32 v0, v0, 56
	v_fma_f32 v9, -v2, v7, 1.0
	s_delay_alu instid0(TRANS32_DEP_1) | instskip(NEXT) | instid1(VALU_DEP_2)
	v_fma_f32 v10, -v6, v8, 1.0
	v_fmac_f32_e32 v7, v9, v7
	v_div_scale_f32 v9, s5, v5, v4, v5
	s_delay_alu instid0(VALU_DEP_3) | instskip(NEXT) | instid1(VALU_DEP_3)
	v_fmac_f32_e32 v8, v10, v8
	v_mul_f32_e32 v10, v1, v7
	s_delay_alu instid0(VALU_DEP_2) | instskip(NEXT) | instid1(VALU_DEP_2)
	v_mul_f32_e32 v11, v9, v8
	v_fma_f32 v12, -v2, v10, v1
	s_delay_alu instid0(VALU_DEP_2) | instskip(NEXT) | instid1(VALU_DEP_2)
	v_fma_f32 v13, -v6, v11, v9
	v_fmac_f32_e32 v10, v12, v7
	v_ashrrev_i32_e32 v12, 31, v0
	v_add_co_u32 v0, s6, v0, v128
	s_delay_alu instid0(VALU_DEP_4) | instskip(NEXT) | instid1(VALU_DEP_4)
	v_fmac_f32_e32 v11, v13, v8
	v_fma_f32 v2, -v2, v10, v1
	s_wait_alu 0xf1ff
	v_add_co_ci_u32_e64 v1, null, 0, v12, s6
	s_delay_alu instid0(VALU_DEP_3)
	v_fma_f32 v6, -v6, v11, v9
	s_wait_alu 0xfffd
	v_div_fmas_f32 v2, v2, v7, v10
	s_mov_b32 vcc_lo, s5
	v_lshlrev_b64_e32 v[0:1], 3, v[0:1]
	s_wait_alu 0xfffe
	v_div_fmas_f32 v6, v6, v8, v11
	v_div_fixup_f32 v2, v2, v4, v3
	s_delay_alu instid0(VALU_DEP_2) | instskip(NEXT) | instid1(VALU_DEP_4)
	v_div_fixup_f32 v3, v6, v4, v5
	v_add_co_u32 v4, vcc_lo, s72, v0
	s_wait_alu 0xfffd
	v_add_co_ci_u32_e64 v5, null, s73, v1, vcc_lo
	v_mov_b32_e32 v1, 0
	global_store_b64 v[4:5], v[2:3], off offset:256
.LBB19_387:                             ;   in Loop: Header=BB19_12 Depth=1
	s_wait_alu 0xfffe
	s_or_b32 exec_lo, exec_lo, s42
	s_mov_b32 s5, -1
	s_mov_b32 s6, exec_lo
	v_cmpx_gt_i32_e32 0x47, v1
; %bb.388:                              ;   in Loop: Header=BB19_12 Depth=1
	v_cmp_eq_u32_e32 vcc_lo, 0, v1
	s_or_not1_b32 s5, vcc_lo, exec_lo
; %bb.389:                              ;   in Loop: Header=BB19_12 Depth=1
	s_wait_alu 0xfffe
	s_or_b32 exec_lo, exec_lo, s6
	s_delay_alu instid0(SALU_CYCLE_1)
	s_and_b32 exec_lo, exec_lo, s5
	s_cbranch_execz .LBB19_407
; %bb.390:                              ;   in Loop: Header=BB19_12 Depth=1
	scratch_load_b32 v0, off, off offset:148 ; 4-byte Folded Reload
	s_wait_loadcnt 0x0
	v_dual_mov_b32 v1, 0x47 :: v_dual_add_nc_u32 v0, s94, v0
	s_delay_alu instid0(VALU_DEP_1)
	v_cmp_gt_i32_e32 vcc_lo, s24, v0
	s_and_b32 s5, vcc_lo, s4
	s_wait_alu 0xfffe
	s_and_saveexec_b32 s42, s5
	s_cbranch_execz .LBB19_392
; %bb.391:                              ;   in Loop: Header=BB19_12 Depth=1
	scratch_load_b32 v2, off, off offset:172 ; 4-byte Folded Reload
	s_wait_loadcnt 0x0
	v_add_nc_u32_e32 v1, v206, v2
	v_add_nc_u32_e32 v5, 0, v2
	s_delay_alu instid0(VALU_DEP_2)
	v_add_nc_u32_e32 v1, 0x80, v1
	ds_load_2addr_stride64_b32 v[1:2], v1 offset1:15
	ds_load_2addr_b32 v[3:4], v5 offset0:56 offset1:57
	ds_load_b32 v5, v5 offset:4064
	s_wait_dscnt 0x1
	v_fma_mix_f32 v6, v3, v1, 0 op_sel_hi:[0,1,0]
	v_fma_mix_f32 v1, v3, v1, 0 op_sel:[0,1,0] op_sel_hi:[0,1,0]
	s_wait_dscnt 0x0
	s_delay_alu instid0(VALU_DEP_2) | instskip(NEXT) | instid1(VALU_DEP_2)
	v_fma_mix_f32 v3, v5, v2, v6 op_sel_hi:[0,1,0]
	v_fma_mix_f32 v5, v5, v2, v1 op_sel:[0,1,0] op_sel_hi:[0,1,0]
	v_mad_co_u64_u32 v[0:1], null, v0, s25, v[93:94]
	s_delay_alu instid0(VALU_DEP_3) | instskip(NEXT) | instid1(VALU_DEP_3)
	v_div_scale_f32 v2, null, v4, v4, v3
	v_div_scale_f32 v6, null, v4, v4, v5
	v_div_scale_f32 v1, vcc_lo, v3, v4, v3
	s_delay_alu instid0(VALU_DEP_3) | instskip(NEXT) | instid1(VALU_DEP_2)
	v_rcp_f32_e32 v7, v2
	v_rcp_f32_e32 v8, v6
	s_delay_alu instid0(VALU_DEP_4) | instskip(NEXT) | instid1(TRANS32_DEP_2)
	v_mul_lo_u32 v0, v0, 56
	v_fma_f32 v9, -v2, v7, 1.0
	s_delay_alu instid0(TRANS32_DEP_1) | instskip(NEXT) | instid1(VALU_DEP_2)
	v_fma_f32 v10, -v6, v8, 1.0
	v_fmac_f32_e32 v7, v9, v7
	v_div_scale_f32 v9, s5, v5, v4, v5
	s_delay_alu instid0(VALU_DEP_3) | instskip(NEXT) | instid1(VALU_DEP_3)
	v_fmac_f32_e32 v8, v10, v8
	v_mul_f32_e32 v10, v1, v7
	s_delay_alu instid0(VALU_DEP_2) | instskip(NEXT) | instid1(VALU_DEP_2)
	v_mul_f32_e32 v11, v9, v8
	v_fma_f32 v12, -v2, v10, v1
	s_delay_alu instid0(VALU_DEP_2) | instskip(NEXT) | instid1(VALU_DEP_2)
	v_fma_f32 v13, -v6, v11, v9
	v_fmac_f32_e32 v10, v12, v7
	v_ashrrev_i32_e32 v12, 31, v0
	v_add_co_u32 v0, s6, v0, v128
	s_delay_alu instid0(VALU_DEP_4) | instskip(NEXT) | instid1(VALU_DEP_4)
	v_fmac_f32_e32 v11, v13, v8
	v_fma_f32 v2, -v2, v10, v1
	s_wait_alu 0xf1ff
	v_add_co_ci_u32_e64 v1, null, 0, v12, s6
	s_delay_alu instid0(VALU_DEP_3)
	v_fma_f32 v6, -v6, v11, v9
	s_wait_alu 0xfffd
	v_div_fmas_f32 v2, v2, v7, v10
	s_mov_b32 vcc_lo, s5
	v_lshlrev_b64_e32 v[0:1], 3, v[0:1]
	s_wait_alu 0xfffe
	v_div_fmas_f32 v6, v6, v8, v11
	v_div_fixup_f32 v2, v2, v4, v3
	s_delay_alu instid0(VALU_DEP_2) | instskip(NEXT) | instid1(VALU_DEP_4)
	v_div_fixup_f32 v3, v6, v4, v5
	v_add_co_u32 v4, vcc_lo, s72, v0
	s_wait_alu 0xfffd
	v_add_co_ci_u32_e64 v5, null, s73, v1, vcc_lo
	v_mov_b32_e32 v1, 0
	global_store_b64 v[4:5], v[2:3], off offset:256
.LBB19_392:                             ;   in Loop: Header=BB19_12 Depth=1
	s_wait_alu 0xfffe
	s_or_b32 exec_lo, exec_lo, s42
	s_mov_b32 s5, -1
	s_mov_b32 s6, exec_lo
	v_cmpx_gt_i32_e32 0x47, v1
; %bb.393:                              ;   in Loop: Header=BB19_12 Depth=1
	v_cmp_eq_u32_e32 vcc_lo, 0, v1
	s_or_not1_b32 s5, vcc_lo, exec_lo
; %bb.394:                              ;   in Loop: Header=BB19_12 Depth=1
	s_wait_alu 0xfffe
	s_or_b32 exec_lo, exec_lo, s6
	s_delay_alu instid0(SALU_CYCLE_1)
	s_and_b32 exec_lo, exec_lo, s5
	s_cbranch_execz .LBB19_407
; %bb.395:                              ;   in Loop: Header=BB19_12 Depth=1
	scratch_load_b32 v0, off, off offset:176 ; 4-byte Folded Reload
	s_wait_loadcnt 0x0
	v_dual_mov_b32 v1, 0x47 :: v_dual_add_nc_u32 v0, s94, v0
	s_delay_alu instid0(VALU_DEP_1)
	v_cmp_gt_i32_e32 vcc_lo, s24, v0
	s_and_b32 s5, vcc_lo, s4
	s_wait_alu 0xfffe
	s_and_saveexec_b32 s42, s5
	s_cbranch_execz .LBB19_397
; %bb.396:                              ;   in Loop: Header=BB19_12 Depth=1
	scratch_load_b32 v2, off, off offset:192 ; 4-byte Folded Reload
	s_wait_loadcnt 0x0
	v_add_nc_u32_e32 v1, v206, v2
	v_add_nc_u32_e32 v5, 0, v2
	s_delay_alu instid0(VALU_DEP_2)
	v_add_nc_u32_e32 v1, 0x80, v1
	ds_load_2addr_stride64_b32 v[1:2], v1 offset1:15
	ds_load_2addr_b32 v[3:4], v5 offset0:56 offset1:57
	ds_load_b32 v5, v5 offset:4064
	s_wait_dscnt 0x1
	v_fma_mix_f32 v6, v3, v1, 0 op_sel_hi:[0,1,0]
	v_fma_mix_f32 v1, v3, v1, 0 op_sel:[0,1,0] op_sel_hi:[0,1,0]
	s_wait_dscnt 0x0
	s_delay_alu instid0(VALU_DEP_2) | instskip(NEXT) | instid1(VALU_DEP_2)
	v_fma_mix_f32 v3, v5, v2, v6 op_sel_hi:[0,1,0]
	v_fma_mix_f32 v5, v5, v2, v1 op_sel:[0,1,0] op_sel_hi:[0,1,0]
	v_mad_co_u64_u32 v[0:1], null, v0, s25, v[93:94]
	s_delay_alu instid0(VALU_DEP_3) | instskip(NEXT) | instid1(VALU_DEP_3)
	v_div_scale_f32 v2, null, v4, v4, v3
	v_div_scale_f32 v6, null, v4, v4, v5
	v_div_scale_f32 v1, vcc_lo, v3, v4, v3
	s_delay_alu instid0(VALU_DEP_3) | instskip(NEXT) | instid1(VALU_DEP_2)
	v_rcp_f32_e32 v7, v2
	v_rcp_f32_e32 v8, v6
	s_delay_alu instid0(VALU_DEP_4) | instskip(NEXT) | instid1(TRANS32_DEP_2)
	v_mul_lo_u32 v0, v0, 56
	v_fma_f32 v9, -v2, v7, 1.0
	s_delay_alu instid0(TRANS32_DEP_1) | instskip(NEXT) | instid1(VALU_DEP_2)
	v_fma_f32 v10, -v6, v8, 1.0
	v_fmac_f32_e32 v7, v9, v7
	v_div_scale_f32 v9, s5, v5, v4, v5
	s_delay_alu instid0(VALU_DEP_3) | instskip(NEXT) | instid1(VALU_DEP_3)
	v_fmac_f32_e32 v8, v10, v8
	v_mul_f32_e32 v10, v1, v7
	s_delay_alu instid0(VALU_DEP_2) | instskip(NEXT) | instid1(VALU_DEP_2)
	v_mul_f32_e32 v11, v9, v8
	v_fma_f32 v12, -v2, v10, v1
	s_delay_alu instid0(VALU_DEP_2) | instskip(NEXT) | instid1(VALU_DEP_2)
	v_fma_f32 v13, -v6, v11, v9
	v_fmac_f32_e32 v10, v12, v7
	v_ashrrev_i32_e32 v12, 31, v0
	v_add_co_u32 v0, s6, v0, v128
	s_delay_alu instid0(VALU_DEP_4) | instskip(NEXT) | instid1(VALU_DEP_4)
	v_fmac_f32_e32 v11, v13, v8
	v_fma_f32 v2, -v2, v10, v1
	s_wait_alu 0xf1ff
	v_add_co_ci_u32_e64 v1, null, 0, v12, s6
	s_delay_alu instid0(VALU_DEP_3)
	v_fma_f32 v6, -v6, v11, v9
	s_wait_alu 0xfffd
	v_div_fmas_f32 v2, v2, v7, v10
	s_mov_b32 vcc_lo, s5
	v_lshlrev_b64_e32 v[0:1], 3, v[0:1]
	s_wait_alu 0xfffe
	v_div_fmas_f32 v6, v6, v8, v11
	v_div_fixup_f32 v2, v2, v4, v3
	s_delay_alu instid0(VALU_DEP_2) | instskip(NEXT) | instid1(VALU_DEP_4)
	v_div_fixup_f32 v3, v6, v4, v5
	v_add_co_u32 v4, vcc_lo, s72, v0
	s_wait_alu 0xfffd
	v_add_co_ci_u32_e64 v5, null, s73, v1, vcc_lo
	v_mov_b32_e32 v1, 0
	global_store_b64 v[4:5], v[2:3], off offset:256
.LBB19_397:                             ;   in Loop: Header=BB19_12 Depth=1
	s_wait_alu 0xfffe
	s_or_b32 exec_lo, exec_lo, s42
	s_mov_b32 s5, -1
	s_mov_b32 s6, exec_lo
	v_cmpx_gt_i32_e32 0x47, v1
; %bb.398:                              ;   in Loop: Header=BB19_12 Depth=1
	v_cmp_eq_u32_e32 vcc_lo, 0, v1
	s_or_not1_b32 s5, vcc_lo, exec_lo
; %bb.399:                              ;   in Loop: Header=BB19_12 Depth=1
	s_wait_alu 0xfffe
	s_or_b32 exec_lo, exec_lo, s6
	s_delay_alu instid0(SALU_CYCLE_1)
	s_and_b32 exec_lo, exec_lo, s5
	s_cbranch_execz .LBB19_407
; %bb.400:                              ;   in Loop: Header=BB19_12 Depth=1
	scratch_load_b32 v0, off, off offset:196 ; 4-byte Folded Reload
	s_wait_loadcnt 0x0
	v_dual_mov_b32 v1, 0x47 :: v_dual_add_nc_u32 v0, s94, v0
	s_delay_alu instid0(VALU_DEP_1)
	v_cmp_gt_i32_e32 vcc_lo, s24, v0
	s_and_b32 s5, vcc_lo, s4
	s_wait_alu 0xfffe
	s_and_saveexec_b32 s42, s5
	s_cbranch_execz .LBB19_402
; %bb.401:                              ;   in Loop: Header=BB19_12 Depth=1
	scratch_load_b32 v2, off, off offset:212 ; 4-byte Folded Reload
	s_wait_loadcnt 0x0
	v_add_nc_u32_e32 v1, v206, v2
	v_add_nc_u32_e32 v5, 0, v2
	s_delay_alu instid0(VALU_DEP_2)
	v_add_nc_u32_e32 v1, 0x80, v1
	ds_load_2addr_stride64_b32 v[1:2], v1 offset1:15
	ds_load_2addr_b32 v[3:4], v5 offset0:56 offset1:57
	ds_load_b32 v5, v5 offset:4064
	s_wait_dscnt 0x1
	v_fma_mix_f32 v6, v3, v1, 0 op_sel_hi:[0,1,0]
	v_fma_mix_f32 v1, v3, v1, 0 op_sel:[0,1,0] op_sel_hi:[0,1,0]
	s_wait_dscnt 0x0
	s_delay_alu instid0(VALU_DEP_2) | instskip(NEXT) | instid1(VALU_DEP_2)
	v_fma_mix_f32 v3, v5, v2, v6 op_sel_hi:[0,1,0]
	v_fma_mix_f32 v5, v5, v2, v1 op_sel:[0,1,0] op_sel_hi:[0,1,0]
	v_mad_co_u64_u32 v[0:1], null, v0, s25, v[93:94]
	s_delay_alu instid0(VALU_DEP_3) | instskip(NEXT) | instid1(VALU_DEP_3)
	v_div_scale_f32 v2, null, v4, v4, v3
	v_div_scale_f32 v6, null, v4, v4, v5
	v_div_scale_f32 v1, vcc_lo, v3, v4, v3
	s_delay_alu instid0(VALU_DEP_3) | instskip(NEXT) | instid1(VALU_DEP_2)
	v_rcp_f32_e32 v7, v2
	v_rcp_f32_e32 v8, v6
	s_delay_alu instid0(VALU_DEP_4) | instskip(NEXT) | instid1(TRANS32_DEP_2)
	v_mul_lo_u32 v0, v0, 56
	v_fma_f32 v9, -v2, v7, 1.0
	s_delay_alu instid0(TRANS32_DEP_1) | instskip(NEXT) | instid1(VALU_DEP_2)
	v_fma_f32 v10, -v6, v8, 1.0
	v_fmac_f32_e32 v7, v9, v7
	v_div_scale_f32 v9, s5, v5, v4, v5
	s_delay_alu instid0(VALU_DEP_3) | instskip(NEXT) | instid1(VALU_DEP_3)
	v_fmac_f32_e32 v8, v10, v8
	v_mul_f32_e32 v10, v1, v7
	s_delay_alu instid0(VALU_DEP_2) | instskip(NEXT) | instid1(VALU_DEP_2)
	v_mul_f32_e32 v11, v9, v8
	v_fma_f32 v12, -v2, v10, v1
	s_delay_alu instid0(VALU_DEP_2) | instskip(NEXT) | instid1(VALU_DEP_2)
	v_fma_f32 v13, -v6, v11, v9
	v_fmac_f32_e32 v10, v12, v7
	v_ashrrev_i32_e32 v12, 31, v0
	v_add_co_u32 v0, s6, v0, v128
	s_delay_alu instid0(VALU_DEP_4) | instskip(NEXT) | instid1(VALU_DEP_4)
	v_fmac_f32_e32 v11, v13, v8
	v_fma_f32 v2, -v2, v10, v1
	s_wait_alu 0xf1ff
	v_add_co_ci_u32_e64 v1, null, 0, v12, s6
	s_delay_alu instid0(VALU_DEP_3)
	v_fma_f32 v6, -v6, v11, v9
	s_wait_alu 0xfffd
	v_div_fmas_f32 v2, v2, v7, v10
	s_mov_b32 vcc_lo, s5
	v_lshlrev_b64_e32 v[0:1], 3, v[0:1]
	s_wait_alu 0xfffe
	v_div_fmas_f32 v6, v6, v8, v11
	v_div_fixup_f32 v2, v2, v4, v3
	s_delay_alu instid0(VALU_DEP_2) | instskip(NEXT) | instid1(VALU_DEP_4)
	v_div_fixup_f32 v3, v6, v4, v5
	v_add_co_u32 v4, vcc_lo, s72, v0
	s_wait_alu 0xfffd
	v_add_co_ci_u32_e64 v5, null, s73, v1, vcc_lo
	v_mov_b32_e32 v1, 0
	global_store_b64 v[4:5], v[2:3], off offset:256
.LBB19_402:                             ;   in Loop: Header=BB19_12 Depth=1
	s_wait_alu 0xfffe
	s_or_b32 exec_lo, exec_lo, s42
	s_mov_b32 s5, -1
	s_mov_b32 s6, exec_lo
	v_cmpx_gt_i32_e32 0x47, v1
; %bb.403:                              ;   in Loop: Header=BB19_12 Depth=1
	v_cmp_eq_u32_e32 vcc_lo, 0, v1
	s_or_not1_b32 s5, vcc_lo, exec_lo
; %bb.404:                              ;   in Loop: Header=BB19_12 Depth=1
	s_wait_alu 0xfffe
	s_or_b32 exec_lo, exec_lo, s6
	s_delay_alu instid0(SALU_CYCLE_1)
	s_and_b32 exec_lo, exec_lo, s5
	s_cbranch_execz .LBB19_407
; %bb.405:                              ;   in Loop: Header=BB19_12 Depth=1
	scratch_load_b32 v0, off, off offset:216 ; 4-byte Folded Reload
	s_wait_loadcnt 0x0
	v_add_nc_u32_e32 v0, s94, v0
	s_delay_alu instid0(VALU_DEP_1)
	v_cmp_gt_i32_e32 vcc_lo, s24, v0
	s_and_b32 s4, vcc_lo, s4
	s_wait_alu 0xfffe
	s_and_b32 exec_lo, exec_lo, s4
	s_cbranch_execz .LBB19_407
; %bb.406:                              ;   in Loop: Header=BB19_12 Depth=1
	scratch_load_b32 v2, off, off offset:232 ; 4-byte Folded Reload
	s_wait_loadcnt 0x0
	v_add_nc_u32_e32 v1, v206, v2
	v_add_nc_u32_e32 v5, 0, v2
	s_delay_alu instid0(VALU_DEP_2)
	v_add_nc_u32_e32 v1, 0x80, v1
	ds_load_2addr_stride64_b32 v[1:2], v1 offset1:15
	ds_load_2addr_b32 v[3:4], v5 offset0:56 offset1:57
	ds_load_b32 v5, v5 offset:4064
	s_wait_dscnt 0x1
	v_fma_mix_f32 v6, v3, v1, 0 op_sel_hi:[0,1,0]
	v_fma_mix_f32 v1, v3, v1, 0 op_sel:[0,1,0] op_sel_hi:[0,1,0]
	s_wait_dscnt 0x0
	s_delay_alu instid0(VALU_DEP_2) | instskip(NEXT) | instid1(VALU_DEP_2)
	v_fma_mix_f32 v3, v5, v2, v6 op_sel_hi:[0,1,0]
	v_fma_mix_f32 v5, v5, v2, v1 op_sel:[0,1,0] op_sel_hi:[0,1,0]
	v_mad_co_u64_u32 v[0:1], null, v0, s25, v[93:94]
	s_delay_alu instid0(VALU_DEP_3) | instskip(NEXT) | instid1(VALU_DEP_3)
	v_div_scale_f32 v2, null, v4, v4, v3
	v_div_scale_f32 v6, null, v4, v4, v5
	v_div_scale_f32 v1, vcc_lo, v3, v4, v3
	s_delay_alu instid0(VALU_DEP_3) | instskip(NEXT) | instid1(VALU_DEP_2)
	v_rcp_f32_e32 v7, v2
	v_rcp_f32_e32 v8, v6
	s_delay_alu instid0(VALU_DEP_4) | instskip(NEXT) | instid1(TRANS32_DEP_2)
	v_mul_lo_u32 v0, v0, 56
	v_fma_f32 v9, -v2, v7, 1.0
	s_delay_alu instid0(TRANS32_DEP_1) | instskip(NEXT) | instid1(VALU_DEP_2)
	v_fma_f32 v10, -v6, v8, 1.0
	v_fmac_f32_e32 v7, v9, v7
	v_div_scale_f32 v9, s4, v5, v4, v5
	s_delay_alu instid0(VALU_DEP_3) | instskip(NEXT) | instid1(VALU_DEP_3)
	v_fmac_f32_e32 v8, v10, v8
	v_mul_f32_e32 v10, v1, v7
	s_delay_alu instid0(VALU_DEP_2) | instskip(NEXT) | instid1(VALU_DEP_2)
	v_mul_f32_e32 v11, v9, v8
	v_fma_f32 v12, -v2, v10, v1
	s_delay_alu instid0(VALU_DEP_2) | instskip(NEXT) | instid1(VALU_DEP_2)
	v_fma_f32 v13, -v6, v11, v9
	v_fmac_f32_e32 v10, v12, v7
	v_ashrrev_i32_e32 v12, 31, v0
	v_add_co_u32 v0, s5, v0, v128
	s_delay_alu instid0(VALU_DEP_4) | instskip(NEXT) | instid1(VALU_DEP_4)
	v_fmac_f32_e32 v11, v13, v8
	v_fma_f32 v2, -v2, v10, v1
	s_wait_alu 0xf1ff
	v_add_co_ci_u32_e64 v1, null, 0, v12, s5
	s_delay_alu instid0(VALU_DEP_3) | instskip(SKIP_2) | instid1(VALU_DEP_3)
	v_fma_f32 v6, -v6, v11, v9
	s_wait_alu 0xfffd
	v_div_fmas_f32 v2, v2, v7, v10
	v_lshlrev_b64_e32 v[0:1], 3, v[0:1]
	s_mov_b32 vcc_lo, s4
	s_wait_alu 0xfffe
	v_div_fmas_f32 v6, v6, v8, v11
	v_div_fixup_f32 v2, v2, v4, v3
	s_delay_alu instid0(VALU_DEP_3) | instskip(NEXT) | instid1(VALU_DEP_3)
	v_add_co_u32 v0, vcc_lo, s72, v0
	v_div_fixup_f32 v3, v6, v4, v5
	s_wait_alu 0xfffd
	v_add_co_ci_u32_e64 v1, null, s73, v1, vcc_lo
	global_store_b64 v[0:1], v[2:3], off offset:256
.LBB19_407:                             ;   in Loop: Header=BB19_12 Depth=1
	s_wait_alu 0xfffe
	s_or_b32 exec_lo, exec_lo, s41
	v_dual_mov_b32 v1, 0x47 :: v_dual_add_nc_u32 v0, s94, v197
	s_delay_alu instid0(VALU_DEP_1)
	v_cmp_gt_i32_e32 vcc_lo, s24, v0
	s_and_b32 s4, vcc_lo, s3
	s_wait_alu 0xfffe
	s_and_saveexec_b32 s5, s4
	s_cbranch_execz .LBB19_409
; %bb.408:                              ;   in Loop: Header=BB19_12 Depth=1
	v_add_nc_u32_e32 v1, v143, v198
	v_add_nc_u32_e32 v5, 0, v198
	s_delay_alu instid0(VALU_DEP_2)
	v_add_nc_u32_e32 v1, 0xc0, v1
	ds_load_2addr_stride64_b32 v[1:2], v1 offset1:15
	ds_load_2addr_b32 v[3:4], v5 offset0:56 offset1:57
	ds_load_b32 v5, v5 offset:4064
	s_wait_dscnt 0x1
	v_fma_mix_f32 v6, v3, v1, 0 op_sel_hi:[0,1,0]
	v_fma_mix_f32 v1, v3, v1, 0 op_sel:[0,1,0] op_sel_hi:[0,1,0]
	s_wait_dscnt 0x0
	s_delay_alu instid0(VALU_DEP_2) | instskip(NEXT) | instid1(VALU_DEP_2)
	v_fma_mix_f32 v3, v5, v2, v6 op_sel_hi:[0,1,0]
	v_fma_mix_f32 v5, v5, v2, v1 op_sel:[0,1,0] op_sel_hi:[0,1,0]
	s_delay_alu instid0(VALU_DEP_2) | instskip(NEXT) | instid1(VALU_DEP_2)
	v_div_scale_f32 v2, null, v4, v4, v3
	v_div_scale_f32 v6, null, v4, v4, v5
	v_div_scale_f32 v10, vcc_lo, v3, v4, v3
	s_delay_alu instid0(VALU_DEP_3) | instskip(NEXT) | instid1(VALU_DEP_2)
	v_rcp_f32_e32 v7, v2
	v_rcp_f32_e32 v8, v6
	v_div_scale_f32 v11, s4, v5, v4, v5
	s_delay_alu instid0(TRANS32_DEP_2) | instskip(NEXT) | instid1(TRANS32_DEP_1)
	v_fma_f32 v1, -v2, v7, 1.0
	v_fma_f32 v9, -v6, v8, 1.0
	s_delay_alu instid0(VALU_DEP_2) | instskip(NEXT) | instid1(VALU_DEP_2)
	v_fmac_f32_e32 v7, v1, v7
	v_fmac_f32_e32 v8, v9, v8
	v_mad_co_u64_u32 v[0:1], null, v0, s25, v[83:84]
	s_delay_alu instid0(VALU_DEP_2) | instskip(NEXT) | instid1(VALU_DEP_2)
	v_dual_mul_f32 v9, v10, v7 :: v_dual_mul_f32 v12, v11, v8
	v_mul_lo_u32 v0, v0, 56
	s_delay_alu instid0(VALU_DEP_2) | instskip(NEXT) | instid1(VALU_DEP_3)
	v_fma_f32 v1, -v2, v9, v10
	v_fma_f32 v13, -v6, v12, v11
	s_delay_alu instid0(VALU_DEP_2) | instskip(NEXT) | instid1(VALU_DEP_2)
	v_fmac_f32_e32 v9, v1, v7
	v_fmac_f32_e32 v12, v13, v8
	v_ashrrev_i32_e32 v1, 31, v0
	v_or_b32_e32 v0, v0, v137
	s_delay_alu instid0(VALU_DEP_4) | instskip(NEXT) | instid1(VALU_DEP_4)
	v_fma_f32 v2, -v2, v9, v10
	v_fma_f32 v6, -v6, v12, v11
	s_delay_alu instid0(VALU_DEP_3) | instskip(SKIP_1) | instid1(VALU_DEP_3)
	v_lshlrev_b64_e32 v[0:1], 3, v[0:1]
	s_wait_alu 0xfffd
	v_div_fmas_f32 v2, v2, v7, v9
	s_mov_b32 vcc_lo, s4
	s_wait_alu 0xfffe
	v_div_fmas_f32 v6, v6, v8, v12
	s_delay_alu instid0(VALU_DEP_2) | instskip(NEXT) | instid1(VALU_DEP_2)
	v_div_fixup_f32 v2, v2, v4, v3
	v_div_fixup_f32 v3, v6, v4, v5
	v_add_co_u32 v4, vcc_lo, s72, v0
	s_wait_alu 0xfffd
	v_add_co_ci_u32_e64 v5, null, s73, v1, vcc_lo
	v_mov_b32_e32 v1, 0
	global_store_b64 v[4:5], v[2:3], off offset:384
.LBB19_409:                             ;   in Loop: Header=BB19_12 Depth=1
	s_wait_alu 0xfffe
	s_or_b32 exec_lo, exec_lo, s5
	s_mov_b32 s4, -1
	s_mov_b32 s5, exec_lo
	v_cmpx_gt_i32_e32 0x47, v1
; %bb.410:                              ;   in Loop: Header=BB19_12 Depth=1
	v_cmp_eq_u32_e32 vcc_lo, 0, v1
	s_or_not1_b32 s4, vcc_lo, exec_lo
; %bb.411:                              ;   in Loop: Header=BB19_12 Depth=1
	s_wait_alu 0xfffe
	s_or_b32 exec_lo, exec_lo, s5
	s_delay_alu instid0(SALU_CYCLE_1)
	s_and_b32 exec_lo, exec_lo, s4
	s_cbranch_execz .LBB19_10
; %bb.412:                              ;   in Loop: Header=BB19_12 Depth=1
	v_dual_mov_b32 v1, 0x47 :: v_dual_add_nc_u32 v0, s94, v252
	s_delay_alu instid0(VALU_DEP_1)
	v_cmp_gt_i32_e32 vcc_lo, s24, v0
	s_and_b32 s4, vcc_lo, s3
	s_wait_alu 0xfffe
	s_and_saveexec_b32 s5, s4
	s_cbranch_execz .LBB19_414
; %bb.413:                              ;   in Loop: Header=BB19_12 Depth=1
	v_add_nc_u32_e32 v1, v143, v253
	v_add_nc_u32_e32 v5, 0, v253
	s_delay_alu instid0(VALU_DEP_2)
	v_add_nc_u32_e32 v1, 0xc0, v1
	ds_load_2addr_stride64_b32 v[1:2], v1 offset1:15
	ds_load_2addr_b32 v[3:4], v5 offset0:56 offset1:57
	ds_load_b32 v5, v5 offset:4064
	s_wait_dscnt 0x1
	v_fma_mix_f32 v6, v3, v1, 0 op_sel_hi:[0,1,0]
	v_fma_mix_f32 v1, v3, v1, 0 op_sel:[0,1,0] op_sel_hi:[0,1,0]
	s_wait_dscnt 0x0
	s_delay_alu instid0(VALU_DEP_2) | instskip(NEXT) | instid1(VALU_DEP_2)
	v_fma_mix_f32 v3, v5, v2, v6 op_sel_hi:[0,1,0]
	v_fma_mix_f32 v5, v5, v2, v1 op_sel:[0,1,0] op_sel_hi:[0,1,0]
	s_delay_alu instid0(VALU_DEP_2) | instskip(NEXT) | instid1(VALU_DEP_2)
	v_div_scale_f32 v2, null, v4, v4, v3
	v_div_scale_f32 v6, null, v4, v4, v5
	v_div_scale_f32 v10, vcc_lo, v3, v4, v3
	s_delay_alu instid0(VALU_DEP_3) | instskip(NEXT) | instid1(VALU_DEP_2)
	v_rcp_f32_e32 v7, v2
	v_rcp_f32_e32 v8, v6
	v_div_scale_f32 v11, s4, v5, v4, v5
	s_delay_alu instid0(TRANS32_DEP_2) | instskip(NEXT) | instid1(TRANS32_DEP_1)
	v_fma_f32 v1, -v2, v7, 1.0
	v_fma_f32 v9, -v6, v8, 1.0
	s_delay_alu instid0(VALU_DEP_2) | instskip(NEXT) | instid1(VALU_DEP_2)
	v_fmac_f32_e32 v7, v1, v7
	v_fmac_f32_e32 v8, v9, v8
	v_mad_co_u64_u32 v[0:1], null, v0, s25, v[83:84]
	s_delay_alu instid0(VALU_DEP_2) | instskip(NEXT) | instid1(VALU_DEP_2)
	v_dual_mul_f32 v9, v10, v7 :: v_dual_mul_f32 v12, v11, v8
	v_mul_lo_u32 v0, v0, 56
	s_delay_alu instid0(VALU_DEP_2) | instskip(NEXT) | instid1(VALU_DEP_3)
	v_fma_f32 v1, -v2, v9, v10
	v_fma_f32 v13, -v6, v12, v11
	s_delay_alu instid0(VALU_DEP_2) | instskip(NEXT) | instid1(VALU_DEP_2)
	v_fmac_f32_e32 v9, v1, v7
	v_fmac_f32_e32 v12, v13, v8
	v_ashrrev_i32_e32 v1, 31, v0
	v_or_b32_e32 v0, v0, v137
	s_delay_alu instid0(VALU_DEP_4) | instskip(NEXT) | instid1(VALU_DEP_4)
	v_fma_f32 v2, -v2, v9, v10
	v_fma_f32 v6, -v6, v12, v11
	s_delay_alu instid0(VALU_DEP_3) | instskip(SKIP_1) | instid1(VALU_DEP_3)
	v_lshlrev_b64_e32 v[0:1], 3, v[0:1]
	s_wait_alu 0xfffd
	v_div_fmas_f32 v2, v2, v7, v9
	s_mov_b32 vcc_lo, s4
	s_wait_alu 0xfffe
	v_div_fmas_f32 v6, v6, v8, v12
	s_delay_alu instid0(VALU_DEP_2) | instskip(NEXT) | instid1(VALU_DEP_2)
	v_div_fixup_f32 v2, v2, v4, v3
	v_div_fixup_f32 v3, v6, v4, v5
	v_add_co_u32 v4, vcc_lo, s72, v0
	s_wait_alu 0xfffd
	v_add_co_ci_u32_e64 v5, null, s73, v1, vcc_lo
	v_mov_b32_e32 v1, 0
	global_store_b64 v[4:5], v[2:3], off offset:384
.LBB19_414:                             ;   in Loop: Header=BB19_12 Depth=1
	s_wait_alu 0xfffe
	s_or_b32 exec_lo, exec_lo, s5
	s_mov_b32 s4, -1
	s_mov_b32 s5, exec_lo
	v_cmpx_gt_i32_e32 0x47, v1
; %bb.415:                              ;   in Loop: Header=BB19_12 Depth=1
	v_cmp_eq_u32_e32 vcc_lo, 0, v1
	s_or_not1_b32 s4, vcc_lo, exec_lo
; %bb.416:                              ;   in Loop: Header=BB19_12 Depth=1
	s_wait_alu 0xfffe
	s_or_b32 exec_lo, exec_lo, s5
	s_delay_alu instid0(SALU_CYCLE_1)
	s_and_b32 exec_lo, exec_lo, s4
	s_cbranch_execz .LBB19_10
; %bb.417:                              ;   in Loop: Header=BB19_12 Depth=1
	scratch_load_b32 v0, off, off offset:100 ; 4-byte Folded Reload
	s_wait_loadcnt 0x0
	v_dual_mov_b32 v1, 0x47 :: v_dual_add_nc_u32 v0, s94, v0
	s_delay_alu instid0(VALU_DEP_1)
	v_cmp_gt_i32_e32 vcc_lo, s24, v0
	s_and_b32 s4, vcc_lo, s3
	s_wait_alu 0xfffe
	s_and_saveexec_b32 s5, s4
	s_cbranch_execz .LBB19_419
; %bb.418:                              ;   in Loop: Header=BB19_12 Depth=1
	scratch_load_b32 v2, off, off offset:124 ; 4-byte Folded Reload
	s_wait_loadcnt 0x0
	v_add_nc_u32_e32 v1, v143, v2
	v_add_nc_u32_e32 v5, 0, v2
	s_delay_alu instid0(VALU_DEP_2)
	v_add_nc_u32_e32 v1, 0xc0, v1
	ds_load_2addr_stride64_b32 v[1:2], v1 offset1:15
	ds_load_2addr_b32 v[3:4], v5 offset0:56 offset1:57
	ds_load_b32 v5, v5 offset:4064
	s_wait_dscnt 0x1
	v_fma_mix_f32 v6, v3, v1, 0 op_sel_hi:[0,1,0]
	v_fma_mix_f32 v1, v3, v1, 0 op_sel:[0,1,0] op_sel_hi:[0,1,0]
	s_wait_dscnt 0x0
	s_delay_alu instid0(VALU_DEP_2) | instskip(NEXT) | instid1(VALU_DEP_2)
	v_fma_mix_f32 v3, v5, v2, v6 op_sel_hi:[0,1,0]
	v_fma_mix_f32 v5, v5, v2, v1 op_sel:[0,1,0] op_sel_hi:[0,1,0]
	s_delay_alu instid0(VALU_DEP_2) | instskip(NEXT) | instid1(VALU_DEP_2)
	v_div_scale_f32 v2, null, v4, v4, v3
	v_div_scale_f32 v6, null, v4, v4, v5
	v_div_scale_f32 v10, vcc_lo, v3, v4, v3
	s_delay_alu instid0(VALU_DEP_3) | instskip(NEXT) | instid1(VALU_DEP_2)
	v_rcp_f32_e32 v7, v2
	v_rcp_f32_e32 v8, v6
	v_div_scale_f32 v11, s4, v5, v4, v5
	s_delay_alu instid0(TRANS32_DEP_2) | instskip(NEXT) | instid1(TRANS32_DEP_1)
	v_fma_f32 v1, -v2, v7, 1.0
	v_fma_f32 v9, -v6, v8, 1.0
	s_delay_alu instid0(VALU_DEP_2) | instskip(NEXT) | instid1(VALU_DEP_2)
	v_fmac_f32_e32 v7, v1, v7
	v_fmac_f32_e32 v8, v9, v8
	v_mad_co_u64_u32 v[0:1], null, v0, s25, v[83:84]
	s_delay_alu instid0(VALU_DEP_2) | instskip(NEXT) | instid1(VALU_DEP_2)
	v_dual_mul_f32 v9, v10, v7 :: v_dual_mul_f32 v12, v11, v8
	v_mul_lo_u32 v0, v0, 56
	s_delay_alu instid0(VALU_DEP_2) | instskip(NEXT) | instid1(VALU_DEP_3)
	v_fma_f32 v1, -v2, v9, v10
	v_fma_f32 v13, -v6, v12, v11
	s_delay_alu instid0(VALU_DEP_2) | instskip(NEXT) | instid1(VALU_DEP_2)
	v_fmac_f32_e32 v9, v1, v7
	v_fmac_f32_e32 v12, v13, v8
	v_ashrrev_i32_e32 v1, 31, v0
	v_or_b32_e32 v0, v0, v137
	s_delay_alu instid0(VALU_DEP_4) | instskip(NEXT) | instid1(VALU_DEP_4)
	v_fma_f32 v2, -v2, v9, v10
	v_fma_f32 v6, -v6, v12, v11
	s_delay_alu instid0(VALU_DEP_3) | instskip(SKIP_1) | instid1(VALU_DEP_3)
	v_lshlrev_b64_e32 v[0:1], 3, v[0:1]
	s_wait_alu 0xfffd
	v_div_fmas_f32 v2, v2, v7, v9
	s_mov_b32 vcc_lo, s4
	s_wait_alu 0xfffe
	v_div_fmas_f32 v6, v6, v8, v12
	s_delay_alu instid0(VALU_DEP_2) | instskip(NEXT) | instid1(VALU_DEP_2)
	v_div_fixup_f32 v2, v2, v4, v3
	v_div_fixup_f32 v3, v6, v4, v5
	v_add_co_u32 v4, vcc_lo, s72, v0
	s_wait_alu 0xfffd
	v_add_co_ci_u32_e64 v5, null, s73, v1, vcc_lo
	v_mov_b32_e32 v1, 0
	global_store_b64 v[4:5], v[2:3], off offset:384
.LBB19_419:                             ;   in Loop: Header=BB19_12 Depth=1
	s_wait_alu 0xfffe
	s_or_b32 exec_lo, exec_lo, s5
	s_mov_b32 s4, -1
	s_mov_b32 s5, exec_lo
	v_cmpx_gt_i32_e32 0x47, v1
; %bb.420:                              ;   in Loop: Header=BB19_12 Depth=1
	v_cmp_eq_u32_e32 vcc_lo, 0, v1
	s_or_not1_b32 s4, vcc_lo, exec_lo
; %bb.421:                              ;   in Loop: Header=BB19_12 Depth=1
	s_wait_alu 0xfffe
	s_or_b32 exec_lo, exec_lo, s5
	s_delay_alu instid0(SALU_CYCLE_1)
	s_and_b32 exec_lo, exec_lo, s4
	s_cbranch_execz .LBB19_10
; %bb.422:                              ;   in Loop: Header=BB19_12 Depth=1
	scratch_load_b32 v0, off, off offset:128 ; 4-byte Folded Reload
	s_wait_loadcnt 0x0
	v_add_nc_u32_e32 v0, s94, v0
	s_delay_alu instid0(VALU_DEP_1)
	v_cmp_gt_i32_e32 vcc_lo, s24, v0
	s_and_b32 s3, vcc_lo, s3
	s_wait_alu 0xfffe
	s_and_b32 exec_lo, exec_lo, s3
	s_cbranch_execz .LBB19_10
; %bb.423:                              ;   in Loop: Header=BB19_12 Depth=1
	scratch_load_b32 v2, off, off offset:152 ; 4-byte Folded Reload
	s_wait_loadcnt 0x0
	v_add_nc_u32_e32 v1, v143, v2
	v_add_nc_u32_e32 v5, 0, v2
	s_delay_alu instid0(VALU_DEP_2)
	v_add_nc_u32_e32 v1, 0xc0, v1
	ds_load_2addr_stride64_b32 v[1:2], v1 offset1:15
	ds_load_2addr_b32 v[3:4], v5 offset0:56 offset1:57
	ds_load_b32 v5, v5 offset:4064
	s_wait_dscnt 0x1
	v_fma_mix_f32 v6, v3, v1, 0 op_sel_hi:[0,1,0]
	v_fma_mix_f32 v1, v3, v1, 0 op_sel:[0,1,0] op_sel_hi:[0,1,0]
	s_wait_dscnt 0x0
	s_delay_alu instid0(VALU_DEP_2) | instskip(NEXT) | instid1(VALU_DEP_2)
	v_fma_mix_f32 v3, v5, v2, v6 op_sel_hi:[0,1,0]
	v_fma_mix_f32 v5, v5, v2, v1 op_sel:[0,1,0] op_sel_hi:[0,1,0]
	s_delay_alu instid0(VALU_DEP_2) | instskip(NEXT) | instid1(VALU_DEP_2)
	v_div_scale_f32 v2, null, v4, v4, v3
	v_div_scale_f32 v6, null, v4, v4, v5
	v_div_scale_f32 v10, vcc_lo, v3, v4, v3
	s_delay_alu instid0(VALU_DEP_3) | instskip(NEXT) | instid1(VALU_DEP_2)
	v_rcp_f32_e32 v7, v2
	v_rcp_f32_e32 v8, v6
	v_div_scale_f32 v11, s3, v5, v4, v5
	s_delay_alu instid0(TRANS32_DEP_2) | instskip(NEXT) | instid1(TRANS32_DEP_1)
	v_fma_f32 v1, -v2, v7, 1.0
	v_fma_f32 v9, -v6, v8, 1.0
	s_delay_alu instid0(VALU_DEP_2) | instskip(NEXT) | instid1(VALU_DEP_2)
	v_fmac_f32_e32 v7, v1, v7
	v_fmac_f32_e32 v8, v9, v8
	v_mad_co_u64_u32 v[0:1], null, v0, s25, v[83:84]
	s_delay_alu instid0(VALU_DEP_2) | instskip(NEXT) | instid1(VALU_DEP_2)
	v_dual_mul_f32 v9, v10, v7 :: v_dual_mul_f32 v12, v11, v8
	v_mul_lo_u32 v0, v0, 56
	s_delay_alu instid0(VALU_DEP_2) | instskip(NEXT) | instid1(VALU_DEP_3)
	v_fma_f32 v1, -v2, v9, v10
	v_fma_f32 v13, -v6, v12, v11
	s_delay_alu instid0(VALU_DEP_2) | instskip(NEXT) | instid1(VALU_DEP_2)
	v_fmac_f32_e32 v9, v1, v7
	v_fmac_f32_e32 v12, v13, v8
	v_ashrrev_i32_e32 v1, 31, v0
	v_or_b32_e32 v0, v0, v137
	s_delay_alu instid0(VALU_DEP_4) | instskip(NEXT) | instid1(VALU_DEP_4)
	v_fma_f32 v2, -v2, v9, v10
	v_fma_f32 v6, -v6, v12, v11
	s_delay_alu instid0(VALU_DEP_3) | instskip(SKIP_1) | instid1(VALU_DEP_3)
	v_lshlrev_b64_e32 v[0:1], 3, v[0:1]
	s_wait_alu 0xfffd
	v_div_fmas_f32 v2, v2, v7, v9
	s_mov_b32 vcc_lo, s3
	s_wait_alu 0xfffe
	v_div_fmas_f32 v6, v6, v8, v12
	v_add_co_u32 v0, vcc_lo, s72, v0
	v_div_fixup_f32 v2, v2, v4, v3
	s_wait_alu 0xfffd
	v_add_co_ci_u32_e64 v1, null, s73, v1, vcc_lo
	v_div_fixup_f32 v3, v6, v4, v5
	global_store_b64 v[0:1], v[2:3], off offset:384
	s_branch .LBB19_10
.LBB19_424:
	scratch_load_b32 v99, off, off offset:156 ; 4-byte Folded Reload
	v_readlane_b32 s42, v255, 3
	v_readlane_b32 s68, v255, 10
	;; [unrolled: 1-line block ×4, first 2 shown]
	v_lshlrev_b32_e32 v220, 1, v116
	v_lshlrev_b32_e32 v221, 3, v116
	;; [unrolled: 1-line block ×3, first 2 shown]
	v_add_nc_u32_e32 v95, 14, v116
	v_add_nc_u32_e32 v96, 12, v116
	;; [unrolled: 1-line block ×7, first 2 shown]
	v_readlane_b32 s43, v255, 4
	v_readlane_b32 s51, v255, 6
	s_and_not1_b32 vcc_lo, exec_lo, s3
	s_wait_alu 0xfffe
	s_cbranch_vccnz .LBB19_8
.LBB19_425:
	s_abs_i32 s0, s99
	s_abs_i32 s3, s48
	s_cvt_f32_u32 s1, s0
	s_sub_co_i32 s2, 0, s0
	v_mov_b32_e32 v29, s96
	s_delay_alu instid0(SALU_CYCLE_1) | instskip(NEXT) | instid1(TRANS32_DEP_1)
	v_rcp_iflag_f32_e32 v0, s1
	v_readfirstlane_b32 s1, v0
	s_mul_f32 s1, s1, 0x4f7ffffe
	s_wait_alu 0xfffe
	s_delay_alu instid0(SALU_CYCLE_2) | instskip(SKIP_1) | instid1(SALU_CYCLE_2)
	s_cvt_u32_f32 s1, s1
	s_wait_alu 0xfffe
	s_mul_i32 s2, s2, s1
	s_wait_alu 0xfffe
	s_mul_hi_u32 s2, s1, s2
	s_wait_alu 0xfffe
	s_add_co_i32 s1, s1, s2
	s_xor_b32 s2, s48, s99
	s_wait_alu 0xfffe
	s_mul_hi_u32 s1, s3, s1
	s_ashr_i32 s2, s2, 31
	s_wait_alu 0xfffe
	s_mul_i32 s4, s1, s0
	s_wait_alu 0xfffe
	s_sub_co_i32 s3, s3, s4
	s_add_co_i32 s4, s1, 1
	s_wait_alu 0xfffe
	s_sub_co_i32 s5, s3, s0
	s_cmp_ge_u32 s3, s0
	s_cselect_b32 s1, s4, s1
	s_wait_alu 0xfffe
	s_cselect_b32 s3, s5, s3
	s_add_co_i32 s4, s1, 1
	s_wait_alu 0xfffe
	s_cmp_ge_u32 s3, s0
	s_cselect_b32 s0, s4, s1
	s_abs_i32 s1, s98
	s_wait_alu 0xfffe
	s_xor_b32 s0, s0, s2
	s_cvt_f32_u32 s3, s1
	s_wait_alu 0xfffe
	s_sub_co_i32 s2, s0, s2
	s_sub_co_i32 s0, 0, s1
	s_wait_alu 0xfffe
	s_mul_i32 s4, s2, s99
	v_rcp_iflag_f32_e32 v0, s3
	s_wait_alu 0xfffe
	s_sub_co_i32 s4, s48, s4
	s_wait_alu 0xfffe
	s_abs_i32 s5, s4
	s_delay_alu instid0(TRANS32_DEP_1) | instskip(SKIP_2) | instid1(SALU_CYCLE_2)
	v_readfirstlane_b32 s3, v0
	s_mul_f32 s3, s3, 0x4f7ffffe
	s_wait_alu 0xfffe
	s_cvt_u32_f32 s3, s3
	s_wait_alu 0xfffe
	s_delay_alu instid0(SALU_CYCLE_2)
	s_mul_i32 s0, s0, s3
	s_wait_alu 0xfffe
	s_mul_hi_u32 s0, s3, s0
	s_wait_alu 0xfffe
	s_add_co_i32 s3, s3, s0
	s_wait_alu 0xfffe
	s_mul_hi_u32 s0, s5, s3
	s_xor_b32 s3, s4, s98
	s_wait_alu 0xfffe
	s_mul_i32 s6, s0, s1
	s_ashr_i32 s3, s3, 31
	s_wait_alu 0xfffe
	s_sub_co_i32 s5, s5, s6
	s_add_co_i32 s6, s0, 1
	s_wait_alu 0xfffe
	s_sub_co_i32 s16, s5, s1
	s_cmp_ge_u32 s5, s1
	s_cselect_b32 s0, s6, s0
	s_cselect_b32 s5, s16, s5
	s_wait_alu 0xfffe
	s_add_co_i32 s6, s0, 1
	s_cmp_ge_u32 s5, s1
	s_wait_alu 0xfffe
	s_cselect_b32 s0, s6, s0
	s_abs_i32 s1, s97
	s_wait_alu 0xfffe
	s_xor_b32 s0, s0, s3
	s_cvt_f32_u32 s5, s1
	s_wait_alu 0xfffe
	s_sub_co_i32 s20, s0, s3
	s_sub_co_i32 s0, 0, s1
	s_mul_i32 s3, s20, s98
	v_rcp_iflag_f32_e32 v0, s5
	s_wait_alu 0xfffe
	s_sub_co_i32 s3, s4, s3
	s_wait_alu 0xfffe
	s_abs_i32 s4, s3
	s_delay_alu instid0(TRANS32_DEP_1) | instskip(SKIP_2) | instid1(SALU_CYCLE_2)
	v_readfirstlane_b32 s5, v0
	s_mul_f32 s5, s5, 0x4f7ffffe
	s_wait_alu 0xfffe
	s_cvt_u32_f32 s5, s5
	s_wait_alu 0xfffe
	s_delay_alu instid0(SALU_CYCLE_2)
	s_mul_i32 s0, s0, s5
	s_wait_alu 0xfffe
	s_mul_hi_u32 s0, s5, s0
	s_wait_alu 0xfffe
	s_add_co_i32 s5, s5, s0
	s_wait_alu 0xfffe
	s_mul_hi_u32 s0, s4, s5
	s_xor_b32 s5, s3, s97
	s_wait_alu 0xfffe
	s_mul_i32 s6, s0, s1
	s_ashr_i32 s5, s5, 31
	s_wait_alu 0xfffe
	s_sub_co_i32 s4, s4, s6
	s_add_co_i32 s6, s0, 1
	s_wait_alu 0xfffe
	s_sub_co_i32 s16, s4, s1
	s_cmp_ge_u32 s4, s1
	s_cselect_b32 s0, s6, s0
	s_cselect_b32 s4, s16, s4
	s_wait_alu 0xfffe
	s_add_co_i32 s6, s0, 1
	s_cmp_ge_u32 s4, s1
	s_wait_alu 0xfffe
	s_cselect_b32 s0, s6, s0
	s_wait_alu 0xfffe
	s_xor_b32 s0, s0, s5
	s_wait_alu 0xfffe
	s_sub_co_i32 s0, s0, s5
	s_mov_b32 s5, 0
	s_wait_alu 0xfffe
	s_mul_i32 s1, s0, s97
	s_wait_alu 0xfffe
	s_sub_co_i32 s1, s3, s1
	s_wait_alu 0xfffe
	s_abs_i32 s4, s1
	s_ashr_i32 s1, s1, 31
	s_wait_alu 0xfffe
	s_mul_u64 s[16:17], s[4:5], s[52:53]
	s_xor_b32 s1, s1, s101
	s_mul_i32 s3, s17, s55
	s_wait_alu 0xfffe
	s_sub_co_i32 s3, s4, s3
	s_add_co_i32 s4, s17, 1
	s_wait_alu 0xfffe
	s_sub_co_i32 s6, s3, s55
	s_cmp_ge_u32 s3, s55
	s_cselect_b32 s4, s4, s17
	s_wait_alu 0xfffe
	s_cselect_b32 s3, s6, s3
	s_add_co_i32 s6, s4, 1
	s_wait_alu 0xfffe
	s_cmp_ge_u32 s3, s55
	s_cselect_b32 s3, s6, s4
	s_abs_i32 s6, s50
	s_wait_alu 0xfffe
	s_xor_b32 s3, s3, s1
	s_cvt_f32_u32 s4, s6
	s_wait_alu 0xfffe
	s_sub_co_i32 s1, s3, s1
	s_cmp_eq_u64 s[18:19], 0
	v_rcp_iflag_f32_e32 v0, s4
	s_delay_alu instid0(TRANS32_DEP_1)
	v_readfirstlane_b32 s4, v0
	s_cbranch_scc1 .LBB19_427
; %bb.426:
	v_readlane_b32 s3, v255, 0
	v_mov_b32_e32 v0, 0
	s_mul_i32 s3, s2, s3
	s_wait_alu 0xfffe
	s_add_co_i32 s16, s1, s3
	s_delay_alu instid0(SALU_CYCLE_1) | instskip(NEXT) | instid1(SALU_CYCLE_1)
	s_ashr_i32 s17, s16, 31
	s_lshl_b64 s[16:17], s[16:17], 2
	s_delay_alu instid0(SALU_CYCLE_1) | instskip(SKIP_3) | instid1(VALU_DEP_1)
	s_add_nc_u64 s[16:17], s[18:19], s[16:17]
	global_load_b32 v0, v0, s[16:17]
	s_wait_loadcnt 0x0
	v_ashrrev_i32_e32 v1, 31, v0
	v_lshrrev_b32_e32 v1, 27, v1
	s_delay_alu instid0(VALU_DEP_1) | instskip(NEXT) | instid1(VALU_DEP_1)
	v_add_nc_u32_e32 v0, v0, v1
	v_ashrrev_i32_e32 v0, 5, v0
	s_delay_alu instid0(VALU_DEP_1)
	v_min_i32_e32 v29, s96, v0
.LBB19_427:
	s_wait_loadcnt 0x0
	v_bfe_u32 v100, v99, 1, 9
	s_lshl_b32 s3, s0, 1
	s_wait_alu 0xfffe
	s_lshl_b32 s18, s1, 3
	v_or_b32_e32 v1, s3, v118
	s_mul_i32 s0, s2, s47
	v_add_nc_u32_e32 v0, s18, v100
	s_wait_alu 0xfffe
	s_ashr_i32 s1, s0, 31
	s_mul_i32 s16, s20, s33
	s_wait_alu 0xfffe
	s_add_nc_u64 s[8:9], s[8:9], s[0:1]
	v_cmp_le_i32_e64 s1, s33, v1
	v_cmp_le_i32_e64 s0, s24, v0
	s_add_co_i32 s16, s3, s16
	v_lshl_add_u32 v99, v60, 2, 0
	s_mul_i32 s16, s16, s46
	s_and_b32 s19, 0xffff, s27
	s_ashr_i32 s17, s16, 31
	s_or_b32 s0, s0, s1
	v_cmp_gt_i32_e32 vcc_lo, s33, v1
	s_wait_alu 0xfffe
	s_and_saveexec_b32 s1, s0
	s_wait_alu 0xfffe
	s_xor_b32 s0, exec_lo, s1
; %bb.428:
	v_mad_u32_u24 v0, 0xf0, v116, v99
	v_mov_b32_e32 v1, 0
	ds_store_b32 v0, v1
                                        ; implicit-def: $vgpr0
; %bb.429:
	s_wait_alu 0xfffe
	s_or_saveexec_b32 s1, s0
	s_add_nc_u64 s[8:9], s[8:9], s[16:17]
	s_mul_i32 s19, s19, 0x10001
	s_wait_alu 0xfffe
	s_xor_b32 exec_lo, exec_lo, s1
	s_cbranch_execz .LBB19_431
; %bb.430:
	v_mul_lo_u32 v0, v0, s35
	v_mul_lo_u32 v1, v118, s68
	s_delay_alu instid0(VALU_DEP_1) | instskip(NEXT) | instid1(VALU_DEP_1)
	v_add3_u32 v0, v1, v60, v0
	v_ashrrev_i32_e32 v1, 31, v0
	s_delay_alu instid0(VALU_DEP_1) | instskip(NEXT) | instid1(VALU_DEP_1)
	v_lshlrev_b64_e32 v[0:1], 3, v[0:1]
	v_add_co_u32 v0, s0, s8, v0
	s_wait_alu 0xf1ff
	s_delay_alu instid0(VALU_DEP_2) | instskip(SKIP_4) | instid1(VALU_DEP_1)
	v_add_co_ci_u32_e64 v1, null, s9, v1, s0
	global_load_b64 v[0:1], v[0:1], off
	s_wait_loadcnt 0x0
	v_cvt_f16_f32_e32 v0, v0
	v_cvt_f16_f32_e32 v1, v1
	v_pack_b32_f16 v0, v0, v1
	v_mad_u32_u24 v1, 0xf0, v116, v99
	s_delay_alu instid0(VALU_DEP_2)
	v_pk_mul_f16 v0, v0, s19
	ds_store_b32 v1, v0
.LBB19_431:
	s_or_b32 exec_lo, exec_lo, s1
	v_lshrrev_b32_e32 v0, 1, v103
	s_xor_b32 s1, vcc_lo, -1
	s_delay_alu instid0(VALU_DEP_1) | instskip(NEXT) | instid1(VALU_DEP_1)
	v_add_nc_u32_e32 v0, s18, v0
	v_cmp_le_i32_e64 s0, s24, v0
	s_wait_alu 0xfffe
	s_or_b32 s0, s0, s1
	s_wait_alu 0xfffe
	s_and_saveexec_b32 s16, s0
	s_delay_alu instid0(SALU_CYCLE_1)
	s_xor_b32 s0, exec_lo, s16
; %bb.432:
	v_mad_u32_u24 v0, 0xf0, v103, v99
	v_mov_b32_e32 v1, 0
                                        ; implicit-def: $vgpr103
	ds_store_b32 v0, v1
                                        ; implicit-def: $vgpr0
; %bb.433:
	s_wait_alu 0xfffe
	s_and_not1_saveexec_b32 s0, s0
	s_cbranch_execz .LBB19_435
; %bb.434:
	v_mul_lo_u32 v0, v0, s35
	v_mul_lo_u32 v1, v118, s68
	s_delay_alu instid0(VALU_DEP_1) | instskip(NEXT) | instid1(VALU_DEP_1)
	v_add3_u32 v0, v1, v60, v0
	v_ashrrev_i32_e32 v1, 31, v0
	s_delay_alu instid0(VALU_DEP_1) | instskip(NEXT) | instid1(VALU_DEP_1)
	v_lshlrev_b64_e32 v[0:1], 3, v[0:1]
	v_add_co_u32 v0, vcc_lo, s8, v0
	s_wait_alu 0xfffd
	s_delay_alu instid0(VALU_DEP_2) | instskip(SKIP_4) | instid1(VALU_DEP_1)
	v_add_co_ci_u32_e64 v1, null, s9, v1, vcc_lo
	global_load_b64 v[0:1], v[0:1], off
	s_wait_loadcnt 0x0
	v_cvt_f16_f32_e32 v0, v0
	v_cvt_f16_f32_e32 v1, v1
	v_pack_b32_f16 v0, v0, v1
	v_mad_u32_u24 v1, 0xf0, v103, v99
	s_delay_alu instid0(VALU_DEP_2)
	v_pk_mul_f16 v0, v0, s19
	ds_store_b32 v1, v0
.LBB19_435:
	s_wait_alu 0xfffe
	s_or_b32 exec_lo, exec_lo, s0
	v_lshrrev_b32_e32 v0, 1, v102
	s_delay_alu instid0(VALU_DEP_1) | instskip(NEXT) | instid1(VALU_DEP_1)
	v_add_nc_u32_e32 v0, s18, v0
	v_cmp_le_i32_e32 vcc_lo, s24, v0
	s_or_b32 s0, vcc_lo, s1
	s_wait_alu 0xfffe
	s_and_saveexec_b32 s16, s0
	s_delay_alu instid0(SALU_CYCLE_1)
	s_xor_b32 s0, exec_lo, s16
; %bb.436:
	v_mad_u32_u24 v0, 0xf0, v102, v99
	v_mov_b32_e32 v1, 0
                                        ; implicit-def: $vgpr102
	ds_store_b32 v0, v1
                                        ; implicit-def: $vgpr0
; %bb.437:
	s_wait_alu 0xfffe
	s_and_not1_saveexec_b32 s0, s0
	s_cbranch_execz .LBB19_439
; %bb.438:
	v_mul_lo_u32 v0, v0, s35
	v_mul_lo_u32 v1, v118, s68
	s_delay_alu instid0(VALU_DEP_1) | instskip(NEXT) | instid1(VALU_DEP_1)
	v_add3_u32 v0, v1, v60, v0
	v_ashrrev_i32_e32 v1, 31, v0
	s_delay_alu instid0(VALU_DEP_1) | instskip(NEXT) | instid1(VALU_DEP_1)
	v_lshlrev_b64_e32 v[0:1], 3, v[0:1]
	v_add_co_u32 v0, vcc_lo, s8, v0
	s_wait_alu 0xfffd
	s_delay_alu instid0(VALU_DEP_2) | instskip(SKIP_4) | instid1(VALU_DEP_1)
	v_add_co_ci_u32_e64 v1, null, s9, v1, vcc_lo
	global_load_b64 v[0:1], v[0:1], off
	s_wait_loadcnt 0x0
	v_cvt_f16_f32_e32 v0, v0
	v_cvt_f16_f32_e32 v1, v1
	v_pack_b32_f16 v0, v0, v1
	v_mad_u32_u24 v1, 0xf0, v102, v99
	s_delay_alu instid0(VALU_DEP_2)
	v_pk_mul_f16 v0, v0, s19
	ds_store_b32 v1, v0
.LBB19_439:
	s_wait_alu 0xfffe
	s_or_b32 exec_lo, exec_lo, s0
	v_lshrrev_b32_e32 v0, 1, v101
	s_delay_alu instid0(VALU_DEP_1) | instskip(NEXT) | instid1(VALU_DEP_1)
	v_add_nc_u32_e32 v0, s18, v0
	v_cmp_le_i32_e32 vcc_lo, s24, v0
	s_or_b32 s0, vcc_lo, s1
	s_wait_alu 0xfffe
	s_and_saveexec_b32 s16, s0
	s_delay_alu instid0(SALU_CYCLE_1)
	s_xor_b32 s0, exec_lo, s16
; %bb.440:
	v_mad_u32_u24 v0, 0xf0, v101, v99
	v_mov_b32_e32 v1, 0
                                        ; implicit-def: $vgpr101
	ds_store_b32 v0, v1
                                        ; implicit-def: $vgpr0
; %bb.441:
	s_wait_alu 0xfffe
	s_and_not1_saveexec_b32 s0, s0
	s_cbranch_execz .LBB19_443
; %bb.442:
	v_mul_lo_u32 v0, v0, s35
	v_mul_lo_u32 v1, v118, s68
	s_delay_alu instid0(VALU_DEP_1) | instskip(NEXT) | instid1(VALU_DEP_1)
	v_add3_u32 v0, v1, v60, v0
	v_ashrrev_i32_e32 v1, 31, v0
	s_delay_alu instid0(VALU_DEP_1) | instskip(NEXT) | instid1(VALU_DEP_1)
	v_lshlrev_b64_e32 v[0:1], 3, v[0:1]
	v_add_co_u32 v0, vcc_lo, s8, v0
	s_wait_alu 0xfffd
	s_delay_alu instid0(VALU_DEP_2) | instskip(SKIP_4) | instid1(VALU_DEP_1)
	v_add_co_ci_u32_e64 v1, null, s9, v1, vcc_lo
	global_load_b64 v[0:1], v[0:1], off
	s_wait_loadcnt 0x0
	v_cvt_f16_f32_e32 v0, v0
	v_cvt_f16_f32_e32 v1, v1
	v_pack_b32_f16 v0, v0, v1
	v_mad_u32_u24 v1, 0xf0, v101, v99
	s_delay_alu instid0(VALU_DEP_2)
	v_pk_mul_f16 v0, v0, s19
	ds_store_b32 v1, v0
.LBB19_443:
	s_wait_alu 0xfffe
	s_or_b32 exec_lo, exec_lo, s0
	v_lshrrev_b32_e32 v0, 1, v98
	s_delay_alu instid0(VALU_DEP_1) | instskip(NEXT) | instid1(VALU_DEP_1)
	v_add_nc_u32_e32 v0, s18, v0
	v_cmp_le_i32_e32 vcc_lo, s24, v0
	s_or_b32 s0, vcc_lo, s1
	s_wait_alu 0xfffe
	s_and_saveexec_b32 s16, s0
	s_delay_alu instid0(SALU_CYCLE_1)
	s_xor_b32 s0, exec_lo, s16
; %bb.444:
	v_mad_u32_u24 v0, 0xf0, v98, v99
	v_mov_b32_e32 v1, 0
                                        ; implicit-def: $vgpr98
	ds_store_b32 v0, v1
                                        ; implicit-def: $vgpr0
; %bb.445:
	s_wait_alu 0xfffe
	s_and_not1_saveexec_b32 s0, s0
	s_cbranch_execz .LBB19_447
; %bb.446:
	v_mul_lo_u32 v0, v0, s35
	v_mul_lo_u32 v1, v118, s68
	s_delay_alu instid0(VALU_DEP_1) | instskip(NEXT) | instid1(VALU_DEP_1)
	v_add3_u32 v0, v1, v60, v0
	v_ashrrev_i32_e32 v1, 31, v0
	s_delay_alu instid0(VALU_DEP_1) | instskip(NEXT) | instid1(VALU_DEP_1)
	v_lshlrev_b64_e32 v[0:1], 3, v[0:1]
	v_add_co_u32 v0, vcc_lo, s8, v0
	s_wait_alu 0xfffd
	s_delay_alu instid0(VALU_DEP_2) | instskip(SKIP_4) | instid1(VALU_DEP_1)
	v_add_co_ci_u32_e64 v1, null, s9, v1, vcc_lo
	global_load_b64 v[0:1], v[0:1], off
	s_wait_loadcnt 0x0
	v_cvt_f16_f32_e32 v0, v0
	v_cvt_f16_f32_e32 v1, v1
	v_pack_b32_f16 v0, v0, v1
	v_mad_u32_u24 v1, 0xf0, v98, v99
	s_delay_alu instid0(VALU_DEP_2)
	v_pk_mul_f16 v0, v0, s19
	ds_store_b32 v1, v0
.LBB19_447:
	s_wait_alu 0xfffe
	s_or_b32 exec_lo, exec_lo, s0
	v_lshrrev_b32_e32 v0, 1, v97
	s_delay_alu instid0(VALU_DEP_1) | instskip(NEXT) | instid1(VALU_DEP_1)
	v_add_nc_u32_e32 v0, s18, v0
	v_cmp_le_i32_e32 vcc_lo, s24, v0
	s_or_b32 s0, vcc_lo, s1
	s_wait_alu 0xfffe
	s_and_saveexec_b32 s16, s0
	s_delay_alu instid0(SALU_CYCLE_1)
	s_xor_b32 s0, exec_lo, s16
; %bb.448:
	v_mad_u32_u24 v0, 0xf0, v97, v99
	v_mov_b32_e32 v1, 0
                                        ; implicit-def: $vgpr97
	ds_store_b32 v0, v1
                                        ; implicit-def: $vgpr0
; %bb.449:
	s_wait_alu 0xfffe
	s_and_not1_saveexec_b32 s0, s0
	s_cbranch_execz .LBB19_451
; %bb.450:
	v_mul_lo_u32 v0, v0, s35
	v_mul_lo_u32 v1, v118, s68
	s_delay_alu instid0(VALU_DEP_1) | instskip(NEXT) | instid1(VALU_DEP_1)
	v_add3_u32 v0, v1, v60, v0
	v_ashrrev_i32_e32 v1, 31, v0
	s_delay_alu instid0(VALU_DEP_1) | instskip(NEXT) | instid1(VALU_DEP_1)
	v_lshlrev_b64_e32 v[0:1], 3, v[0:1]
	v_add_co_u32 v0, vcc_lo, s8, v0
	s_wait_alu 0xfffd
	s_delay_alu instid0(VALU_DEP_2) | instskip(SKIP_4) | instid1(VALU_DEP_1)
	v_add_co_ci_u32_e64 v1, null, s9, v1, vcc_lo
	global_load_b64 v[0:1], v[0:1], off
	s_wait_loadcnt 0x0
	v_cvt_f16_f32_e32 v0, v0
	v_cvt_f16_f32_e32 v1, v1
	v_pack_b32_f16 v0, v0, v1
	v_mad_u32_u24 v1, 0xf0, v97, v99
	s_delay_alu instid0(VALU_DEP_2)
	v_pk_mul_f16 v0, v0, s19
	ds_store_b32 v1, v0
.LBB19_451:
	s_wait_alu 0xfffe
	s_or_b32 exec_lo, exec_lo, s0
	v_lshrrev_b32_e32 v0, 1, v96
	s_delay_alu instid0(VALU_DEP_1) | instskip(NEXT) | instid1(VALU_DEP_1)
	v_add_nc_u32_e32 v0, s18, v0
	v_cmp_le_i32_e32 vcc_lo, s24, v0
	s_or_b32 s0, vcc_lo, s1
	s_wait_alu 0xfffe
	s_and_saveexec_b32 s16, s0
	s_delay_alu instid0(SALU_CYCLE_1)
	s_xor_b32 s0, exec_lo, s16
; %bb.452:
	v_mad_u32_u24 v0, 0xf0, v96, v99
	v_mov_b32_e32 v1, 0
                                        ; implicit-def: $vgpr96
	ds_store_b32 v0, v1
                                        ; implicit-def: $vgpr0
; %bb.453:
	s_wait_alu 0xfffe
	s_and_not1_saveexec_b32 s0, s0
	s_cbranch_execz .LBB19_455
; %bb.454:
	v_mul_lo_u32 v0, v0, s35
	v_mul_lo_u32 v1, v118, s68
	s_delay_alu instid0(VALU_DEP_1) | instskip(NEXT) | instid1(VALU_DEP_1)
	v_add3_u32 v0, v1, v60, v0
	v_ashrrev_i32_e32 v1, 31, v0
	s_delay_alu instid0(VALU_DEP_1) | instskip(NEXT) | instid1(VALU_DEP_1)
	v_lshlrev_b64_e32 v[0:1], 3, v[0:1]
	v_add_co_u32 v0, vcc_lo, s8, v0
	s_wait_alu 0xfffd
	s_delay_alu instid0(VALU_DEP_2) | instskip(SKIP_4) | instid1(VALU_DEP_1)
	v_add_co_ci_u32_e64 v1, null, s9, v1, vcc_lo
	global_load_b64 v[0:1], v[0:1], off
	s_wait_loadcnt 0x0
	v_cvt_f16_f32_e32 v0, v0
	v_cvt_f16_f32_e32 v1, v1
	v_pack_b32_f16 v0, v0, v1
	v_mad_u32_u24 v1, 0xf0, v96, v99
	s_delay_alu instid0(VALU_DEP_2)
	v_pk_mul_f16 v0, v0, s19
	ds_store_b32 v1, v0
.LBB19_455:
	s_wait_alu 0xfffe
	s_or_b32 exec_lo, exec_lo, s0
	v_lshrrev_b32_e32 v0, 1, v95
	s_delay_alu instid0(VALU_DEP_1) | instskip(NEXT) | instid1(VALU_DEP_1)
	v_add_nc_u32_e32 v0, s18, v0
	v_cmp_le_i32_e32 vcc_lo, s24, v0
	s_or_b32 s0, vcc_lo, s1
	s_wait_alu 0xfffe
	s_and_saveexec_b32 s1, s0
	s_wait_alu 0xfffe
	s_xor_b32 s0, exec_lo, s1
; %bb.456:
	v_mad_u32_u24 v0, 0xf0, v95, v99
	v_mov_b32_e32 v1, 0
                                        ; implicit-def: $vgpr95
	ds_store_b32 v0, v1
                                        ; implicit-def: $vgpr0
; %bb.457:
	s_wait_alu 0xfffe
	s_and_not1_saveexec_b32 s0, s0
	s_cbranch_execz .LBB19_459
; %bb.458:
	v_mul_lo_u32 v0, v0, s35
	v_mul_lo_u32 v1, v118, s68
	s_delay_alu instid0(VALU_DEP_1) | instskip(NEXT) | instid1(VALU_DEP_1)
	v_add3_u32 v0, v1, v60, v0
	v_ashrrev_i32_e32 v1, 31, v0
	s_delay_alu instid0(VALU_DEP_1) | instskip(NEXT) | instid1(VALU_DEP_1)
	v_lshlrev_b64_e32 v[0:1], 3, v[0:1]
	v_add_co_u32 v0, vcc_lo, s8, v0
	s_wait_alu 0xfffd
	s_delay_alu instid0(VALU_DEP_2) | instskip(SKIP_4) | instid1(VALU_DEP_1)
	v_add_co_ci_u32_e64 v1, null, s9, v1, vcc_lo
	global_load_b64 v[0:1], v[0:1], off
	s_wait_loadcnt 0x0
	v_cvt_f16_f32_e32 v0, v0
	v_cvt_f16_f32_e32 v1, v1
	v_pack_b32_f16 v0, v0, v1
	v_mad_u32_u24 v1, 0xf0, v95, v99
	s_delay_alu instid0(VALU_DEP_2)
	v_pk_mul_f16 v0, v0, s19
	ds_store_b32 v1, v0
.LBB19_459:
	s_wait_alu 0xfffe
	s_or_b32 exec_lo, exec_lo, s0
	v_lshrrev_b32_e32 v106, 4, v60
	v_and_b32_e32 v105, 15, v60
	s_delay_alu instid0(VALU_DEP_2) | instskip(SKIP_1) | instid1(VALU_DEP_2)
	v_add_nc_u32_e32 v28, v220, v106
	v_and_b32_e32 v0, 1, v106
	v_lshrrev_b32_e32 v1, 1, v28
	s_delay_alu instid0(VALU_DEP_1) | instskip(NEXT) | instid1(VALU_DEP_3)
	v_add_nc_u32_e32 v2, s18, v1
	v_or_b32_e32 v1, s3, v0
	s_delay_alu instid0(VALU_DEP_2) | instskip(NEXT) | instid1(VALU_DEP_2)
	v_cmp_le_i32_e64 s0, s24, v2
	v_cmp_le_i32_e64 s1, s33, v1
	v_cmp_gt_i32_e32 vcc_lo, s33, v1
	s_or_b32 s0, s0, s1
	s_wait_alu 0xfffe
	s_and_saveexec_b32 s1, s0
	s_wait_alu 0xfffe
	s_xor_b32 s0, exec_lo, s1
	s_cbranch_execz .LBB19_461
; %bb.460:
	v_mul_u32_u24_e32 v1, 0xf0, v28
	v_lshlrev_b32_e32 v2, 2, v105
	s_delay_alu instid0(VALU_DEP_1)
	v_add3_u32 v1, 0, v1, v2
	v_mov_b32_e32 v2, 0
	ds_store_b32 v1, v2 offset:128
                                        ; implicit-def: $vgpr2
.LBB19_461:
	s_wait_alu 0xfffe
	s_or_saveexec_b32 s1, s0
	v_or_b32_e32 v1, 32, v105
	v_lshl_add_u32 v101, v105, 2, 0
	s_wait_alu 0xfffe
	s_xor_b32 exec_lo, exec_lo, s1
	s_cbranch_execz .LBB19_463
; %bb.462:
	v_mul_lo_u32 v2, v2, s35
	v_mul_lo_u32 v3, v0, s68
	s_delay_alu instid0(VALU_DEP_1) | instskip(NEXT) | instid1(VALU_DEP_1)
	v_add3_u32 v2, v3, v1, v2
	v_ashrrev_i32_e32 v3, 31, v2
	s_delay_alu instid0(VALU_DEP_1) | instskip(NEXT) | instid1(VALU_DEP_1)
	v_lshlrev_b64_e32 v[2:3], 3, v[2:3]
	v_add_co_u32 v2, s0, s8, v2
	s_wait_alu 0xf1ff
	s_delay_alu instid0(VALU_DEP_2) | instskip(SKIP_4) | instid1(VALU_DEP_1)
	v_add_co_ci_u32_e64 v3, null, s9, v3, s0
	global_load_b64 v[2:3], v[2:3], off
	s_wait_loadcnt 0x0
	v_cvt_f16_f32_e32 v2, v2
	v_cvt_f16_f32_e32 v3, v3
	v_pack_b32_f16 v2, v2, v3
	v_mad_u32_u24 v3, 0xf0, v28, v101
	s_delay_alu instid0(VALU_DEP_2)
	v_pk_mul_f16 v2, v2, s19
	ds_store_b32 v3, v2 offset:128
.LBB19_463:
	s_or_b32 exec_lo, exec_lo, s1
	v_add_nc_u32_e32 v31, 4, v28
	s_xor_b32 s1, vcc_lo, -1
	s_delay_alu instid0(VALU_DEP_1) | instskip(NEXT) | instid1(VALU_DEP_1)
	v_lshrrev_b32_e32 v2, 1, v31
	v_add_nc_u32_e32 v2, s18, v2
	s_delay_alu instid0(VALU_DEP_1) | instskip(SKIP_4) | instid1(SALU_CYCLE_1)
	v_cmp_le_i32_e64 s0, s24, v2
	s_wait_alu 0xfffe
	s_or_b32 s0, s0, s1
	s_wait_alu 0xfffe
	s_and_saveexec_b32 s16, s0
	s_xor_b32 s0, exec_lo, s16
	s_cbranch_execz .LBB19_465
; %bb.464:
	v_mul_u32_u24_e32 v2, 0xf0, v31
	v_lshlrev_b32_e32 v3, 2, v105
	s_delay_alu instid0(VALU_DEP_1)
	v_add3_u32 v2, 0, v2, v3
	v_mov_b32_e32 v3, 0
	ds_store_b32 v2, v3 offset:128
                                        ; implicit-def: $vgpr2
.LBB19_465:
	s_wait_alu 0xfffe
	s_and_not1_saveexec_b32 s0, s0
	s_cbranch_execz .LBB19_467
; %bb.466:
	v_mul_lo_u32 v2, v2, s35
	v_mul_lo_u32 v3, v0, s68
	s_delay_alu instid0(VALU_DEP_1) | instskip(NEXT) | instid1(VALU_DEP_1)
	v_add3_u32 v2, v3, v1, v2
	v_ashrrev_i32_e32 v3, 31, v2
	s_delay_alu instid0(VALU_DEP_1) | instskip(NEXT) | instid1(VALU_DEP_1)
	v_lshlrev_b64_e32 v[2:3], 3, v[2:3]
	v_add_co_u32 v2, vcc_lo, s8, v2
	s_wait_alu 0xfffd
	s_delay_alu instid0(VALU_DEP_2) | instskip(SKIP_4) | instid1(VALU_DEP_1)
	v_add_co_ci_u32_e64 v3, null, s9, v3, vcc_lo
	global_load_b64 v[2:3], v[2:3], off
	s_wait_loadcnt 0x0
	v_cvt_f16_f32_e32 v2, v2
	v_cvt_f16_f32_e32 v3, v3
	v_pack_b32_f16 v2, v2, v3
	v_mad_u32_u24 v3, 0xf0, v31, v101
	s_delay_alu instid0(VALU_DEP_2)
	v_pk_mul_f16 v2, v2, s19
	ds_store_b32 v3, v2 offset:128
.LBB19_467:
	s_wait_alu 0xfffe
	s_or_b32 exec_lo, exec_lo, s0
	v_add_nc_u32_e32 v2, 8, v28
	s_delay_alu instid0(VALU_DEP_1) | instskip(NEXT) | instid1(VALU_DEP_1)
	v_lshrrev_b32_e32 v3, 1, v2
	v_add_nc_u32_e32 v3, s18, v3
	s_delay_alu instid0(VALU_DEP_1) | instskip(SKIP_3) | instid1(SALU_CYCLE_1)
	v_cmp_le_i32_e32 vcc_lo, s24, v3
	s_or_b32 s0, vcc_lo, s1
	s_wait_alu 0xfffe
	s_and_saveexec_b32 s16, s0
	s_xor_b32 s0, exec_lo, s16
	s_cbranch_execz .LBB19_469
; %bb.468:
	v_mul_u32_u24_e32 v2, 0xf0, v2
	v_lshlrev_b32_e32 v3, 2, v105
	s_delay_alu instid0(VALU_DEP_1)
	v_add3_u32 v2, 0, v2, v3
	v_mov_b32_e32 v3, 0
	ds_store_b32 v2, v3 offset:128
                                        ; implicit-def: $vgpr3
                                        ; implicit-def: $vgpr2
.LBB19_469:
	s_wait_alu 0xfffe
	s_or_saveexec_b32 s16, s0
	s_mul_f32 s0, s4, 0x4f7ffffe
	s_xor_b32 exec_lo, exec_lo, s16
	s_cbranch_execz .LBB19_471
; %bb.470:
	v_mul_lo_u32 v3, v3, s35
	v_mul_lo_u32 v4, v0, s68
	v_mad_u32_u24 v2, 0xf0, v2, v101
	s_delay_alu instid0(VALU_DEP_2) | instskip(NEXT) | instid1(VALU_DEP_1)
	v_add3_u32 v3, v4, v1, v3
	v_ashrrev_i32_e32 v4, 31, v3
	s_delay_alu instid0(VALU_DEP_1) | instskip(NEXT) | instid1(VALU_DEP_1)
	v_lshlrev_b64_e32 v[3:4], 3, v[3:4]
	v_add_co_u32 v3, vcc_lo, s8, v3
	s_wait_alu 0xfffd
	s_delay_alu instid0(VALU_DEP_2) | instskip(SKIP_4) | instid1(VALU_DEP_1)
	v_add_co_ci_u32_e64 v4, null, s9, v4, vcc_lo
	global_load_b64 v[3:4], v[3:4], off
	s_wait_loadcnt 0x0
	v_cvt_f16_f32_e32 v3, v3
	v_cvt_f16_f32_e32 v4, v4
	v_pack_b32_f16 v3, v3, v4
	s_delay_alu instid0(VALU_DEP_1)
	v_pk_mul_f16 v3, v3, s19
	ds_store_b32 v2, v3 offset:128
.LBB19_471:
	s_or_b32 exec_lo, exec_lo, s16
	v_add_nc_u32_e32 v2, 12, v28
	s_wait_alu 0xfffe
	s_cvt_u32_f32 s16, s0
	s_sub_co_i32 s4, 0, s6
	s_delay_alu instid0(VALU_DEP_1) | instskip(NEXT) | instid1(VALU_DEP_1)
	v_lshrrev_b32_e32 v3, 1, v2
	v_add_nc_u32_e32 v3, s18, v3
	s_delay_alu instid0(VALU_DEP_1)
	v_cmp_le_i32_e32 vcc_lo, s24, v3
	s_or_b32 s0, vcc_lo, s1
	s_wait_alu 0xfffe
	s_and_saveexec_b32 s1, s0
	s_wait_alu 0xfffe
	s_xor_b32 s0, exec_lo, s1
	s_cbranch_execz .LBB19_473
; %bb.472:
	v_mul_u32_u24_e32 v0, 0xf0, v2
	v_lshlrev_b32_e32 v1, 2, v105
                                        ; implicit-def: $vgpr3
                                        ; implicit-def: $vgpr2
	s_delay_alu instid0(VALU_DEP_1)
	v_add3_u32 v0, 0, v0, v1
	v_mov_b32_e32 v1, 0
	ds_store_b32 v0, v1 offset:128
                                        ; implicit-def: $vgpr0
                                        ; implicit-def: $vgpr1
.LBB19_473:
	s_wait_alu 0xfffe
	s_or_saveexec_b32 s0, s0
	s_mul_i32 s4, s4, s16
	s_wait_alu 0xfffe
	s_xor_b32 exec_lo, exec_lo, s0
	s_cbranch_execz .LBB19_475
; %bb.474:
	v_mul_lo_u32 v3, v3, s35
	v_mul_lo_u32 v0, v0, s68
	s_delay_alu instid0(VALU_DEP_1) | instskip(NEXT) | instid1(VALU_DEP_1)
	v_add3_u32 v0, v0, v1, v3
	v_ashrrev_i32_e32 v1, 31, v0
	s_delay_alu instid0(VALU_DEP_1) | instskip(NEXT) | instid1(VALU_DEP_1)
	v_lshlrev_b64_e32 v[0:1], 3, v[0:1]
	v_add_co_u32 v0, vcc_lo, s8, v0
	s_wait_alu 0xfffd
	s_delay_alu instid0(VALU_DEP_2) | instskip(SKIP_4) | instid1(VALU_DEP_1)
	v_add_co_ci_u32_e64 v1, null, s9, v1, vcc_lo
	global_load_b64 v[0:1], v[0:1], off
	s_wait_loadcnt 0x0
	v_cvt_f16_f32_e32 v0, v0
	v_cvt_f16_f32_e32 v1, v1
	v_pack_b32_f16 v0, v0, v1
	v_mad_u32_u24 v1, 0xf0, v2, v101
	s_delay_alu instid0(VALU_DEP_2)
	v_pk_mul_f16 v0, v0, s19
	ds_store_b32 v1, v0 offset:128
.LBB19_475:
	s_or_b32 exec_lo, exec_lo, s0
	v_lshrrev_b32_e32 v104, 3, v60
	v_and_b32_e32 v102, 7, v60
	s_delay_alu instid0(VALU_DEP_2) | instskip(SKIP_3) | instid1(VALU_DEP_4)
	v_xor_b32_e32 v0, v93, v104
	v_and_b32_e32 v1, v93, v104
	v_and_b32_e32 v2, 1, v104
	v_add_nc_u32_e32 v30, v93, v104
	v_lshrrev_b16 v0, 1, v0
	s_delay_alu instid0(VALU_DEP_3) | instskip(SKIP_1) | instid1(VALU_DEP_2)
	v_or_b32_e32 v3, s3, v2
	s_mul_hi_u32 s3, s16, s4
	v_add_nc_u16 v0, v1, v0
	s_delay_alu instid0(VALU_DEP_2) | instskip(SKIP_1) | instid1(VALU_DEP_3)
	v_cmp_le_i32_e64 s0, s33, v3
	v_cmp_gt_i32_e32 vcc_lo, s33, v3
	v_and_b32_e32 v0, 0xffff, v0
	s_delay_alu instid0(VALU_DEP_1) | instskip(SKIP_1) | instid1(VALU_DEP_2)
	v_add_nc_u32_e32 v1, s18, v0
	v_mul_lo_u32 v0, s68, v2
	v_cmp_le_i32_e64 s1, s24, v1
	s_or_b32 s0, s1, s0
	s_wait_alu 0xfffe
	s_and_saveexec_b32 s1, s0
	s_wait_alu 0xfffe
	s_xor_b32 s0, exec_lo, s1
	s_cbranch_execz .LBB19_477
; %bb.476:
	v_mul_u32_u24_e32 v1, 0xf0, v30
	v_lshlrev_b32_e32 v2, 2, v102
	s_delay_alu instid0(VALU_DEP_1)
	v_add3_u32 v1, 0, v1, v2
	v_mov_b32_e32 v2, 0
	ds_store_b32 v1, v2 offset:192
                                        ; implicit-def: $vgpr1
.LBB19_477:
	s_wait_alu 0xfffe
	s_or_saveexec_b32 s1, s0
	v_add3_u32 v0, v0, v102, 48
	v_lshl_add_u32 v103, v102, 2, 0
	s_abs_i32 s4, s2
	s_add_co_i32 s16, s16, s3
	s_wait_alu 0xfffe
	s_xor_b32 exec_lo, exec_lo, s1
	s_cbranch_execz .LBB19_479
; %bb.478:
	v_mad_co_u64_u32 v[1:2], null, v1, s35, v[0:1]
	s_delay_alu instid0(VALU_DEP_1) | instskip(NEXT) | instid1(VALU_DEP_1)
	v_ashrrev_i32_e32 v2, 31, v1
	v_lshlrev_b64_e32 v[1:2], 3, v[1:2]
	s_delay_alu instid0(VALU_DEP_1) | instskip(SKIP_1) | instid1(VALU_DEP_2)
	v_add_co_u32 v1, s0, s8, v1
	s_wait_alu 0xf1ff
	v_add_co_ci_u32_e64 v2, null, s9, v2, s0
	global_load_b64 v[1:2], v[1:2], off
	s_wait_loadcnt 0x0
	v_cvt_f16_f32_e32 v1, v1
	v_cvt_f16_f32_e32 v2, v2
	s_delay_alu instid0(VALU_DEP_1) | instskip(SKIP_1) | instid1(VALU_DEP_2)
	v_pack_b32_f16 v1, v1, v2
	v_mad_u32_u24 v2, 0xf0, v30, v103
	v_pk_mul_f16 v1, v1, s19
	ds_store_b32 v2, v1 offset:192
.LBB19_479:
	s_or_b32 exec_lo, exec_lo, s1
	v_add_nc_u32_e32 v1, 8, v30
	s_xor_b32 s1, vcc_lo, -1
	s_mov_b32 s17, s5
	s_delay_alu instid0(VALU_DEP_1) | instskip(NEXT) | instid1(VALU_DEP_1)
	v_lshrrev_b32_e32 v2, 1, v1
	v_add_nc_u32_e32 v2, s18, v2
	s_delay_alu instid0(VALU_DEP_1)
	v_cmp_le_i32_e64 s0, s24, v2
	s_wait_alu 0xfffe
	s_or_b32 s0, s0, s1
	s_wait_alu 0xfffe
	s_and_saveexec_b32 s1, s0
	s_wait_alu 0xfffe
	s_xor_b32 s0, exec_lo, s1
	s_cbranch_execz .LBB19_481
; %bb.480:
	v_mul_u32_u24_e32 v0, 0xf0, v1
	v_lshlrev_b32_e32 v1, 2, v102
                                        ; implicit-def: $vgpr2
	s_delay_alu instid0(VALU_DEP_1)
	v_add3_u32 v0, 0, v0, v1
	v_mov_b32_e32 v1, 0
	ds_store_b32 v0, v1 offset:192
                                        ; implicit-def: $vgpr0
                                        ; implicit-def: $vgpr1
.LBB19_481:
	s_wait_alu 0xfffe
	s_or_saveexec_b32 s21, s0
	s_mul_u64 s[0:1], s[4:5], s[16:17]
	s_ashr_i32 s3, s2, 31
	s_xor_b32 exec_lo, exec_lo, s21
	s_cbranch_execz .LBB19_483
; %bb.482:
	v_mad_co_u64_u32 v[2:3], null, v2, s35, v[0:1]
	v_mad_u32_u24 v1, 0xf0, v1, v103
	s_delay_alu instid0(VALU_DEP_2) | instskip(NEXT) | instid1(VALU_DEP_1)
	v_ashrrev_i32_e32 v3, 31, v2
	v_lshlrev_b64_e32 v[2:3], 3, v[2:3]
	s_delay_alu instid0(VALU_DEP_1) | instskip(SKIP_1) | instid1(VALU_DEP_2)
	v_add_co_u32 v2, vcc_lo, s8, v2
	s_wait_alu 0xfffd
	v_add_co_ci_u32_e64 v3, null, s9, v3, vcc_lo
	global_load_b64 v[2:3], v[2:3], off
	s_wait_loadcnt 0x0
	v_cvt_f16_f32_e32 v0, v2
	v_cvt_f16_f32_e32 v2, v3
	s_delay_alu instid0(VALU_DEP_1) | instskip(NEXT) | instid1(VALU_DEP_1)
	v_pack_b32_f16 v0, v0, v2
	v_pk_mul_f16 v0, v0, s19
	ds_store_b32 v1, v0 offset:192
.LBB19_483:
	s_or_b32 exec_lo, exec_lo, s21
	v_lshrrev_b32_e32 v32, 2, v60
	v_dual_mov_b32 v126, 0 :: v_dual_and_b32 v33, 0x1ff0, v221
	v_mul_u32_u24_e32 v109, 0xf0, v105
	s_wait_alu 0xfffe
	s_mul_i32 s5, s1, s6
	v_and_b32_e32 v0, 0xfc, v32
	v_mad_u32_u24 v1, 0xf0, v33, 0
	s_wait_dscnt 0x0
	s_barrier_signal -1
	s_barrier_wait -1
	v_lshlrev_b32_e32 v107, 2, v0
	global_inv scope:SCOPE_SE
	s_mul_i32 s0, s20, s7
	s_wait_alu 0xfffe
	s_sub_co_i32 s4, s4, s5
	s_ashr_i32 s1, s0, 31
	v_add3_u32 v0, v1, v109, v107
	s_wait_alu 0xfffe
	s_sub_co_i32 s5, s4, s6
	s_cmp_ge_u32 s4, s6
	v_add_nc_u32_e32 v136, -1, v29
	s_wait_alu 0xfffe
	s_cselect_b32 s4, s5, s4
	ds_load_b128 v[24:27], v0
	ds_load_b128 v[20:23], v0 offset:32
	ds_load_b128 v[8:11], v0 offset:64
	;; [unrolled: 1-line block ×6, first 2 shown]
	s_wait_alu 0xfffe
	s_sub_co_i32 s5, s4, s6
	s_cmp_ge_u32 s4, s6
	v_lshlrev_b32_e32 v29, 1, v60
	s_wait_alu 0xfffe
	s_cselect_b32 s6, s5, s4
	s_mul_u64 s[4:5], s[28:29], s[2:3]
	s_wait_alu 0xfffe
	s_xor_b32 s6, s6, s3
	v_cmp_lt_i32_e32 vcc_lo, s34, v136
	s_wait_alu 0xfffe
	s_sub_co_i32 s8, s6, s3
	s_add_nc_u64 s[6:7], s[10:11], s[4:5]
	v_readlane_b32 s4, v255, 1
	v_readlane_b32 s5, v255, 2
	s_wait_alu 0xfffe
	s_ashr_i32 s9, s8, 31
	v_and_b32_e32 v29, 30, v29
	s_and_b32 vcc_lo, exec_lo, vcc_lo
	s_mov_b32 s10, -1
	s_mul_u64 s[2:3], s[4:5], s[2:3]
	s_wait_alu 0xfffe
	s_mul_u64 s[4:5], s[44:45], s[8:9]
	s_mul_i32 s8, s20, s31
	s_add_nc_u64 s[2:3], s[12:13], s[2:3]
	s_wait_alu 0xfffe
	s_ashr_i32 s9, s8, 31
	s_wait_loadcnt_dscnt 0x0
	s_barrier_signal -1
	s_barrier_wait -1
	global_inv scope:SCOPE_SE
	s_cbranch_vccnz .LBB19_487
; %bb.484:
	v_dual_mov_b32 v57, 0 :: v_dual_add_nc_u32 v34, s18, v28
	v_add_nc_u32_e32 v35, s18, v31
	s_ashr_i32 s37, s36, 31
	v_dual_mov_b32 v111, 32 :: v_dual_lshlrev_b32 v108, 4, v116
	s_delay_alu instid0(VALU_DEP_3)
	v_mul_hi_u32 v36, s38, v34
	v_mov_b32_e32 v74, v57
	v_mul_hi_u32 v37, s38, v35
	v_lshrrev_b32_e32 v38, 1, v60
	s_ashr_i32 s27, s26, 31
	v_add_nc_u32_e32 v40, v32, v221
	s_movk_i32 s10, 0x140
	s_wait_alu 0xfffe
	v_mov_b32_e32 v96, s37
	v_dual_mov_b32 v95, s36 :: v_dual_add_nc_u32 v36, v34, v36
	v_add_nc_u32_e32 v37, v35, v37
	v_mul_lo_u32 v81, s26, v30
	v_mul_lo_u32 v58, s36, v30
	s_delay_alu instid0(VALU_DEP_4)
	v_lshrrev_b32_e32 v36, s39, v36
	v_mad_u32_u24 v112, 0x50, v28, s10
	v_lshrrev_b32_e32 v37, s39, v37
	s_movk_i32 s10, 0xf00
	v_dual_mov_b32 v98, s27 :: v_dual_add_nc_u32 v41, v38, v108
	v_mul_lo_u32 v36, v36, s24
	s_delay_alu instid0(VALU_DEP_3)
	v_mul_lo_u32 v37, v37, s24
	s_wait_alu 0xfffe
	v_mad_u32_u24 v125, 0xf0, v30, s10
	v_mov_b32_e32 v97, s26
	v_mad_u32_u24 v119, 0xf0, v40, s10
	s_movk_i32 s10, 0x1680
	s_lshl_b32 s11, s26, 3
	s_wait_alu 0xfffe
	v_mad_u32_u24 v129, 0xf0, v30, s10
	v_sub_nc_u32_e32 v34, v34, v36
	v_sub_nc_u32_e32 v35, v35, v37
	v_and_or_b32 v36, v60, 14, v33
	s_lshl_b32 s10, s36, 3
	v_add_nc_u32_e32 v89, s11, v81
	v_mad_co_i64_i32 v[85:86], null, v34, s40, 0
	v_mad_co_i64_i32 v[87:88], null, v35, s40, 0
	v_and_b32_e32 v34, 16, v108
	v_and_b32_e32 v35, 0x1f8, v38
	s_wait_alu 0xfffe
	v_add_nc_u32_e32 v63, s10, v58
	v_mul_lo_u32 v77, s26, v40
	v_mul_lo_u32 v61, s36, v40
	v_mul_u32_u24_e32 v133, 0xf0, v34
	v_add_nc_u16 v35, v34, v35
	v_lshrrev_b32_e32 v34, 1, v36
	v_add_nc_u32_e32 v91, s11, v89
	v_add_nc_u32_e32 v69, s10, v63
	v_mul_lo_u32 v79, s26, v41
	v_lshrrev_b16 v35, 1, v35
	v_mul_u32_u24_e32 v128, 0x50, v34
	v_lshlrev_b32_e32 v34, 1, v32
	v_mul_lo_u32 v65, s36, v41
	v_dual_mov_b32 v76, v57 :: v_dual_lshlrev_b32 v39, 2, v60
	v_lshl_add_u32 v83, s26, 4, v77
	v_add_nc_u32_e32 v93, s11, v91
	v_mbcnt_lo_u32_b32 v123, -1, 0
	v_and_b32_e32 v127, 0xffff, v35
	v_lshl_add_u32 v67, s36, 4, v61
	v_add_nc_u32_e32 v71, s10, v69
	v_and_b32_e32 v35, 0x1f8, v34
	v_or_b32_e32 v36, 6, v34
	v_or_b32_e32 v34, 7, v34
	s_movk_i32 s12, 0x780
	v_mul_u32_u24_e32 v110, 0x50, v28
	v_and_or_b32 v56, v39, 4, 48
	v_mul_u32_u24_e32 v113, 0xf0, v40
	v_and_or_b32 v73, v39, 12, 32
	v_mul_u32_u24_e32 v114, 0xf0, v41
	v_ashrrev_i32_e32 v78, 31, v77
	v_ashrrev_i32_e32 v80, 31, v79
	;; [unrolled: 1-line block ×3, first 2 shown]
	v_mul_u32_u24_e32 v120, 0xf0, v30
	v_and_b32_e32 v75, 28, v39
	v_ashrrev_i32_e32 v82, 31, v81
	s_wait_alu 0xfffe
	v_mad_u32_u24 v122, 0xf0, v30, s12
	v_ashrrev_i32_e32 v90, 31, v89
	v_ashrrev_i32_e32 v92, 31, v91
	;; [unrolled: 1-line block ×3, first 2 shown]
	v_xor_b32_e32 v124, 16, v123
	v_ashrrev_i32_e32 v66, 31, v65
	v_ashrrev_i32_e32 v62, 31, v61
	;; [unrolled: 1-line block ×7, first 2 shown]
	v_mul_u32_u24_e32 v132, 0xf0, v35
	v_mul_u32_u24_e32 v130, 0xf0, v36
	;; [unrolled: 1-line block ×3, first 2 shown]
	s_mov_b32 s10, 0
	s_branch .LBB19_488
.LBB19_485:
                                        ; implicit-def: $sgpr48_sgpr49
	s_load_b64 s[46:47], s[0:1], 0x74
	v_cvt_f32_u32_e32 v1, s42
	s_branch .LBB19_2
.LBB19_486:
                                        ; implicit-def: $sgpr54_sgpr55
	s_load_b64 s[38:39], s[0:1], 0x5c
	s_branch .LBB19_5
.LBB19_487:
                                        ; implicit-def: $vgpr110
                                        ; implicit-def: $vgpr85_vgpr86
                                        ; implicit-def: $vgpr112
                                        ; implicit-def: $vgpr87_vgpr88
                                        ; implicit-def: $vgpr97_vgpr98
                                        ; implicit-def: $vgpr108
                                        ; implicit-def: $vgpr114
                                        ; implicit-def: $vgpr79_vgpr80
                                        ; implicit-def: $vgpr56
                                        ; implicit-def: $vgpr113
                                        ; implicit-def: $vgpr77_vgpr78
                                        ; implicit-def: $vgpr73
                                        ; implicit-def: $vgpr119
                                        ; implicit-def: $vgpr83_vgpr84
                                        ; implicit-def: $vgpr120
                                        ; implicit-def: $vgpr75
                                        ; implicit-def: $vgpr81_vgpr82
                                        ; implicit-def: $vgpr122
                                        ; implicit-def: $vgpr89_vgpr90
                                        ; implicit-def: $vgpr125
                                        ; implicit-def: $vgpr91_vgpr92
                                        ; implicit-def: $vgpr129
                                        ; implicit-def: $vgpr93_vgpr94
                                        ; implicit-def: $vgpr133
                                        ; implicit-def: $vgpr128
                                        ; implicit-def: $vgpr127
                                        ; implicit-def: $vgpr123
                                        ; implicit-def: $vgpr124
                                        ; implicit-def: $vgpr111
                                        ; implicit-def: $vgpr95_vgpr96
                                        ; implicit-def: $vgpr65_vgpr66
                                        ; implicit-def: $vgpr61_vgpr62
                                        ; implicit-def: $vgpr67_vgpr68
                                        ; implicit-def: $vgpr58_vgpr59
                                        ; implicit-def: $vgpr63_vgpr64
                                        ; implicit-def: $vgpr69_vgpr70
                                        ; implicit-def: $vgpr71_vgpr72
                                        ; implicit-def: $vgpr132
                                        ; implicit-def: $vgpr130
                                        ; implicit-def: $vgpr131
.LBB19_488:
	v_lshlrev_b32_e32 v134, 1, v29
	v_lshlrev_b32_e32 v121, 1, v105
	s_add_nc_u64 s[12:13], s[6:7], s[0:1]
	s_add_nc_u64 s[14:15], s[14:15], s[4:5]
	s_wait_alu 0xfffe
	s_and_not1_b32 vcc_lo, exec_lo, s10
	s_add_nc_u64 s[10:11], s[2:3], s[8:9]
	s_wait_alu 0xfffe
	s_cbranch_vccnz .LBB19_492
; %bb.489:
	v_dual_mov_b32 v57, 0 :: v_dual_add_nc_u32 v34, 0, v134
	v_add_nc_u32_e32 v29, s18, v28
	v_add_nc_u32_e32 v31, s18, v31
	v_mbcnt_lo_u32_b32 v123, -1, 0
	v_add_co_u32 v95, s0, s14, v134
	v_mov_b32_e32 v74, v57
	v_mul_hi_u32 v35, s38, v29
	v_mov_b32_e32 v76, v57
	v_mul_hi_u32 v36, s38, v31
	s_wait_alu 0xf1ff
	v_add_co_ci_u32_e64 v96, null, s15, 0, s0
	v_mov_b32_e32 v111, 32
	s_movk_i32 s0, 0x140
	v_dual_mov_b32 v135, 0xfeffffff :: v_dual_lshlrev_b32 v108, 4, v116
	v_add_nc_u32_e32 v35, v29, v35
	v_add_nc_u32_e32 v36, v31, v36
	v_lshrrev_b32_e32 v37, 1, v60
	v_lshlrev_b32_e32 v38, 2, v60
	v_xor_b32_e32 v124, 16, v123
	v_lshrrev_b32_e32 v35, s39, v35
	v_lshrrev_b32_e32 v36, s39, v36
	v_mul_u32_u24_e32 v110, 0x50, v28
	s_wait_alu 0xfffe
	v_mad_u32_u24 v112, 0x50, v28, s0
	v_cmp_gt_i32_e32 vcc_lo, 32, v124
	v_mul_lo_u32 v28, v35, s24
	v_mul_lo_u32 v36, v36, s24
	v_add_nc_u32_e32 v35, v37, v108
	v_and_b32_e32 v40, 4, v38
	v_dual_mov_b32 v126, v57 :: v_dual_add_nc_u32 v39, v32, v221
	v_mul_u32_u24_e32 v120, 0xf0, v30
	s_delay_alu instid0(VALU_DEP_4)
	v_mad_u32_u24 v42, 0xf0, v35, 0
	v_sub_nc_u32_e32 v28, v29, v28
	v_sub_nc_u32_e32 v29, v31, v36
	v_lshlrev_b32_e32 v31, 2, v40
	v_mul_u32_u24_e32 v113, 0xf0, v39
	v_mul_lo_u32 v79, s26, v35
	v_mad_co_i64_i32 v[85:86], null, v28, s40, 0
	s_delay_alu instid0(VALU_DEP_4)
	v_add3_u32 v97, v42, v31, 0xc0
	v_and_or_b32 v31, v60, 14, v33
	s_wait_alu 0xfffd
	v_cndmask_b32_e32 v33, v123, v124, vcc_lo
	v_mad_co_i64_i32 v[87:88], null, v29, s40, 0
	v_mul_u32_u24_e32 v114, 0xf0, v35
	v_mul_lo_u32 v65, s36, v35
	s_delay_alu instid0(VALU_DEP_4) | instskip(SKIP_4) | instid1(VALU_DEP_3)
	v_dual_mov_b32 v43, v57 :: v_dual_lshlrev_b32 v144, 2, v33
	v_mov_b32_e32 v33, v57
	v_and_b32_e32 v41, 12, v38
	v_dual_mov_b32 v36, v57 :: v_dual_and_b32 v75, 28, v38
	v_dual_mov_b32 v35, v57 :: v_dual_mov_b32 v38, v57
	v_lshlrev_b32_e32 v28, 2, v41
	s_delay_alu instid0(VALU_DEP_3)
	v_lshlrev_b32_e32 v29, 2, v75
	s_movk_i32 s0, 0xf00
	v_mul_lo_u32 v77, s26, v39
	s_wait_alu 0xfffe
	v_mad_u32_u24 v119, 0xf0, v39, s0
	v_add3_u32 v28, 0, v113, v28
	v_add3_u32 v138, 0, v120, v29
	v_dual_mov_b32 v46, v57 :: v_dual_and_b32 v29, 0x1f8, v37
	v_mul_lo_u32 v61, s36, v39
	s_delay_alu instid0(VALU_DEP_4)
	v_dual_mov_b32 v37, v57 :: v_dual_add_nc_u32 v98, 0x80, v28
	v_add_nc_u32_e32 v137, 0xf80, v28
	v_dual_mov_b32 v39, v57 :: v_dual_and_b32 v28, 16, v108
	v_mul_lo_u32 v81, s26, v30
	v_mul_lo_u32 v58, s36, v30
	v_lshrrev_b32_e32 v31, 1, v31
	s_delay_alu instid0(VALU_DEP_4)
	v_add_nc_u16 v29, v28, v29
	v_mul_u32_u24_e32 v133, 0xf0, v28
	v_mad_u32_u24 v125, 0xf0, v30, s0
	s_movk_i32 s0, 0x1680
	s_lshl_b32 s1, s26, 3
	v_lshrrev_b16 v29, 1, v29
	s_movk_i32 s2, 0x780
	s_wait_alu 0xfffe
	v_mad_u32_u24 v129, 0xf0, v30, s0
	s_lshl_b32 s0, s36, 3
	v_dual_mov_b32 v42, v57 :: v_dual_add_nc_u32 v89, s1, v81
	v_dual_mov_b32 v54, v57 :: v_dual_and_b32 v127, 0xffff, v29
	v_mad_u32_u24 v29, 0xf0, v28, 0
	v_dual_mov_b32 v45, v57 :: v_dual_lshlrev_b32 v28, 1, v32
	v_mad_u32_u24 v122, 0xf0, v30, s2
	v_mul_u32_u24_e32 v128, 0x50, v31
	v_lshlrev_b32_e32 v31, 2, v127
	s_wait_alu 0xfffe
	v_add_nc_u32_e32 v63, s0, v58
	v_dual_mov_b32 v47, v57 :: v_dual_and_b32 v30, 0x1f8, v28
	v_dual_mov_b32 v48, v57 :: v_dual_add_nc_u32 v91, s1, v89
	v_add3_u32 v143, 0, v128, v31
	v_or_b32_e32 v31, 6, v28
	v_or_b32_e32 v28, 7, v28
	v_mul_u32_u24_e32 v132, 0xf0, v30
	v_dual_mov_b32 v30, v57 :: v_dual_add_nc_u32 v69, s0, v63
	v_lshl_add_u32 v83, s26, 4, v77
	v_dual_mov_b32 v50, v57 :: v_dual_add_nc_u32 v93, s1, v91
	v_lshl_add_u32 v67, s36, 4, v61
	s_delay_alu instid0(VALU_DEP_4)
	v_add_nc_u32_e32 v71, s0, v69
	v_mul_u32_u24_e32 v130, 0xf0, v31
	v_mul_u32_u24_e32 v131, 0xf0, v28
	v_dual_mov_b32 v49, v57 :: v_dual_add_nc_u32 v28, v34, v110
	v_ashrrev_i32_e32 v80, 31, v79
	v_or_b32_e32 v56, 48, v40
	v_ashrrev_i32_e32 v78, 31, v77
	v_ashrrev_i32_e32 v84, 31, v83
	;; [unrolled: 1-line block ×3, first 2 shown]
	v_dual_mov_b32 v44, v57 :: v_dual_add_nc_u32 v139, 0x780, v138
	v_ashrrev_i32_e32 v90, 31, v89
	v_add_nc_u32_e32 v140, 0xf00, v138
	v_ashrrev_i32_e32 v92, 31, v91
	v_dual_mov_b32 v52, v57 :: v_dual_add_nc_u32 v141, 0x1680, v138
	v_ashrrev_i32_e32 v94, 31, v93
	v_add3_u32 v142, v29, v109, v107
	v_ashrrev_i32_e32 v66, 31, v65
	v_ashrrev_i32_e32 v62, 31, v61
	;; [unrolled: 1-line block ×7, first 2 shown]
	v_add3_u32 v145, v29, v132, v121
	v_add3_u32 v146, v29, v130, v121
	;; [unrolled: 1-line block ×3, first 2 shown]
	v_dual_mov_b32 v51, v57 :: v_dual_lshlrev_b32 v148, 2, v40
	v_dual_mov_b32 v53, v57 :: v_dual_lshlrev_b32 v150, 2, v75
	v_dual_mov_b32 v32, v57 :: v_dual_add_nc_u32 v151, 0x1c00, v28
	v_or_b32_e32 v73, 32, v41
	v_dual_mov_b32 v34, v57 :: v_dual_lshlrev_b32 v149, 2, v41
	v_dual_mov_b32 v40, v57 :: v_dual_mov_b32 v41, v57
	v_dual_mov_b32 v55, v57 :: v_dual_mov_b32 v28, v57
	v_mov_b32_e32 v29, v57
	v_mov_b32_e32 v31, v57
	s_ashr_i32 s27, s26, 31
	s_ashr_i32 s37, s36, 31
	s_lshl_b32 s16, s34, 5
.LBB19_490:                             ; =>This Inner Loop Header: Depth=1
	s_delay_alu instid0(SALU_CYCLE_1)
	s_ashr_i32 s17, s16, 31
	v_lshlrev_b64_e32 v[152:153], 1, v[85:86]
	s_lshl_b64 s[0:1], s[16:17], 1
	v_lshlrev_b64_e32 v[154:155], 1, v[87:88]
	s_wait_alu 0xfffe
	v_add_co_u32 v115, vcc_lo, v95, s0
	s_wait_alu 0xfffd
	v_add_co_ci_u32_e64 v117, null, s1, v96, vcc_lo
	v_lshlrev_b64_e32 v[156:157], 2, v[79:80]
	s_mul_u64 s[2:3], s[16:17], s[26:27]
	v_lshlrev_b64_e32 v[158:159], 2, v[77:78]
	s_wait_alu 0xfffe
	s_lshl_b64 s[0:1], s[2:3], 2
	v_add_co_u32 v152, vcc_lo, v115, v152
	v_lshlrev_b64_e32 v[160:161], 2, v[83:84]
	s_wait_alu 0xfffd
	v_add_co_ci_u32_e64 v153, null, v117, v153, vcc_lo
	v_add_co_u32 v154, vcc_lo, v115, v154
	s_wait_alu 0xfffe
	s_add_nc_u64 s[0:1], s[12:13], s[0:1]
	v_lshlrev_b64_e32 v[162:163], 2, v[81:82]
	s_wait_alu 0xfffd
	v_add_co_ci_u32_e64 v155, null, v117, v155, vcc_lo
	s_wait_alu 0xfffe
	v_add_co_u32 v115, vcc_lo, s0, v156
	v_lshlrev_b64_e32 v[164:165], 2, v[89:90]
	s_wait_alu 0xfffd
	v_add_co_ci_u32_e64 v117, null, s1, v157, vcc_lo
	v_add_co_u32 v156, vcc_lo, s0, v158
	v_lshlrev_b64_e32 v[166:167], 2, v[91:92]
	s_wait_alu 0xfffd
	v_add_co_ci_u32_e64 v157, null, s1, v159, vcc_lo
	;; [unrolled: 4-line block ×3, first 2 shown]
	v_add_co_u32 v162, vcc_lo, s0, v162
	s_wait_alu 0xfffd
	v_add_co_ci_u32_e64 v163, null, s1, v163, vcc_lo
	v_add_co_u32 v170, vcc_lo, s0, v164
	s_wait_alu 0xfffd
	v_add_co_ci_u32_e64 v171, null, s1, v165, vcc_lo
	;; [unrolled: 3-line block ×4, first 2 shown]
	s_clause 0x1
	global_load_b32 v194, v[152:153], off
	global_load_b32 v195, v[154:155], off
	v_add_co_u32 v152, vcc_lo, v115, v148
	s_wait_alu 0xfffd
	v_add_co_ci_u32_e64 v153, null, 0, v117, vcc_lo
	v_add_co_u32 v156, vcc_lo, v156, v149
	s_wait_alu 0xfffd
	v_add_co_ci_u32_e64 v157, null, 0, v157, vcc_lo
	;; [unrolled: 3-line block ×7, first 2 shown]
	s_clause 0x6
	global_load_b128 v[152:155], v[152:153], off offset:192
	global_load_b128 v[156:159], v[156:157], off offset:128
	;; [unrolled: 1-line block ×3, first 2 shown]
	global_load_b128 v[164:167], v[164:165], off
	global_load_b128 v[168:171], v[168:169], off
	;; [unrolled: 1-line block ×4, first 2 shown]
	v_lshlrev_b64_e32 v[180:181], 2, v[65:66]
	s_mul_u64 s[0:1], s[16:17], s[36:37]
	v_lshlrev_b64_e32 v[182:183], 2, v[61:62]
	s_wait_alu 0xfffe
	s_lshl_b64 s[0:1], s[0:1], 2
	v_lshlrev_b64_e32 v[184:185], 2, v[67:68]
	s_wait_alu 0xfffe
	s_add_nc_u64 s[0:1], s[10:11], s[0:1]
	v_lshlrev_b64_e32 v[186:187], 2, v[58:59]
	s_wait_alu 0xfffe
	v_add_co_u32 v115, vcc_lo, s0, v180
	v_lshlrev_b64_e32 v[188:189], 2, v[63:64]
	s_wait_alu 0xfffd
	v_add_co_ci_u32_e64 v117, null, s1, v181, vcc_lo
	v_add_co_u32 v180, vcc_lo, s0, v182
	v_lshlrev_b64_e32 v[190:191], 2, v[69:70]
	s_wait_alu 0xfffd
	v_add_co_ci_u32_e64 v181, null, s1, v183, vcc_lo
	;; [unrolled: 4-line block ×3, first 2 shown]
	v_add_co_u32 v184, vcc_lo, s0, v186
	s_wait_alu 0xfffd
	v_add_co_ci_u32_e64 v185, null, s1, v187, vcc_lo
	v_add_co_u32 v186, vcc_lo, s0, v188
	s_wait_alu 0xfffd
	v_add_co_ci_u32_e64 v187, null, s1, v189, vcc_lo
	;; [unrolled: 3-line block ×11, first 2 shown]
	v_mov_b32_e32 v115, v135
	s_add_co_i32 s34, s34, 1
	s_add_co_i32 s16, s16, 32
	s_wait_alu 0xfffe
	v_cmp_lt_i32_e32 vcc_lo, s34, v136
	s_wait_loadcnt 0x7
	ds_store_2addr_b32 v151, v194, v195 offset0:128 offset1:208
	s_wait_loadcnt 0x6
	ds_store_b128 v97, v[152:155]
	s_wait_loadcnt 0x5
	ds_store_b128 v98, v[156:159]
	;; [unrolled: 2-line block ×7, first 2 shown]
	s_wait_dscnt 0x0
	s_barrier_signal -1
	s_barrier_wait -1
	global_inv scope:SCOPE_SE
	ds_load_b128 v[160:163], v142
	ds_load_b128 v[164:167], v142 offset:32
	ds_load_b128 v[168:171], v142 offset:64
	;; [unrolled: 1-line block ×6, first 2 shown]
	s_wait_loadcnt_dscnt 0x0
	s_barrier_signal -1
	s_barrier_wait -1
	global_inv scope:SCOPE_SE
	s_clause 0x6
	global_load_b128 v[188:191], v[188:189], off offset:192
	global_load_b128 v[192:195], v[192:193], off offset:128
	;; [unrolled: 1-line block ×3, first 2 shown]
	global_load_b128 v[200:203], v[200:201], off
	global_load_b128 v[204:207], v[204:205], off
	;; [unrolled: 1-line block ×4, first 2 shown]
	s_and_b32 vcc_lo, exec_lo, vcc_lo
	v_wmma_f32_16x16x16_f16 v[152:159], v[160:163], v[24:27], 0
	s_delay_alu instid0(VALU_DEP_1) | instskip(NEXT) | instid1(VALU_DEP_1)
	v_wmma_f32_16x16x16_f16 v[152:159], v[164:167], v[20:23], v[152:159]
	v_wmma_f32_16x16x16_f16 v[152:159], v[168:171], v[8:11], v[152:159]
	s_delay_alu instid0(VALU_DEP_1) | instskip(NEXT) | instid1(VALU_DEP_1)
	v_wmma_f32_16x16x16_f16 v[152:159], v[172:175], v[12:15], v[152:159]
	;; [unrolled: 3-line block ×3, first 2 shown]
	v_wmma_f32_16x16x16_f16 v[152:159], v[184:187], v[0:3], v[152:159]
	v_dual_mov_b32 v117, v126 :: v_dual_add_nc_u32 v126, 0x1e00, v143
	v_add_nc_u32_e32 v135, 0x1e08, v143
	ds_load_2addr_b32 v[216:217], v126 offset1:1
	ds_load_2addr_b32 v[218:219], v135 offset1:1
	s_wait_loadcnt 0x6
	ds_store_b128 v97, v[188:191]
	s_wait_loadcnt 0x5
	ds_store_b128 v98, v[192:195]
	;; [unrolled: 2-line block ×7, first 2 shown]
	s_wait_dscnt 0x8
	v_lshrrev_b32_e32 v135, 16, v216
	v_cvt_f32_f16_e64 v126, v216
	v_cvt_f32_f16_e64 v160, v217
	v_lshrrev_b32_e32 v161, 16, v217
	s_wait_dscnt 0x7
	v_lshrrev_b32_e32 v163, 16, v218
	v_lshrrev_b32_e32 v217, 16, v219
	v_cvt_f32_f16_e64 v135, v135
	v_cvt_f32_f16_e64 v162, v218
	;; [unrolled: 1-line block ×6, first 2 shown]
	v_add_f32_e32 v126, v152, v126
	v_dual_add_f32 v152, v153, v135 :: v_dual_add_f32 v153, v154, v160
	v_dual_add_f32 v154, v155, v161 :: v_dual_add_f32 v155, v156, v162
	;; [unrolled: 1-line block ×3, first 2 shown]
	s_delay_alu instid0(VALU_DEP_3) | instskip(SKIP_1) | instid1(VALU_DEP_4)
	v_add_f32_e32 v160, 0x40051340, v153
	v_dual_add_f32 v158, v159, v164 :: v_dual_add_f32 v135, 0x40051340, v126
	v_dual_add_f32 v159, 0x40051340, v152 :: v_dual_add_f32 v162, 0x40051340, v155
	s_delay_alu instid0(VALU_DEP_4) | instskip(SKIP_1) | instid1(VALU_DEP_3)
	v_dual_add_f32 v161, 0x40051340, v154 :: v_dual_add_f32 v164, 0x40051340, v157
	v_add_f32_e32 v163, 0x40051340, v156
	v_max3_num_f32 v135, v115, v135, v159
	v_add_f32_e32 v165, 0x40051340, v158
	s_wait_dscnt 0x0
	s_barrier_signal -1
	s_barrier_wait -1
	v_max3_num_f32 v135, v135, v160, v161
	global_inv scope:SCOPE_SE
	v_max3_num_f32 v135, v135, v162, v163
	s_delay_alu instid0(VALU_DEP_1) | instskip(SKIP_3) | instid1(VALU_DEP_1)
	v_max3_num_f32 v135, v135, v164, v165
	ds_bpermute_b32 v159, v144, v135
	s_wait_dscnt 0x0
	v_max_num_f32_e32 v159, v159, v159
	v_max_num_f32_e32 v135, v135, v159
	s_delay_alu instid0(VALU_DEP_1) | instskip(NEXT) | instid1(VALU_DEP_1)
	v_sub_f32_e32 v154, v154, v135
	v_mul_f32_e32 v162, 0x3fb8aa3b, v154
	v_sub_f32_e32 v126, v126, v135
	v_sub_f32_e32 v152, v152, v135
	v_sub_f32_e32 v156, v156, v135
	v_sub_f32_e32 v153, v153, v135
	v_rndne_f32_e32 v175, v162
	s_delay_alu instid0(VALU_DEP_4) | instskip(NEXT) | instid1(VALU_DEP_3)
	v_dual_mul_f32 v159, 0x3fb8aa3b, v126 :: v_dual_mul_f32 v160, 0x3fb8aa3b, v152
	v_dual_mul_f32 v164, 0x3fb8aa3b, v156 :: v_dual_mul_f32 v161, 0x3fb8aa3b, v153
	v_fma_f32 v174, 0x3fb8aa3b, v154, -v162
	s_delay_alu instid0(VALU_DEP_3)
	v_fma_f32 v168, 0x3fb8aa3b, v126, -v159
	v_sub_f32_e32 v157, v157, v135
	v_rndne_f32_e32 v169, v159
	v_fma_f32 v170, 0x3fb8aa3b, v152, -v160
	v_rndne_f32_e32 v171, v160
	v_fma_f32 v172, 0x3fb8aa3b, v153, -v161
	v_rndne_f32_e32 v173, v161
	s_delay_alu instid0(VALU_DEP_4)
	v_dual_sub_f32 v115, v115, v135 :: v_dual_fmac_f32 v170, 0x32a5705f, v152
	v_rndne_f32_e32 v179, v164
	v_fmac_f32_e32 v168, 0x32a5705f, v126
	v_dual_sub_f32 v158, v158, v135 :: v_dual_mul_f32 v165, 0x3fb8aa3b, v157
	v_sub_f32_e32 v155, v155, v135
	v_dual_sub_f32 v159, v159, v169 :: v_dual_sub_f32 v160, v160, v171
	v_fmac_f32_e32 v172, 0x32a5705f, v153
	v_dual_sub_f32 v161, v161, v173 :: v_dual_fmac_f32 v174, 0x32a5705f, v154
	s_delay_alu instid0(VALU_DEP_4) | instskip(NEXT) | instid1(VALU_DEP_4)
	v_dual_mul_f32 v166, 0x3fb8aa3b, v158 :: v_dual_mul_f32 v163, 0x3fb8aa3b, v155
	v_add_f32_e32 v160, v160, v170
	v_fma_f32 v178, 0x3fb8aa3b, v156, -v164
	v_dual_add_f32 v159, v159, v168 :: v_dual_sub_f32 v164, v164, v179
	v_add_f32_e32 v161, v161, v172
	v_rndne_f32_e32 v177, v163
	v_exp_f32_e32 v160, v160
	s_delay_alu instid0(VALU_DEP_3)
	v_exp_f32_e32 v159, v159
	v_fma_f32 v176, 0x3fb8aa3b, v155, -v163
	v_exp_f32_e32 v161, v161
	v_cvt_i32_f32_e32 v169, v169
	v_cvt_i32_f32_e32 v171, v171
	;; [unrolled: 1-line block ×3, first 2 shown]
	v_dual_sub_f32 v162, v162, v175 :: v_dual_sub_f32 v163, v163, v177
	v_mul_f32_e32 v167, 0x3fb8aa3b, v115
	v_fma_f32 v180, 0x3fb8aa3b, v157, -v165
	v_rndne_f32_e32 v181, v165
	v_fma_f32 v182, 0x3fb8aa3b, v158, -v166
	v_rndne_f32_e32 v183, v166
	v_fmac_f32_e32 v176, 0x32a5705f, v155
	v_add_f32_e32 v162, v162, v174
	v_fma_f32 v184, 0x3fb8aa3b, v115, -v167
	v_rndne_f32_e32 v185, v167
	v_ldexp_f32 v159, v159, v169
	v_ldexp_f32 v160, v160, v171
	v_cmp_ngt_f32_e64 s0, 0xc2ce8ed0, v152
	v_ldexp_f32 v161, v161, v173
	v_cmp_ngt_f32_e64 s1, 0xc2ce8ed0, v153
	v_cmp_ngt_f32_e64 s8, 0xc2ce8ed0, v126
	v_dual_fmac_f32 v178, 0x32a5705f, v156 :: v_dual_sub_f32 v167, v167, v185
	v_sub_f32_e32 v165, v165, v181
	v_dual_fmac_f32 v180, 0x32a5705f, v157 :: v_dual_add_f32 v163, v163, v176
	v_fmac_f32_e32 v182, 0x32a5705f, v158
	v_fmac_f32_e32 v184, 0x32a5705f, v115
	v_sub_f32_e32 v166, v166, v183
	s_wait_alu 0xf1ff
	v_cndmask_b32_e64 v159, 0, v159, s8
	v_cndmask_b32_e64 v160, 0, v160, s0
	v_cmp_nlt_f32_e64 s0, 0x42b17218, v152
	v_cndmask_b32_e64 v152, 0, v161, s1
	v_cmp_nlt_f32_e64 s1, 0x42b17218, v153
	v_cmp_nlt_f32_e64 s8, 0x42b17218, v126
	v_add_f32_e32 v165, v165, v180
	v_add_f32_e32 v167, v167, v184
	v_exp_f32_e32 v162, v162
	s_wait_alu 0xf1ff
	v_cndmask_b32_e64 v152, 0x7f800000, v152, s1
	v_add_f32_e32 v166, v166, v182
	v_cndmask_b32_e64 v126, 0x7f800000, v159, s8
	v_cndmask_b32_e64 v159, 0x7f800000, v160, s0
	v_add_f32_e32 v164, v164, v178
	v_exp_f32_e32 v163, v163
	v_exp_f32_e32 v165, v165
	;; [unrolled: 1-line block ×5, first 2 shown]
	v_cvt_i32_f32_e32 v175, v175
	v_cvt_i32_f32_e32 v177, v177
	;; [unrolled: 1-line block ×6, first 2 shown]
	v_ldexp_f32 v162, v162, v175
	v_cmp_ngt_f32_e64 s2, 0xc2ce8ed0, v154
	v_ldexp_f32 v163, v163, v177
	v_cmp_ngt_f32_e64 s3, 0xc2ce8ed0, v155
	;; [unrolled: 2-line block ×6, first 2 shown]
	s_wait_alu 0xf1ff
	v_cndmask_b32_e64 v153, 0, v162, s2
	v_cmp_nlt_f32_e64 s2, 0x42b17218, v154
	v_cndmask_b32_e64 v154, 0, v163, s3
	v_cmp_nlt_f32_e64 s3, 0x42b17218, v155
	;; [unrolled: 2-line block ×6, first 2 shown]
	s_wait_alu 0xf1ff
	v_cndmask_b32_e64 v160, 0x7f800000, v153, s2
	v_cndmask_b32_e64 v161, 0x7f800000, v154, s3
	v_cndmask_b32_e64 v163, 0x7f800000, v155, s4
	v_cndmask_b32_e64 v184, 0x7f800000, v156, s5
	v_cndmask_b32_e64 v153, 0x7f800000, v158, s7
	v_cndmask_b32_e64 v185, 0x7f800000, v157, s6
	v_cmp_le_f32_e64 s0, 0xc1a00000, v115
	v_add_f32_e32 v115, v126, v159
	v_cvt_f16_f32_e64 v156, v160
	v_cvt_f16_f32_e64 v154, v161
	v_cvt_f16_f32_e64 v157, v163
	s_wait_alu 0xf1ff
	v_cndmask_b32_e64 v186, 0, v153, s0
	v_cvt_f16_f32_e64 v153, v152
	v_cvt_f16_f32_e64 v155, v184
	;; [unrolled: 1-line block ×3, first 2 shown]
	v_cvt_f16_f32_e32 v126, v126
	v_cvt_f16_f32_e64 v159, v159
	v_add_f32_e32 v115, v152, v115
	v_cvt_f16_f32_e64 v162, v186
	v_perm_b32 v155, v158, v155, 0x5040100
	v_perm_b32 v154, v157, v154, 0x5040100
	;; [unrolled: 1-line block ×4, first 2 shown]
	v_dual_add_f32 v115, v160, v115 :: v_dual_and_b32 v126, 0xffff, v162
	ds_load_u16 v157, v145 offset:512
	ds_load_u16 v160, v145 offset:192
	;; [unrolled: 1-line block ×3, first 2 shown]
	ds_load_u16 v164, v145
	ds_load_u16 v156, v145 offset:32
	ds_load_u16 v168, v145 offset:64
	ds_load_u16 v172, v145 offset:96
	ds_load_u16 v176, v145 offset:128
	ds_load_u16 v180, v145 offset:160
	ds_load_u16 v158, v145 offset:992
	ds_load_u16 v170, v145 offset:1024
	ds_load_u16 v174, v145 offset:1056
	ds_load_u16 v159, v146 offset:32
	ds_load_u16 v171, v146 offset:64
	ds_load_u16 v175, v146 offset:96
	ds_load_u16 v179, v146 offset:128
	ds_load_u16 v166, v145 offset:960
	ds_load_u16 v169, v145 offset:544
	ds_load_u16 v173, v145 offset:576
	ds_load_u16 v177, v145 offset:608
	ds_load_u16 v181, v145 offset:640
	v_add_f32_e32 v115, v161, v115
	s_wait_dscnt 0x13
	ds_load_u16_d16_hi v160, v145 offset:432
	ds_load_u16_d16_hi v157, v145 offset:752
	ds_load_u16 v161, v145 offset:672
	s_wait_dscnt 0x15
	ds_load_u16_d16_hi v165, v145 offset:720
	s_wait_dscnt 0x15
	ds_load_u16_d16_hi v164, v145 offset:240
	;; [unrolled: 2-line block ×7, first 2 shown]
	ds_load_u16 v183, v146 offset:160
	ds_load_u16 v167, v146
	ds_load_u16 v178, v145 offset:1088
	ds_load_u16 v182, v145 offset:1120
	s_wait_dscnt 0x12
	ds_load_u16_d16_hi v166, v145 offset:1200
	s_wait_dscnt 0x12
	ds_load_u16_d16_hi v169, v145 offset:784
	;; [unrolled: 2-line block ×6, first 2 shown]
	ds_load_u16_d16_hi v158, v145 offset:1232
	ds_load_u16_d16_hi v170, v145 offset:1264
	;; [unrolled: 1-line block ×3, first 2 shown]
	ds_load_u16 v162, v145 offset:1152
	v_add_f32_e32 v115, v163, v115
	s_wait_dscnt 0xc
	ds_load_u16_d16_hi v167, v147
	s_wait_dscnt 0xc
	ds_load_u16_d16_hi v178, v145 offset:1328
	s_wait_dscnt 0xc
	ds_load_u16_d16_hi v182, v145 offset:1360
	;; [unrolled: 2-line block ×3, first 2 shown]
	ds_load_u16_d16_hi v159, v147 offset:32
	ds_load_u16_d16_hi v171, v147 offset:64
	;; [unrolled: 1-line block ×5, first 2 shown]
	ds_load_u16 v163, v146 offset:192
	v_mul_u32_u24_e32 v126, 0x10001, v126
	v_add_f32_e32 v115, v184, v115
	s_delay_alu instid0(VALU_DEP_2)
	v_pk_mul_f16 v52, v52, v126
	v_pk_mul_f16 v53, v53, v126
	;; [unrolled: 1-line block ×14, first 2 shown]
	s_wait_dscnt 0x0
	ds_load_u16_d16_hi v163, v147 offset:192
	v_pk_mul_f16 v42, v42, v126
	v_pk_mul_f16 v43, v43, v126
	;; [unrolled: 1-line block ×14, first 2 shown]
	v_add_f32_e32 v126, v185, v115
	v_wmma_f16_16x16x16_f16 v[52:55], v[164:167], v[152:155], v[52:55]
	v_wmma_f16_16x16x16_f16 v[48:51], v[156:159], v[152:155], v[48:51]
	;; [unrolled: 1-line block ×4, first 2 shown]
	v_fmac_f32_e32 v126, v117, v186
	v_wmma_f16_16x16x16_f16 v[36:39], v[176:179], v[152:155], v[36:39]
	v_wmma_f16_16x16x16_f16 v[32:35], v[180:183], v[152:155], v[32:35]
	s_wait_dscnt 0x0
	v_wmma_f16_16x16x16_f16 v[28:31], v[160:163], v[152:155], v[28:31]
	s_wait_loadcnt 0x0
	s_barrier_signal -1
	s_barrier_wait -1
	global_inv scope:SCOPE_SE
	s_wait_alu 0xfffe
	s_cbranch_vccnz .LBB19_490
; %bb.491:
	v_dual_mov_b32 v96, s37 :: v_dual_mov_b32 v95, s36
	v_dual_mov_b32 v98, s27 :: v_dual_mov_b32 v97, s26
	s_branch .LBB19_493
.LBB19_492:
	v_mov_b32_e32 v31, 0
	s_delay_alu instid0(VALU_DEP_1)
	v_dual_mov_b32 v135, 0xfeffffff :: v_dual_mov_b32 v30, v31
	v_dual_mov_b32 v29, v31 :: v_dual_mov_b32 v28, v31
	;; [unrolled: 1-line block ×14, first 2 shown]
.LBB19_493:
	s_lshl_b32 s0, s34, 5
	v_lshlrev_b64_e32 v[85:86], 1, v[85:86]
	s_wait_alu 0xfffe
	s_ashr_i32 s1, s0, 31
	v_mul_lo_u32 v98, s0, v98
	s_wait_alu 0xfffe
	v_mul_lo_u32 v115, s1, v97
	v_mul_hi_u32 v137, s0, v97
	s_lshl_b64 s[2:3], s[0:1], 1
	v_mul_lo_u32 v97, s0, v97
	s_wait_alu 0xfffe
	s_add_nc_u64 s[2:3], s[14:15], s[2:3]
	v_lshlrev_b64_e32 v[87:88], 1, v[87:88]
	s_wait_alu 0xfffe
	v_add_co_u32 v117, s2, s2, v134
	v_add_nc_u32_e32 v98, v98, v115
	s_wait_alu 0xf1ff
	v_add_co_ci_u32_e64 v136, null, s3, 0, s2
	s_delay_alu instid0(VALU_DEP_3) | instskip(NEXT) | instid1(VALU_DEP_3)
	v_add_co_u32 v85, vcc_lo, v117, v85
	v_add_nc_u32_e32 v98, v98, v137
	s_wait_alu 0xfffd
	s_delay_alu instid0(VALU_DEP_3) | instskip(SKIP_1) | instid1(VALU_DEP_3)
	v_add_co_ci_u32_e64 v86, null, v136, v86, vcc_lo
	v_add_co_u32 v87, vcc_lo, v117, v87
	v_lshlrev_b64_e32 v[97:98], 2, v[97:98]
	s_wait_alu 0xfffd
	v_add_co_ci_u32_e64 v88, null, v136, v88, vcc_lo
	v_lshlrev_b64_e32 v[79:80], 2, v[79:80]
	s_clause 0x1
	global_load_b32 v115, v[85:86], off
	global_load_b32 v117, v[87:88], off
	v_add_co_u32 v87, vcc_lo, s12, v97
	s_wait_alu 0xfffd
	v_add_co_ci_u32_e64 v138, null, s13, v98, vcc_lo
	v_lshlrev_b64_e32 v[97:98], 2, v[56:57]
	s_delay_alu instid0(VALU_DEP_3) | instskip(SKIP_3) | instid1(VALU_DEP_3)
	v_add_co_u32 v57, vcc_lo, v87, v79
	v_lshlrev_b64_e32 v[77:78], 2, v[77:78]
	s_wait_alu 0xfffd
	v_add_co_ci_u32_e64 v80, null, v138, v80, vcc_lo
	v_add_co_u32 v79, vcc_lo, v57, v97
	v_lshlrev_b64_e32 v[148:149], 2, v[73:74]
	s_wait_alu 0xfffd
	s_delay_alu instid0(VALU_DEP_3) | instskip(SKIP_4) | instid1(VALU_DEP_3)
	v_add_co_ci_u32_e64 v80, null, v80, v98, vcc_lo
	v_add_co_u32 v57, vcc_lo, v87, v77
	s_wait_alu 0xfffd
	v_add_co_ci_u32_e64 v74, null, v138, v78, vcc_lo
	v_lshlrev_b64_e32 v[77:78], 2, v[83:84]
	v_add_co_u32 v83, vcc_lo, v57, v148
	s_wait_alu 0xfffd
	s_delay_alu instid0(VALU_DEP_3) | instskip(SKIP_1) | instid1(VALU_DEP_4)
	v_add_co_ci_u32_e64 v84, null, v74, v149, vcc_lo
	v_lshlrev_b64_e32 v[150:151], 2, v[75:76]
	v_add_co_u32 v57, vcc_lo, v87, v77
	s_wait_alu 0xfffd
	v_add_co_ci_u32_e64 v74, null, v138, v78, vcc_lo
	v_lshlrev_b64_e32 v[77:78], 2, v[81:82]
	s_delay_alu instid0(VALU_DEP_3) | instskip(SKIP_1) | instid1(VALU_DEP_3)
	v_add_co_u32 v85, vcc_lo, v57, v148
	s_wait_alu 0xfffd
	v_add_co_ci_u32_e64 v86, null, v74, v149, vcc_lo
	v_lshlrev_b64_e32 v[81:82], 2, v[93:94]
	s_delay_alu instid0(VALU_DEP_4) | instskip(SKIP_3) | instid1(VALU_DEP_3)
	v_add_co_u32 v57, vcc_lo, v87, v77
	v_lshlrev_b64_e32 v[76:77], 2, v[89:90]
	s_wait_alu 0xfffd
	v_add_co_ci_u32_e64 v74, null, v138, v78, vcc_lo
	v_add_co_u32 v88, vcc_lo, v57, v150
	v_mul_lo_u32 v94, s1, v95
	s_wait_alu 0xfffd
	s_delay_alu instid0(VALU_DEP_3) | instskip(SKIP_4) | instid1(VALU_DEP_3)
	v_add_co_ci_u32_e64 v89, null, v74, v151, vcc_lo
	v_add_co_u32 v57, vcc_lo, v87, v76
	s_wait_alu 0xfffd
	v_add_co_ci_u32_e64 v74, null, v138, v77, vcc_lo
	v_lshlrev_b64_e32 v[76:77], 2, v[91:92]
	v_add_co_u32 v136, vcc_lo, v57, v150
	s_wait_alu 0xfffd
	s_delay_alu instid0(VALU_DEP_3) | instskip(SKIP_1) | instid1(VALU_DEP_4)
	v_add_co_ci_u32_e64 v137, null, v74, v151, vcc_lo
	v_lshlrev_b64_e32 v[61:62], 2, v[61:62]
	v_add_co_u32 v57, vcc_lo, v87, v76
	s_wait_alu 0xfffd
	v_add_co_ci_u32_e64 v74, null, v138, v77, vcc_lo
	v_add_co_u32 v76, vcc_lo, v87, v81
	s_wait_alu 0xfffd
	v_add_co_ci_u32_e64 v77, null, v138, v82, vcc_lo
	;; [unrolled: 3-line block ×4, first 2 shown]
	s_clause 0x6
	global_load_b128 v[76:79], v[79:80], off
	global_load_b128 v[80:83], v[83:84], off
	;; [unrolled: 1-line block ×7, first 2 shown]
	v_mul_lo_u32 v93, s0, v96
	v_mul_hi_u32 v96, s0, v95
	v_lshlrev_b32_e32 v92, 2, v56
	v_lshlrev_b64_e32 v[56:57], 2, v[65:66]
	v_lshlrev_b64_e32 v[65:66], 2, v[67:68]
	;; [unrolled: 1-line block ×3, first 2 shown]
	v_mul_lo_u32 v69, s0, v95
	v_lshlrev_b32_e32 v73, 2, v73
	v_add_nc_u32_e32 v93, v93, v94
	v_lshlrev_b32_e32 v75, 2, v75
	v_lshlrev_b64_e32 v[58:59], 2, v[58:59]
	v_lshlrev_b64_e32 v[63:64], 2, v[63:64]
	v_add3_u32 v156, 0, v113, v73
	v_add_nc_u32_e32 v70, v93, v96
	v_add3_u32 v157, 0, v119, v73
	v_add3_u32 v158, 0, v120, v75
	;; [unrolled: 1-line block ×4, first 2 shown]
	v_lshlrev_b64_e32 v[69:70], 2, v[69:70]
	v_add3_u32 v129, 0, v129, v75
	v_lshlrev_b64_e32 v[71:72], 2, v[71:72]
	v_add_nc_u32_e32 v74, 0, v134
	v_add_nc_u32_e32 v133, 0, v133
	v_add3_u32 v134, 0, v114, v92
	v_add_co_u32 v69, vcc_lo, s10, v69
	s_wait_alu 0xfffd
	v_add_co_ci_u32_e64 v70, null, s11, v70, vcc_lo
	v_add_nc_u32_e32 v94, v74, v110
	s_delay_alu instid0(VALU_DEP_3) | instskip(SKIP_1) | instid1(VALU_DEP_3)
	v_add_co_u32 v56, vcc_lo, v69, v56
	s_wait_alu 0xfffd
	v_add_co_ci_u32_e64 v57, null, v70, v57, vcc_lo
	v_add_co_u32 v73, vcc_lo, v69, v61
	s_wait_alu 0xfffd
	v_add_co_ci_u32_e64 v75, null, v70, v62, vcc_lo
	;; [unrolled: 3-line block ×11, first 2 shown]
	v_add_co_u32 v97, vcc_lo, v93, v150
	v_add3_u32 v92, v133, v109, v107
	v_add_nc_u32_e32 v74, v74, v112
	s_wait_alu 0xfffd
	v_add_co_ci_u32_e64 v98, null, v95, v151, vcc_lo
	v_add_co_u32 v109, vcc_lo, v96, v150
	s_wait_alu 0xfffd
	v_add_co_ci_u32_e64 v110, null, v110, v151, vcc_lo
	v_add_co_u32 v119, vcc_lo, v69, v150
	s_wait_alu 0xfffd
	v_add_co_ci_u32_e64 v120, null, v70, v151, vcc_lo
	v_cmp_lt_i32_e32 vcc_lo, v124, v111
	s_wait_loadcnt 0x8
	ds_store_b32 v94, v115 offset:7680
	s_wait_loadcnt 0x7
	ds_store_b32 v74, v117 offset:7680
	s_wait_loadcnt 0x6
	ds_store_b128 v134, v[76:79]
	s_wait_loadcnt 0x5
	ds_store_b128 v156, v[80:83]
	;; [unrolled: 2-line block ×7, first 2 shown]
	s_wait_dscnt 0x0
	s_barrier_signal -1
	s_barrier_wait -1
	global_inv scope:SCOPE_SE
	ds_load_b128 v[56:59], v92
	ds_load_b128 v[69:72], v92 offset:32
	ds_load_b128 v[73:76], v92 offset:64
	;; [unrolled: 1-line block ×6, first 2 shown]
	s_wait_loadcnt_dscnt 0x0
	s_barrier_signal -1
	s_barrier_wait -1
	global_inv scope:SCOPE_SE
	s_clause 0x6
	global_load_b128 v[93:96], v[61:62], off
	global_load_b128 v[112:115], v[63:64], off
	;; [unrolled: 1-line block ×7, first 2 shown]
	v_lshlrev_b32_e32 v61, 2, v127
	s_delay_alu instid0(VALU_DEP_1) | instskip(SKIP_1) | instid1(VALU_DEP_2)
	v_add3_u32 v97, 0, v128, v61
	v_wmma_f32_16x16x16_f16 v[61:68], v[56:59], v[24:27], 0
	v_add_nc_u32_e32 v98, 0x1e00, v97
	v_add_nc_u32_e32 v26, 0x1e08, v97
	s_delay_alu instid0(VALU_DEP_3)
	v_wmma_f32_16x16x16_f16 v[61:68], v[69:72], v[20:23], v[61:68]
	ds_load_2addr_b32 v[24:25], v98 offset1:1
	ds_load_2addr_b32 v[20:21], v26 offset1:1
	s_wait_loadcnt 0x6
	ds_store_b128 v134, v[93:96]
	s_wait_loadcnt 0x5
	ds_store_b128 v156, v[112:115]
	;; [unrolled: 2-line block ×7, first 2 shown]
	v_wmma_f32_16x16x16_f16 v[61:68], v[73:76], v[8:11], v[61:68]
	s_wait_dscnt 0x8
	v_lshrrev_b32_e32 v9, 16, v24
	v_cvt_f32_f16_e32 v8, v24
	v_cvt_f32_f16_e32 v10, v25
	s_wait_dscnt 0x0
	v_wmma_f32_16x16x16_f16 v[61:68], v[77:80], v[12:15], v[61:68]
	s_barrier_signal -1
	s_barrier_wait -1
	global_inv scope:SCOPE_SE
	v_wmma_f32_16x16x16_f16 v[61:68], v[81:84], v[16:19], v[61:68]
	s_delay_alu instid0(VALU_DEP_1)
	v_wmma_f32_16x16x16_f16 v[61:68], v[85:88], v[4:7], v[61:68]
	v_lshrrev_b32_e32 v4, 16, v25
	v_lshrrev_b32_e32 v6, 16, v20
	v_cvt_f32_f16_e32 v5, v20
	v_cvt_f32_f16_e32 v7, v21
	v_wmma_f32_16x16x16_f16 v[61:68], v[89:92], v[0:3], v[61:68]
	v_cvt_f32_f16_e32 v0, v9
	v_cvt_f32_f16_e32 v2, v4
	v_lshrrev_b32_e32 v1, 16, v21
	v_cvt_f32_f16_e32 v3, v6
	v_add_f32_e32 v4, v61, v8
	v_add_f32_e32 v0, v62, v0
	;; [unrolled: 1-line block ×4, first 2 shown]
	v_cvt_f32_f16_e32 v1, v1
	v_add_f32_e32 v8, 0x40051340, v4
	v_add_f32_e32 v9, 0x40051340, v0
	;; [unrolled: 1-line block ×5, first 2 shown]
	v_dual_add_f32 v7, v67, v7 :: v_dual_add_f32 v10, 0x40051340, v6
	v_max3_num_f32 v8, v135, v8, v9
	v_add_f32_e32 v1, v68, v1
	v_dual_add_f32 v9, 0x40051340, v5 :: v_dual_add_f32 v12, 0x40051340, v3
	v_add3_u32 v59, v133, v132, v121
	s_delay_alu instid0(VALU_DEP_4)
	v_max3_num_f32 v8, v8, v10, v11
	s_wait_alu 0xfffd
	v_dual_cndmask_b32 v10, v123, v124 :: v_dual_add_f32 v11, 0x40051340, v7
	v_add_f32_e32 v13, 0x40051340, v1
	v_add3_u32 v63, v133, v130, v121
	v_max3_num_f32 v8, v8, v9, v12
	v_add3_u32 v64, v133, v131, v121
	s_delay_alu instid0(VALU_DEP_2) | instskip(SKIP_4) | instid1(VALU_DEP_1)
	v_max3_num_f32 v8, v8, v11, v13
	v_lshlrev_b32_e32 v61, 2, v10
	ds_bpermute_b32 v9, v61, v8
	s_wait_dscnt 0x0
	v_max_num_f32_e32 v9, v9, v9
	v_max_num_f32_e32 v62, v8, v9
	s_delay_alu instid0(VALU_DEP_1)
	v_sub_f32_e32 v9, v4, v62
	v_sub_f32_e32 v11, v5, v62
	;; [unrolled: 1-line block ×5, first 2 shown]
	v_cmp_ngt_f32_e32 vcc_lo, 0xc2ce8ed0, v9
	v_mul_f32_e32 v8, 0x3fb8aa3b, v11
	v_sub_f32_e32 v10, v0, v62
	s_delay_alu instid0(VALU_DEP_4) | instskip(SKIP_1) | instid1(VALU_DEP_3)
	v_dual_mul_f32 v0, 0x3fb8aa3b, v9 :: v_dual_mul_f32 v13, 0x3fb8aa3b, v7
	v_dual_sub_f32 v15, v1, v62 :: v_dual_mul_f32 v12, 0x3fb8aa3b, v3
	v_mul_f32_e32 v1, 0x3fb8aa3b, v10
	s_delay_alu instid0(VALU_DEP_3)
	v_rndne_f32_e32 v19, v0
	v_mul_f32_e32 v5, 0x3fb8aa3b, v2
	v_fma_f32 v18, 0x3fb8aa3b, v9, -v0
	v_rndne_f32_e32 v65, v13
	v_sub_f32_e32 v14, v135, v62
	v_sub_f32_e32 v0, v0, v19
	v_fma_f32 v24, 0x3fb8aa3b, v2, -v5
	v_rndne_f32_e32 v25, v5
	v_mul_f32_e32 v16, 0x3fb8aa3b, v15
	v_fma_f32 v20, 0x3fb8aa3b, v10, -v1
	v_rndne_f32_e32 v21, v1
	v_sub_f32_e32 v6, v6, v62
	v_fma_f32 v58, 0x3fb8aa3b, v7, -v13
	v_dual_sub_f32 v5, v5, v25 :: v_dual_fmac_f32 v24, 0x32a5705f, v2
	v_sub_f32_e32 v13, v13, v65
	v_mul_f32_e32 v17, 0x3fb8aa3b, v14
	v_dual_fmac_f32 v20, 0x32a5705f, v10 :: v_dual_sub_f32 v1, v1, v21
	s_delay_alu instid0(VALU_DEP_4) | instskip(NEXT) | instid1(VALU_DEP_3)
	v_dual_add_f32 v5, v5, v24 :: v_dual_fmac_f32 v18, 0x32a5705f, v9
	v_fma_f32 v68, 0x3fb8aa3b, v14, -v17
	v_rndne_f32_e32 v69, v17
	s_delay_alu instid0(VALU_DEP_4) | instskip(NEXT) | instid1(VALU_DEP_4)
	v_dual_mul_f32 v4, 0x3fb8aa3b, v6 :: v_dual_add_f32 v1, v1, v20
	v_add_f32_e32 v0, v0, v18
	s_delay_alu instid0(VALU_DEP_3) | instskip(NEXT) | instid1(VALU_DEP_3)
	v_dual_fmac_f32 v68, 0x32a5705f, v14 :: v_dual_sub_f32 v17, v17, v69
	v_fma_f32 v22, 0x3fb8aa3b, v6, -v4
	v_rndne_f32_e32 v23, v4
	s_delay_alu instid0(VALU_DEP_4) | instskip(SKIP_1) | instid1(VALU_DEP_3)
	v_exp_f32_e32 v0, v0
	v_cvt_i32_f32_e32 v19, v19
	v_dual_add_f32 v17, v17, v68 :: v_dual_fmac_f32 v22, 0x32a5705f, v6
	v_fma_f32 v66, 0x3fb8aa3b, v15, -v16
	v_rndne_f32_e32 v67, v16
	v_sub_f32_e32 v4, v4, v23
	s_delay_alu instid0(VALU_DEP_4) | instskip(SKIP_2) | instid1(TRANS32_DEP_3)
	v_exp_f32_e32 v17, v17
	v_cvt_i32_f32_e32 v18, v69
	v_exp_f32_e32 v1, v1
	v_ldexp_f32 v0, v0, v19
	v_add_f32_e32 v4, v4, v22
	v_cvt_i32_f32_e32 v21, v21
	v_cvt_i32_f32_e32 v23, v23
	v_exp_f32_e32 v5, v5
	v_rndne_f32_e32 v27, v8
	v_exp_f32_e32 v4, v4
	v_ldexp_f32 v17, v17, v18
	v_fmac_f32_e32 v66, 0x32a5705f, v15
	s_wait_alu 0xfffd
	v_cndmask_b32_e32 v18, 0, v0, vcc_lo
	v_sub_f32_e32 v16, v16, v67
	v_ldexp_f32 v1, v1, v21
	v_cmp_ngt_f32_e32 vcc_lo, 0xc2ce8ed0, v10
	v_fma_f32 v56, 0x3fb8aa3b, v3, -v12
	v_rndne_f32_e32 v57, v12
	v_add_f32_e32 v16, v16, v66
	v_cvt_i32_f32_e32 v25, v25
	v_cvt_i32_f32_e32 v67, v67
	v_ldexp_f32 v4, v4, v23
	s_wait_alu 0xfffd
	v_cndmask_b32_e32 v1, 0, v1, vcc_lo
	v_exp_f32_e32 v16, v16
	v_cmp_ngt_f32_e32 vcc_lo, 0xc2ce8ed0, v6
	v_fma_f32 v26, 0x3fb8aa3b, v11, -v8
	v_sub_f32_e32 v8, v8, v27
	v_ldexp_f32 v5, v5, v25
	v_cvt_i32_f32_e32 v27, v27
	s_wait_alu 0xfffd
	v_cndmask_b32_e32 v19, 0, v4, vcc_lo
	v_cmp_ngt_f32_e32 vcc_lo, 0xc2ce8ed0, v2
	v_fmac_f32_e32 v56, 0x32a5705f, v3
	v_cvt_i32_f32_e32 v65, v65
	v_ldexp_f32 v16, v16, v67
	v_sub_f32_e32 v12, v12, v57
	s_wait_alu 0xfffd
	v_cndmask_b32_e32 v21, 0, v5, vcc_lo
	v_cvt_i32_f32_e32 v57, v57
	v_cmp_ngt_f32_e32 vcc_lo, 0xc2ce8ed0, v11
	v_add_f32_e32 v12, v12, v56
	s_delay_alu instid0(VALU_DEP_1) | instskip(NEXT) | instid1(TRANS32_DEP_1)
	v_exp_f32_e32 v12, v12
	v_ldexp_f32 v12, v12, v57
	v_fmac_f32_e32 v58, 0x32a5705f, v7
	s_delay_alu instid0(VALU_DEP_1) | instskip(NEXT) | instid1(VALU_DEP_1)
	v_dual_fmac_f32 v26, 0x32a5705f, v11 :: v_dual_add_f32 v13, v13, v58
	v_add_f32_e32 v8, v8, v26
	s_delay_alu instid0(VALU_DEP_2) | instskip(NEXT) | instid1(VALU_DEP_1)
	v_exp_f32_e32 v13, v13
	v_exp_f32_e32 v8, v8
	s_delay_alu instid0(TRANS32_DEP_2) | instskip(NEXT) | instid1(TRANS32_DEP_1)
	v_ldexp_f32 v13, v13, v65
	v_ldexp_f32 v8, v8, v27
	s_wait_alu 0xfffd
	s_delay_alu instid0(VALU_DEP_1)
	v_cndmask_b32_e32 v22, 0, v8, vcc_lo
	v_cmp_ngt_f32_e32 vcc_lo, 0xc2ce8ed0, v3
	s_wait_alu 0xfffd
	v_cndmask_b32_e32 v23, 0, v12, vcc_lo
	v_cmp_ngt_f32_e32 vcc_lo, 0xc2ce8ed0, v7
	s_wait_alu 0xfffd
	;; [unrolled: 3-line block ×3, first 2 shown]
	v_cndmask_b32_e32 v25, 0, v16, vcc_lo
	v_cmp_ngt_f32_e32 vcc_lo, 0xc2ce8ed0, v14
	ds_load_u16 v4, v59
	ds_load_u16 v0, v59 offset:32
	ds_load_u16 v5, v59 offset:480
	;; [unrolled: 1-line block ×7, first 2 shown]
	s_wait_alu 0xfffd
	v_cndmask_b32_e32 v13, 0, v17, vcc_lo
	v_cmp_nlt_f32_e32 vcc_lo, 0x42b17218, v9
	s_wait_alu 0xfffd
	v_cndmask_b32_e32 v65, 0x7f800000, v18, vcc_lo
	v_cmp_nlt_f32_e32 vcc_lo, 0x42b17218, v10
	;; [unrolled: 3-line block ×3, first 2 shown]
	ds_load_u16 v1, v59 offset:512
	s_wait_alu 0xfffd
	v_dual_add_f32 v10, v65, v66 :: v_dual_cndmask_b32 v67, 0x7f800000, v19
	v_cmp_nlt_f32_e32 vcc_lo, 0x42b17218, v2
	v_cvt_f16_f32_e32 v65, v65
	s_wait_alu 0xfffd
	v_cndmask_b32_e32 v68, 0x7f800000, v21, vcc_lo
	v_cmp_nlt_f32_e32 vcc_lo, 0x42b17218, v11
	s_wait_alu 0xfffd
	v_cndmask_b32_e32 v69, 0x7f800000, v22, vcc_lo
	v_cmp_nlt_f32_e32 vcc_lo, 0x42b17218, v14
	;; [unrolled: 3-line block ×3, first 2 shown]
	s_wait_dscnt 0x8
	ds_load_u16_d16_hi v4, v59 offset:240
	s_wait_dscnt 0x8
	ds_load_u16_d16_hi v0, v59 offset:272
	;; [unrolled: 2-line block ×7, first 2 shown]
	ds_load_u16 v6, v59 offset:960
	ds_load_u16 v9, v59 offset:544
	;; [unrolled: 1-line block ×5, first 2 shown]
	ds_load_u16_d16_hi v5, v59 offset:720
	s_wait_dscnt 0xd
	ds_load_u16_d16_hi v1, v59 offset:752
	ds_load_u16 v57, v59 offset:672
	s_wait_alu 0xfffd
	v_dual_add_f32 v3, v67, v10 :: v_dual_cndmask_b32 v70, 0x7f800000, v23
	v_cmp_le_f32_e32 vcc_lo, 0xc1a00000, v14
	s_delay_alu instid0(VALU_DEP_2)
	v_add_f32_e32 v3, v68, v3
	s_wait_alu 0xfffd
	v_cndmask_b32_e32 v71, 0, v2, vcc_lo
	ds_load_u16 v2, v59 offset:992
	ds_load_u16 v10, v59 offset:1024
	;; [unrolled: 1-line block ×3, first 2 shown]
	v_cmp_nlt_f32_e32 vcc_lo, 0x42b17218, v7
	s_wait_dscnt 0x9
	ds_load_u16_d16_hi v9, v59 offset:784
	s_wait_dscnt 0x9
	ds_load_u16_d16_hi v13, v59 offset:816
	;; [unrolled: 2-line block ×5, first 2 shown]
	ds_load_u16 v7, v63
	ds_load_u16 v18, v59 offset:1088
	ds_load_u16 v22, v59 offset:1120
	ds_load_u16_d16_hi v6, v59 offset:1200
	s_wait_dscnt 0xb
	ds_load_u16_d16_hi v2, v59 offset:1232
	s_wait_dscnt 0xb
	ds_load_u16_d16_hi v10, v59 offset:1264
	s_wait_dscnt 0xb
	ds_load_u16_d16_hi v14, v59 offset:1296
	ds_load_u16 v58, v59 offset:1152
	v_cvt_f16_f32_e32 v11, v71
	s_wait_alu 0xfffd
	v_cndmask_b32_e32 v72, 0x7f800000, v24, vcc_lo
	v_cmp_nlt_f32_e32 vcc_lo, 0x42b17218, v15
	v_add_f32_e32 v24, v69, v3
	v_and_b32_e32 v11, 0xffff, v11
	s_wait_alu 0xfffd
	v_cndmask_b32_e32 v73, 0x7f800000, v25, vcc_lo
	s_delay_alu instid0(VALU_DEP_3)
	v_add_f32_e32 v75, v70, v24
	v_cmp_gt_u32_e32 vcc_lo, 16, v60
	v_mul_u32_u24_e32 v74, 0x10001, v11
	ds_load_u16 v3, v63 offset:32
	ds_load_u16 v11, v63 offset:64
	;; [unrolled: 1-line block ×5, first 2 shown]
	s_wait_dscnt 0xb
	ds_load_u16_d16_hi v18, v59 offset:1328
	s_wait_dscnt 0xb
	ds_load_u16_d16_hi v22, v59 offset:1360
	;; [unrolled: 2-line block ×3, first 2 shown]
	ds_load_u16_d16_hi v7, v64
	s_wait_dscnt 0x8
	ds_load_u16_d16_hi v3, v64 offset:32
	s_wait_dscnt 0x8
	ds_load_u16_d16_hi v11, v64 offset:64
	;; [unrolled: 2-line block ×5, first 2 shown]
	ds_load_u16 v59, v63 offset:192
	v_pk_mul_f16 v24, v52, v74
	v_add_f32_e32 v52, v72, v75
	v_pk_mul_f16 v25, v53, v74
	v_pk_mul_f16 v26, v54, v74
	;; [unrolled: 1-line block ×3, first 2 shown]
	v_cvt_f16_f32_e32 v53, v68
	v_add_f32_e32 v63, v73, v52
	v_cvt_f16_f32_e32 v52, v67
	v_cvt_f16_f32_e32 v54, v69
	;; [unrolled: 1-line block ×4, first 2 shown]
	v_fmac_f32_e32 v63, v126, v71
	v_cvt_f16_f32_e32 v68, v70
	v_cvt_f16_f32_e32 v66, v66
	v_pk_mul_f16 v48, v48, v74
	v_pk_mul_f16 v49, v49, v74
	;; [unrolled: 1-line block ×5, first 2 shown]
	s_wait_dscnt 0x0
	ds_load_u16_d16_hi v59, v64 offset:192
	ds_bpermute_b32 v64, v61, v63
	v_pk_mul_f16 v45, v45, v74
	v_pk_mul_f16 v46, v46, v74
	;; [unrolled: 1-line block ×19, first 2 shown]
	v_perm_b32 v55, v67, v55, 0x5040100
	v_perm_b32 v54, v68, v54, 0x5040100
	;; [unrolled: 1-line block ×4, first 2 shown]
	s_wait_loadcnt_dscnt 0x0
	s_barrier_signal -1
	s_barrier_wait -1
	global_inv scope:SCOPE_SE
	s_and_saveexec_b32 s0, vcc_lo
	s_cbranch_execz .LBB19_495
; %bb.494:
	v_or_b32_e32 v65, v108, v60
	v_add_f32_e32 v63, v63, v64
	s_delay_alu instid0(VALU_DEP_2)
	v_mad_i32_i24 v64, 0xf0, v65, 0
	ds_store_2addr_b32 v64, v62, v63 offset0:56 offset1:57
.LBB19_495:
	s_wait_alu 0xfffe
	s_or_b32 exec_lo, exec_lo, s0
	v_cmp_eq_u32_e64 s0, 0, v118
	v_cmp_ne_u32_e64 s1, 0, v118
	s_wait_loadcnt_dscnt 0x0
	s_barrier_signal -1
	s_barrier_wait -1
	global_inv scope:SCOPE_SE
	s_and_saveexec_b32 s2, s1
	s_wait_alu 0xfffe
	s_xor_b32 s1, exec_lo, s2
	s_cbranch_execz .LBB19_497
; %bb.496:
	s_wait_loadcnt 0x0
	s_barrier_signal -1
	s_barrier_wait -1
	global_inv scope:SCOPE_SE
                                        ; implicit-def: $vgpr61
                                        ; implicit-def: $vgpr221
.LBB19_497:
	s_wait_alu 0xfffe
	s_or_saveexec_b32 s4, s1
	v_wmma_f16_16x16x16_f16 v[24:27], v[4:7], v[52:55], v[24:27]
	v_wmma_f16_16x16x16_f16 v[48:51], v[0:3], v[52:55], v[48:51]
	;; [unrolled: 1-line block ×7, first 2 shown]
	s_wait_alu 0xfffe
	s_xor_b32 exec_lo, exec_lo, s4
	s_cbranch_execz .LBB19_501
; %bb.498:
	v_add_nc_u32_e32 v0, v108, v60
	s_mov_b32 s3, 0
	s_delay_alu instid0(VALU_DEP_1)
	v_mad_i32_i24 v4, 0xf0, v0, 0
	ds_load_b64 v[2:3], v4 offset:224
	s_wait_loadcnt_dscnt 0x0
	s_barrier_signal -1
	s_barrier_wait -1
	global_inv scope:SCOPE_SE
	ds_bpermute_b32 v0, v61, v2
	s_wait_dscnt 0x0
	v_dual_max_num_f32 v1, v2, v2 :: v_dual_max_num_f32 v0, v0, v0
	s_delay_alu instid0(VALU_DEP_1) | instskip(NEXT) | instid1(VALU_DEP_1)
	v_max_num_f32_e32 v0, v1, v0
	v_sub_f32_e32 v1, v2, v0
	s_delay_alu instid0(VALU_DEP_1) | instskip(SKIP_1) | instid1(VALU_DEP_2)
	v_mul_f32_e32 v2, 0x3fb8aa3b, v1
	v_cmp_ngt_f32_e64 s1, 0xc2ce8ed0, v1
	v_fma_f32 v5, 0x3fb8aa3b, v1, -v2
	v_rndne_f32_e32 v6, v2
	s_delay_alu instid0(VALU_DEP_1) | instskip(NEXT) | instid1(VALU_DEP_1)
	v_dual_fmamk_f32 v5, v1, 0x32a5705f, v5 :: v_dual_sub_f32 v2, v2, v6
	v_add_f32_e32 v2, v2, v5
	v_cvt_i32_f32_e32 v5, v6
	s_delay_alu instid0(VALU_DEP_2) | instskip(NEXT) | instid1(TRANS32_DEP_1)
	v_exp_f32_e32 v2, v2
	v_ldexp_f32 v2, v2, v5
	s_wait_alu 0xf1ff
	s_delay_alu instid0(VALU_DEP_1) | instskip(SKIP_2) | instid1(VALU_DEP_1)
	v_cndmask_b32_e64 v2, 0, v2, s1
	v_cmp_nlt_f32_e64 s1, 0x42b17218, v1
	s_wait_alu 0xf1ff
	v_cndmask_b32_e64 v1, 0x7f800000, v2, s1
	s_delay_alu instid0(VALU_DEP_1)
	v_mul_f32_e32 v2, v3, v1
	ds_bpermute_b32 v2, v61, v2
	s_wait_dscnt 0x0
	v_fmac_f32_e32 v2, v3, v1
	ds_store_b64 v4, v[1:2] offset:224
	s_and_saveexec_b32 s1, vcc_lo
	s_cbranch_execz .LBB19_500
; %bb.499:
	v_or_b32_e32 v1, v221, v60
	s_add_co_i32 s2, s42, ttmp9
	s_wait_alu 0xfffe
	s_lshl_b32 s2, s2, 4
	s_wait_alu 0xfffe
	s_lshl_b64 s[2:3], s[2:3], 3
	v_lshlrev_b32_e32 v3, 3, v1
	v_mov_b32_e32 v1, v2
	s_wait_alu 0xfffe
	s_add_nc_u64 s[2:3], s[22:23], s[2:3]
	global_store_b64 v3, v[0:1], s[2:3]
.LBB19_500:
	s_wait_alu 0xfffe
	s_or_b32 exec_lo, exec_lo, s1
.LBB19_501:
	s_delay_alu instid0(SALU_CYCLE_1) | instskip(SKIP_2) | instid1(VALU_DEP_1)
	s_or_b32 exec_lo, exec_lo, s4
	v_or_b32_e32 v0, v108, v105
	s_mov_b32 s1, 0
	v_mul_i32_i24_e32 v0, 0xf0, v0
	s_delay_alu instid0(VALU_DEP_1)
	v_add3_u32 v0, 0, v0, v107
	ds_store_2addr_b32 v0, v24, v25 offset1:1
	ds_store_2addr_b32 v0, v26, v27 offset0:2 offset1:3
	ds_store_2addr_b32 v0, v48, v49 offset0:8 offset1:9
	ds_store_2addr_b32 v0, v50, v51 offset0:10 offset1:11
	ds_store_2addr_b32 v0, v44, v45 offset0:16 offset1:17
	ds_store_2addr_b32 v0, v46, v47 offset0:18 offset1:19
	ds_store_2addr_b32 v0, v40, v41 offset0:24 offset1:25
	ds_store_2addr_b32 v0, v42, v43 offset0:26 offset1:27
	ds_store_2addr_b32 v0, v36, v37 offset0:32 offset1:33
	ds_store_2addr_b32 v0, v38, v39 offset0:34 offset1:35
	ds_store_2addr_b32 v0, v32, v33 offset0:40 offset1:41
	ds_store_2addr_b32 v0, v34, v35 offset0:42 offset1:43
	ds_store_2addr_b32 v0, v28, v29 offset0:48 offset1:49
	ds_store_2addr_b32 v0, v30, v31 offset0:50 offset1:51
	s_wait_storecnt 0x0
	s_wait_loadcnt_dscnt 0x0
	s_barrier_signal -1
	s_barrier_wait -1
	global_inv scope:SCOPE_SE
	s_and_saveexec_b32 s2, s0
	s_cbranch_execz .LBB19_503
; %bb.502:
	v_bfe_u32 v0, v116, 1, 4
	v_add_nc_u32_e32 v1, 1, v100
	v_add_nc_u32_e32 v2, 2, v100
	v_add_nc_u32_e32 v4, 3, v100
	v_mul_u32_u24_e32 v16, 56, v100
	v_and_or_b32 v0, 0x3e0, v116, v0
	v_lshlrev_b32_e32 v3, 1, v1
	v_and_b32_e32 v1, 15, v1
	v_lshlrev_b32_e32 v6, 1, v2
	v_lshlrev_b32_e32 v8, 1, v4
	v_mad_u32_u24 v5, 0xf0, v0, 0
	v_mad_u32_u24 v0, 0xf0, v0, v99
	v_and_or_b32 v7, 0x7e0, v3, v1
	v_and_b32_e32 v1, 15, v2
	v_and_b32_e32 v11, 15, v4
	v_add_nc_u32_e32 v2, 0xe0, v5
	v_add_nc_u32_e32 v17, 4, v100
	v_mad_u32_u24 v5, 0xf0, v7, 0
	v_and_or_b32 v6, 0x7e0, v6, v1
	ds_load_2addr_stride64_b32 v[0:1], v0 offset1:15
	ds_load_2addr_stride64_b32 v[2:3], v2 offset1:15
	v_mad_u32_u24 v7, 0xf0, v7, v99
	v_and_or_b32 v13, 0x7e0, v8, v11
	v_add_nc_u32_e32 v9, 0xe0, v5
	v_mad_u32_u24 v10, 0xf0, v6, 0
	v_mad_u32_u24 v12, 0xf0, v6, v99
	ds_load_2addr_stride64_b32 v[4:5], v7 offset1:15
	ds_load_2addr_stride64_b32 v[6:7], v9 offset1:15
	v_add_lshl_u32 v24, v16, v60, 3
	v_add_nc_u32_e32 v10, 0xe0, v10
	ds_load_2addr_stride64_b32 v[8:9], v12 offset1:15
	ds_load_2addr_stride64_b32 v[10:11], v10 offset1:15
	v_and_b32_e32 v16, 15, v17
	v_mad_u32_u24 v12, 0xf0, v13, 0
	v_mad_u32_u24 v13, 0xf0, v13, v99
	v_add_nc_u32_e32 v19, 7, v100
	s_mul_i32 s0, ttmp9, 0x380
	v_add_nc_u32_e32 v25, 0x540, v24
	s_wait_dscnt 0x4
	v_fma_mix_f32 v18, v2, v0, 0 op_sel_hi:[0,1,0]
	v_fma_mix_f32 v2, v2, v0, 0 op_sel:[0,1,0] op_sel_hi:[0,1,0]
	v_add_nc_u32_e32 v14, 0xe0, v12
	ds_load_2addr_stride64_b32 v[12:13], v13 offset1:15
	ds_load_2addr_stride64_b32 v[14:15], v14 offset1:15
	v_fma_mix_f32 v0, v3, v1, v18 op_sel_hi:[0,1,0]
	v_fma_mix_f32 v1, v3, v1, v2 op_sel:[0,1,0] op_sel_hi:[0,1,0]
	v_lshlrev_b32_e32 v3, 1, v17
	s_wait_dscnt 0x4
	v_fma_mix_f32 v2, v6, v4, 0 op_sel_hi:[0,1,0]
	v_fma_mix_f32 v4, v6, v4, 0 op_sel:[0,1,0] op_sel_hi:[0,1,0]
	s_wait_alu 0xfffe
	s_lshl_b64 s[4:5], s[0:1], 3
	s_wait_dscnt 0x2
	v_fma_mix_f32 v6, v10, v8, 0 op_sel_hi:[0,1,0]
	v_fma_mix_f32 v8, v10, v8, 0 op_sel:[0,1,0] op_sel_hi:[0,1,0]
	v_and_or_b32 v10, 0x7e0, v3, v16
	v_add_nc_u32_e32 v16, 5, v100
	v_fma_mix_f32 v2, v7, v5, v2 op_sel_hi:[0,1,0]
	v_fma_mix_f32 v3, v7, v5, v4 op_sel:[0,1,0] op_sel_hi:[0,1,0]
	v_fma_mix_f32 v4, v11, v9, v6 op_sel_hi:[0,1,0]
	v_fma_mix_f32 v5, v11, v9, v8 op_sel:[0,1,0] op_sel_hi:[0,1,0]
	v_lshlrev_b32_e32 v7, 1, v16
	v_and_b32_e32 v8, 15, v16
	v_add_nc_u32_e32 v9, 6, v100
	v_mad_u32_u24 v6, 0xf0, v10, 0
	v_mad_u32_u24 v10, 0xf0, v10, v99
	s_wait_dscnt 0x0
	v_fma_mix_f32 v18, v14, v12, 0 op_sel_hi:[0,1,0]
	v_and_or_b32 v11, 0x7e0, v7, v8
	v_lshlrev_b32_e32 v16, 1, v9
	v_and_b32_e32 v17, 15, v9
	v_add_nc_u32_e32 v6, 0xe0, v6
	ds_load_2addr_stride64_b32 v[8:9], v10 offset1:15
	v_mad_u32_u24 v20, 0xf0, v11, 0
	v_lshlrev_b32_e32 v10, 1, v19
	v_and_or_b32 v21, 0x7e0, v16, v17
	v_and_b32_e32 v16, 15, v19
	v_mad_u32_u24 v19, 0xf0, v11, v99
	v_add_nc_u32_e32 v17, 0xe0, v20
	ds_load_2addr_stride64_b32 v[6:7], v6 offset1:15
	v_mad_u32_u24 v20, 0xf0, v21, 0
	v_fma_mix_f32 v14, v14, v12, 0 op_sel:[0,1,0] op_sel_hi:[0,1,0]
	v_and_or_b32 v22, 0x7e0, v10, v16
	ds_load_2addr_stride64_b32 v[10:11], v17 offset1:15
	ds_load_2addr_stride64_b32 v[16:17], v19 offset1:15
	v_fma_mix_f32 v12, v15, v13, v18 op_sel_hi:[0,1,0]
	v_add_nc_u32_e32 v19, 0xe0, v20
	v_mad_u32_u24 v20, 0xf0, v21, v99
	v_fma_mix_f32 v13, v15, v13, v14 op_sel:[0,1,0] op_sel_hi:[0,1,0]
	ds_load_2addr_stride64_b32 v[14:15], v19 offset1:15
	ds_load_2addr_stride64_b32 v[18:19], v20 offset1:15
	v_mad_u32_u24 v21, 0xf0, v22, 0
	s_lshl_b32 s0, s42, 5
	s_wait_alu 0xfffe
	s_add_nc_u64 s[4:5], s[22:23], s[4:5]
	s_lshl_b64 s[0:1], s[0:1], 3
	v_mad_u32_u24 v22, 0xf0, v22, v99
	v_add_nc_u32_e32 v20, 0xe0, v21
	s_wait_alu 0xfffe
	s_add_nc_u64 s[0:1], s[4:5], s[0:1]
	ds_load_2addr_stride64_b32 v[20:21], v20 offset1:15
	ds_load_2addr_stride64_b32 v[22:23], v22 offset1:15
	s_wait_dscnt 0x6
	v_fma_mix_f32 v26, v6, v8, 0 op_sel_hi:[0,1,0]
	v_fma_mix_f32 v6, v6, v8, 0 op_sel:[0,1,0] op_sel_hi:[0,1,0]
	v_add_nc_u32_e32 v8, 8, v100
	s_clause 0x3
	global_store_b64 v24, v[0:1], s[0:1]
	global_store_b64 v24, v[2:3], s[0:1] offset:448
	global_store_b64 v24, v[4:5], s[0:1] offset:896
	global_store_b64 v25, v[12:13], s[0:1]
	s_wait_dscnt 0x4
	v_fma_mix_f32 v5, v10, v16, 0 op_sel:[0,1,0] op_sel_hi:[0,1,0]
	v_fma_mix_f32 v0, v7, v9, v26 op_sel_hi:[0,1,0]
	v_fma_mix_f32 v1, v7, v9, v6 op_sel:[0,1,0] op_sel_hi:[0,1,0]
	v_lshlrev_b32_e32 v3, 1, v8
	v_and_b32_e32 v4, 15, v8
	s_wait_dscnt 0x2
	v_fma_mix_f32 v8, v14, v18, 0 op_sel:[0,1,0] op_sel_hi:[0,1,0]
	v_fma_mix_f32 v6, v14, v18, 0 op_sel_hi:[0,1,0]
	v_fma_mix_f32 v2, v10, v16, 0 op_sel_hi:[0,1,0]
	v_add_nc_u32_e32 v16, 10, v100
	v_and_or_b32 v7, 0x7e0, v3, v4
	v_fma_mix_f32 v3, v11, v17, v5 op_sel:[0,1,0] op_sel_hi:[0,1,0]
	v_fma_mix_f32 v5, v15, v19, v8 op_sel:[0,1,0] op_sel_hi:[0,1,0]
	v_add_nc_u32_e32 v8, 9, v100
	v_fma_mix_f32 v4, v15, v19, v6 op_sel_hi:[0,1,0]
	v_mad_u32_u24 v6, 0xf0, v7, 0
	v_add_nc_u32_e32 v12, 0x700, v24
	v_fma_mix_f32 v2, v11, v17, v2 op_sel_hi:[0,1,0]
	v_lshlrev_b32_e32 v14, 1, v8
	v_and_b32_e32 v15, 15, v8
	v_add_nc_u32_e32 v6, 0xe0, v6
	v_add_nc_u32_e32 v10, 0x8c0, v24
	v_mad_u32_u24 v9, 0xf0, v7, v99
	v_add_nc_u32_e32 v11, 0xa80, v24
	v_and_or_b32 v14, 0x7e0, v14, v15
	v_lshlrev_b32_e32 v15, 1, v16
	v_and_b32_e32 v16, 15, v16
	s_wait_dscnt 0x0
	v_fma_mix_f32 v13, v20, v22, 0 op_sel_hi:[0,1,0]
	ds_load_2addr_stride64_b32 v[6:7], v6 offset1:15
	ds_load_2addr_stride64_b32 v[8:9], v9 offset1:15
	s_clause 0x2
	global_store_b64 v12, v[0:1], s[0:1]
	global_store_b64 v10, v[2:3], s[0:1]
	;; [unrolled: 1-line block ×3, first 2 shown]
	v_mad_u32_u24 v2, 0xf0, v14, 0
	v_and_or_b32 v10, 0x7e0, v15, v16
	v_add_nc_u32_e32 v3, 11, v100
	v_fma_mix_f32 v17, v20, v22, 0 op_sel:[0,1,0] op_sel_hi:[0,1,0]
	v_fma_mix_f32 v0, v21, v23, v13 op_sel_hi:[0,1,0]
	v_add_nc_u32_e32 v2, 0xe0, v2
	v_mad_u32_u24 v11, 0xf0, v10, 0
	v_lshlrev_b32_e32 v12, 1, v3
	v_and_b32_e32 v13, 15, v3
	v_mad_u32_u24 v4, 0xf0, v14, v99
	v_fma_mix_f32 v1, v21, v23, v17 op_sel:[0,1,0] op_sel_hi:[0,1,0]
	ds_load_2addr_stride64_b32 v[2:3], v2 offset1:15
	ds_load_2addr_stride64_b32 v[4:5], v4 offset1:15
	v_add_nc_u32_e32 v11, 0xe0, v11
	v_and_or_b32 v16, 0x7e0, v12, v13
	v_add_nc_u32_e32 v17, 12, v100
	v_mad_u32_u24 v14, 0xf0, v10, v99
	v_add_nc_u32_e32 v15, 0xc40, v24
	ds_load_2addr_stride64_b32 v[10:11], v11 offset1:15
	ds_load_2addr_stride64_b32 v[12:13], v14 offset1:15
	v_mad_u32_u24 v14, 0xf0, v16, 0
	v_lshlrev_b32_e32 v19, 1, v17
	v_and_b32_e32 v17, 15, v17
	s_wait_dscnt 0x4
	v_fma_mix_f32 v18, v6, v8, 0 op_sel_hi:[0,1,0]
	global_store_b64 v15, v[0:1], s[0:1]
	v_fma_mix_f32 v1, v6, v8, 0 op_sel:[0,1,0] op_sel_hi:[0,1,0]
	v_add_nc_u32_e32 v6, 0xe0, v14
	v_and_or_b32 v14, 0x7e0, v19, v17
	v_mad_u32_u24 v8, 0xf0, v16, v99
	v_fma_mix_f32 v0, v7, v9, v18 op_sel_hi:[0,1,0]
	v_fma_mix_f32 v1, v7, v9, v1 op_sel:[0,1,0] op_sel_hi:[0,1,0]
	v_add_nc_u32_e32 v15, 0xe00, v24
	ds_load_2addr_stride64_b32 v[6:7], v6 offset1:15
	v_mad_u32_u24 v16, 0xf0, v14, 0
	ds_load_2addr_stride64_b32 v[8:9], v8 offset1:15
	s_wait_dscnt 0x4
	v_fma_mix_f32 v17, v2, v4, 0 op_sel_hi:[0,1,0]
	global_store_b64 v15, v[0:1], s[0:1]
	v_fma_mix_f32 v1, v2, v4, 0 op_sel:[0,1,0] op_sel_hi:[0,1,0]
	v_add_nc_u32_e32 v2, 0xe0, v16
	v_mad_u32_u24 v4, 0xf0, v14, v99
	v_fma_mix_f32 v0, v3, v5, v17 op_sel_hi:[0,1,0]
	s_wait_dscnt 0x2
	v_fma_mix_f32 v18, v10, v12, 0 op_sel_hi:[0,1,0]
	v_fma_mix_f32 v10, v10, v12, 0 op_sel:[0,1,0] op_sel_hi:[0,1,0]
	ds_load_2addr_stride64_b32 v[14:15], v2 offset1:15
	ds_load_2addr_stride64_b32 v[16:17], v4 offset1:15
	v_add_nc_u32_e32 v4, 13, v100
	v_fma_mix_f32 v1, v3, v5, v1 op_sel:[0,1,0] op_sel_hi:[0,1,0]
	v_add_nc_u32_e32 v5, 0xfc0, v24
	v_fma_mix_f32 v2, v11, v13, v18 op_sel_hi:[0,1,0]
	v_fma_mix_f32 v3, v11, v13, v10 op_sel:[0,1,0] op_sel_hi:[0,1,0]
	v_lshlrev_b32_e32 v10, 1, v4
	v_and_b32_e32 v4, 15, v4
	v_add_nc_u32_e32 v11, 0x1180, v24
	global_store_b64 v5, v[0:1], s[0:1]
	v_add_nc_u32_e32 v25, v106, v116
	s_wait_dscnt 0x2
	v_fma_mix_f32 v0, v6, v8, 0 op_sel_hi:[0,1,0]
	v_fma_mix_f32 v1, v6, v8, 0 op_sel:[0,1,0] op_sel_hi:[0,1,0]
	v_and_or_b32 v4, 0x7e0, v10, v4
	global_store_b64 v11, v[2:3], s[0:1]
	v_add_nc_u32_e32 v2, 14, v100
	v_fma_mix_f32 v0, v7, v9, v0 op_sel_hi:[0,1,0]
	v_fma_mix_f32 v1, v7, v9, v1 op_sel:[0,1,0] op_sel_hi:[0,1,0]
	v_mad_u32_u24 v3, 0xf0, v4, 0
	v_add_nc_u32_e32 v7, 15, v100
	v_lshlrev_b32_e32 v5, 1, v2
	v_and_b32_e32 v2, 15, v2
	v_mad_u32_u24 v4, 0xf0, v4, v99
	v_add_nc_u32_e32 v3, 0xe0, v3
	v_lshlrev_b32_e32 v10, 1, v7
	v_and_b32_e32 v11, 15, v7
	v_and_or_b32 v9, 0x7e0, v5, v2
	s_wait_dscnt 0x0
	v_fma_mix_f32 v6, v14, v16, 0 op_sel_hi:[0,1,0]
	v_fma_mix_f32 v8, v14, v16, 0 op_sel:[0,1,0] op_sel_hi:[0,1,0]
	ds_load_2addr_stride64_b32 v[2:3], v3 offset1:15
	ds_load_2addr_stride64_b32 v[4:5], v4 offset1:15
	v_mad_u32_u24 v13, 0xf0, v9, 0
	v_and_or_b32 v14, 0x7e0, v10, v11
	v_fma_mix_f32 v6, v15, v17, v6 op_sel_hi:[0,1,0]
	v_fma_mix_f32 v7, v15, v17, v8 op_sel:[0,1,0] op_sel_hi:[0,1,0]
	v_mad_u32_u24 v10, 0xf0, v9, v99
	v_add_nc_u32_e32 v8, 0xe0, v13
	v_mad_u32_u24 v15, 0xf0, v14, 0
	v_add_nc_u32_e32 v12, 0x1340, v24
	v_add_nc_u32_e32 v13, 0x1500, v24
	ds_load_2addr_stride64_b32 v[8:9], v8 offset1:15
	ds_load_2addr_stride64_b32 v[10:11], v10 offset1:15
	v_lshlrev_b32_e32 v16, 1, v25
	v_and_b32_e32 v17, 15, v25
	v_add_nc_u32_e32 v15, 0xe0, v15
	v_mad_u32_u24 v14, 0xf0, v14, v99
	s_clause 0x1
	global_store_b64 v12, v[0:1], s[0:1]
	global_store_b64 v13, v[6:7], s[0:1]
	ds_load_2addr_stride64_b32 v[0:1], v15 offset1:15
	ds_load_2addr_stride64_b32 v[6:7], v14 offset1:15
	v_and_or_b32 v12, 0xfe0, v16, v17
	s_wait_dscnt 0x4
	v_fma_mix_f32 v13, v2, v4, 0 op_sel_hi:[0,1,0]
	v_fma_mix_f32 v4, v2, v4, 0 op_sel:[0,1,0] op_sel_hi:[0,1,0]
	v_add_nc_u32_e32 v15, 2, v25
	v_add_nc_u32_e32 v17, 0x1a40, v24
	v_mad_u32_u24 v14, 0xf0, v12, 0
	v_fma_mix_f32 v2, v3, v5, v13 op_sel_hi:[0,1,0]
	v_fma_mix_f32 v3, v3, v5, v4 op_sel:[0,1,0] op_sel_hi:[0,1,0]
	v_mad_u32_u24 v12, 0xf0, v12, v101
	v_add_nc_u32_e32 v20, 8, v25
	v_add_nc_u32_e32 v4, 0xe0, v14
	v_lshlrev_b32_e32 v14, 1, v15
	v_and_b32_e32 v15, 15, v15
	s_wait_dscnt 0x2
	v_fma_mix_f32 v16, v8, v10, 0 op_sel_hi:[0,1,0]
	v_fma_mix_f32 v10, v8, v10, 0 op_sel:[0,1,0] op_sel_hi:[0,1,0]
	v_add_nc_u32_e32 v12, 0x80, v12
	ds_load_2addr_stride64_b32 v[4:5], v4 offset1:15
	ds_load_2addr_stride64_b32 v[12:13], v12 offset1:15
	v_and_or_b32 v14, 0x1fe0, v14, v15
	v_fma_mix_f32 v8, v9, v11, v16 op_sel_hi:[0,1,0]
	v_fma_mix_f32 v9, v9, v11, v10 op_sel:[0,1,0] op_sel_hi:[0,1,0]
	s_wait_dscnt 0x2
	v_fma_mix_f32 v10, v0, v6, 0 op_sel_hi:[0,1,0]
	v_fma_mix_f32 v6, v0, v6, 0 op_sel:[0,1,0] op_sel_hi:[0,1,0]
	v_mad_u32_u24 v11, 0xf0, v14, 0
	v_mad_u32_u24 v14, 0xf0, v14, v101
	v_add_nc_u32_e32 v15, 0x16c0, v24
	v_fma_mix_f32 v0, v1, v7, v10 op_sel_hi:[0,1,0]
	v_fma_mix_f32 v1, v1, v7, v6 op_sel:[0,1,0] op_sel_hi:[0,1,0]
	v_add_nc_u32_e32 v10, 0xe0, v11
	v_add_nc_u32_e32 v11, 0x80, v14
	;; [unrolled: 1-line block ×3, first 2 shown]
	ds_load_2addr_stride64_b32 v[6:7], v10 offset1:15
	ds_load_2addr_stride64_b32 v[10:11], v11 offset1:15
	v_add_nc_u32_e32 v16, 0x1880, v24
	v_lshlrev_b32_e32 v18, 1, v14
	v_and_b32_e32 v14, 15, v14
	s_clause 0x2
	global_store_b64 v15, v[2:3], s[0:1]
	global_store_b64 v16, v[8:9], s[0:1]
	;; [unrolled: 1-line block ×3, first 2 shown]
	s_wait_dscnt 0x2
	v_fma_mix_f32 v2, v4, v12, 0 op_sel_hi:[0,1,0]
	v_and_or_b32 v1, 0x1fe0, v18, v14
	v_fma_mix_f32 v4, v4, v12, 0 op_sel:[0,1,0] op_sel_hi:[0,1,0]
	v_dual_mov_b32 v3, 0 :: v_dual_add_nc_u32 v12, 6, v25
	s_delay_alu instid0(VALU_DEP_4) | instskip(NEXT) | instid1(VALU_DEP_4)
	v_fma_mix_f32 v0, v5, v13, v2 op_sel_hi:[0,1,0]
	v_mad_u32_u24 v8, 0xf0, v1, 0
	v_mad_u32_u24 v9, 0xf0, v1, v101
	s_delay_alu instid0(VALU_DEP_4)
	v_lshlrev_b32_e32 v14, 1, v12
	v_and_b32_e32 v15, 15, v12
	v_fma_mix_f32 v1, v5, v13, v4 op_sel:[0,1,0] op_sel_hi:[0,1,0]
	v_add_nc_u32_e32 v8, 0xe0, v8
	v_add_nc_u32_e32 v13, 0x80, v9
	s_wait_dscnt 0x0
	v_fma_mix_f32 v16, v6, v10, 0 op_sel_hi:[0,1,0]
	v_fma_mix_f32 v10, v6, v10, 0 op_sel:[0,1,0] op_sel_hi:[0,1,0]
	v_and_or_b32 v6, 0x1fe0, v14, v15
	ds_load_2addr_stride64_b32 v[8:9], v8 offset1:15
	ds_load_2addr_stride64_b32 v[12:13], v13 offset1:15
	v_mad_u32_u24 v2, v25, 56, v105
	v_lshlrev_b32_e32 v22, 1, v20
	v_and_b32_e32 v20, 15, v20
	v_mad_u32_u24 v14, 0xf0, v6, 0
	v_mad_u32_u24 v15, 0xf0, v6, v101
	v_fma_mix_f32 v6, v7, v11, v16 op_sel_hi:[0,1,0]
	v_fma_mix_f32 v7, v7, v11, v10 op_sel:[0,1,0] op_sel_hi:[0,1,0]
	v_add_nc_u32_e32 v10, 0x70, v2
	v_add_nc_u32_e32 v16, 0xe0, v14
	v_dual_mov_b32 v11, v3 :: v_dual_add_nc_u32 v18, 0x80, v15
	ds_load_2addr_stride64_b32 v[16:17], v16 offset1:15
	ds_load_2addr_stride64_b32 v[18:19], v18 offset1:15
	v_dual_mov_b32 v15, v3 :: v_dual_add_nc_u32 v14, 0xe0, v2
	v_lshlrev_b64_e32 v[4:5], 3, v[2:3]
	v_lshlrev_b64_e32 v[10:11], 3, v[10:11]
	v_and_or_b32 v20, 0x1fe0, v22, v20
	s_wait_dscnt 0x2
	v_fma_mix_f32 v21, v8, v12, 0 op_sel_hi:[0,1,0]
	v_lshlrev_b64_e32 v[14:15], 3, v[14:15]
	v_fma_mix_f32 v12, v8, v12, 0 op_sel:[0,1,0] op_sel_hi:[0,1,0]
	s_wait_alu 0xfffe
	v_add_co_u32 v4, vcc_lo, s0, v4
	s_wait_alu 0xfffd
	v_add_co_ci_u32_e64 v5, null, s1, v5, vcc_lo
	v_add_co_u32 v10, vcc_lo, s0, v10
	s_wait_alu 0xfffd
	v_add_co_ci_u32_e64 v11, null, s1, v11, vcc_lo
	v_fma_mix_f32 v8, v9, v13, v21 op_sel_hi:[0,1,0]
	v_fma_mix_f32 v9, v9, v13, v12 op_sel:[0,1,0] op_sel_hi:[0,1,0]
	v_add_co_u32 v12, vcc_lo, s0, v14
	s_wait_alu 0xfffd
	v_add_co_ci_u32_e64 v13, null, s1, v15, vcc_lo
	v_mad_u32_u24 v14, 0xf0, v20, 0
	v_add_nc_u32_e32 v15, 10, v25
	v_mad_u32_u24 v20, 0xf0, v20, v101
	s_wait_dscnt 0x0
	v_fma_mix_f32 v24, v16, v18, 0 op_sel_hi:[0,1,0]
	v_fma_mix_f32 v18, v16, v18, 0 op_sel:[0,1,0] op_sel_hi:[0,1,0]
	v_add_nc_u32_e32 v16, 0xe0, v14
	v_lshlrev_b32_e32 v22, 1, v15
	v_and_b32_e32 v23, 15, v15
	v_add_nc_u32_e32 v26, 0x80, v20
	v_dual_mov_b32 v15, v3 :: v_dual_add_nc_u32 v14, 0x150, v2
	ds_load_2addr_stride64_b32 v[20:21], v16 offset1:15
	v_and_or_b32 v27, 0x1fe0, v22, v23
	ds_load_2addr_stride64_b32 v[22:23], v26 offset1:15
	v_fma_mix_f32 v16, v17, v19, v24 op_sel_hi:[0,1,0]
	v_lshlrev_b64_e32 v[14:15], 3, v[14:15]
	v_add_nc_u32_e32 v24, 12, v25
	v_fma_mix_f32 v17, v17, v19, v18 op_sel:[0,1,0] op_sel_hi:[0,1,0]
	v_mad_u32_u24 v18, 0xf0, v27, 0
	v_mad_u32_u24 v19, 0xf0, v27, v101
	s_delay_alu instid0(VALU_DEP_4)
	v_lshlrev_b32_e32 v26, 1, v24
	v_and_b32_e32 v24, 15, v24
	v_add_co_u32 v14, vcc_lo, s0, v14
	s_wait_alu 0xfffd
	v_add_co_ci_u32_e64 v15, null, s1, v15, vcc_lo
	v_add_nc_u32_e32 v18, 0xe0, v18
	s_clause 0x3
	global_store_b64 v[4:5], v[0:1], off offset:256
	global_store_b64 v[10:11], v[6:7], off offset:256
	global_store_b64 v[12:13], v[8:9], off offset:256
	global_store_b64 v[14:15], v[16:17], off offset:256
	v_and_or_b32 v6, 0x1fe0, v26, v24
	v_add_nc_u32_e32 v19, 0x80, v19
	ds_load_2addr_stride64_b32 v[0:1], v18 offset1:15
	ds_load_2addr_stride64_b32 v[4:5], v19 offset1:15
	v_mad_u32_u24 v11, 0xf0, v6, 0
	v_mad_u32_u24 v12, 0xf0, v6, v101
	s_wait_dscnt 0x2
	v_fma_mix_f32 v7, v20, v22, 0 op_sel_hi:[0,1,0]
	v_fma_mix_f32 v10, v20, v22, 0 op_sel:[0,1,0] op_sel_hi:[0,1,0]
	v_add_nc_u32_e32 v14, 14, v25
	v_add_nc_u32_e32 v11, 0xe0, v11
	;; [unrolled: 1-line block ×3, first 2 shown]
	v_fma_mix_f32 v6, v21, v23, v7 op_sel_hi:[0,1,0]
	v_fma_mix_f32 v7, v21, v23, v10 op_sel:[0,1,0] op_sel_hi:[0,1,0]
	ds_load_2addr_stride64_b32 v[10:11], v11 offset1:15
	ds_load_2addr_stride64_b32 v[12:13], v12 offset1:15
	v_lshlrev_b32_e32 v15, 1, v14
	v_and_b32_e32 v14, 15, v14
	v_dual_mov_b32 v9, v3 :: v_dual_add_nc_u32 v8, 0x1c0, v2
	s_delay_alu instid0(VALU_DEP_2)
	v_and_or_b32 v17, 0x1fe0, v15, v14
	v_add_nc_u32_e32 v14, 0x230, v2
	s_wait_dscnt 0x2
	v_fma_mix_f32 v16, v0, v4, 0 op_sel_hi:[0,1,0]
	v_fma_mix_f32 v4, v0, v4, 0 op_sel:[0,1,0] op_sel_hi:[0,1,0]
	v_mov_b32_e32 v15, v3
	v_lshlrev_b64_e32 v[8:9], 3, v[8:9]
	s_delay_alu instid0(VALU_DEP_4)
	v_fma_mix_f32 v0, v1, v5, v16 op_sel_hi:[0,1,0]
	v_mad_u32_u24 v16, 0xf0, v17, 0
	v_mad_u32_u24 v17, 0xf0, v17, v101
	v_fma_mix_f32 v1, v1, v5, v4 op_sel:[0,1,0] op_sel_hi:[0,1,0]
	v_lshlrev_b64_e32 v[4:5], 3, v[14:15]
	v_add_nc_u32_e32 v14, 0x2a0, v2
	v_add_nc_u32_e32 v16, 0xe0, v16
	s_wait_dscnt 0x0
	v_fma_mix_f32 v20, v10, v12, 0 op_sel_hi:[0,1,0]
	v_add_nc_u32_e32 v18, 0x80, v17
	v_fma_mix_f32 v12, v10, v12, 0 op_sel:[0,1,0] op_sel_hi:[0,1,0]
	v_lshlrev_b64_e32 v[14:15], 3, v[14:15]
	v_add_co_u32 v8, vcc_lo, s0, v8
	ds_load_2addr_stride64_b32 v[16:17], v16 offset1:15
	ds_load_2addr_stride64_b32 v[18:19], v18 offset1:15
	v_fma_mix_f32 v10, v11, v13, v20 op_sel_hi:[0,1,0]
	v_add_nc_u32_e32 v20, v220, v104
	s_wait_alu 0xfffd
	v_add_co_ci_u32_e64 v9, null, s1, v9, vcc_lo
	v_add_co_u32 v4, vcc_lo, s0, v4
	s_wait_alu 0xfffd
	v_add_co_ci_u32_e64 v5, null, s1, v5, vcc_lo
	v_fma_mix_f32 v11, v11, v13, v12 op_sel:[0,1,0] op_sel_hi:[0,1,0]
	v_add_co_u32 v12, vcc_lo, s0, v14
	s_wait_alu 0xfffd
	v_add_co_ci_u32_e64 v13, null, s1, v15, vcc_lo
	v_lshlrev_b32_e32 v14, 1, v20
	v_and_b32_e32 v15, 15, v20
	v_add_nc_u32_e32 v21, 4, v20
	s_clause 0x2
	global_store_b64 v[8:9], v[6:7], off offset:256
	global_store_b64 v[4:5], v[0:1], off offset:256
	;; [unrolled: 1-line block ×3, first 2 shown]
	v_add_nc_u32_e32 v10, 8, v20
	v_add_nc_u32_e32 v2, 0x310, v2
	v_and_or_b32 v0, 0x1fe0, v14, v15
	v_lshlrev_b32_e32 v1, 1, v21
	v_and_b32_e32 v4, 15, v21
	s_wait_dscnt 0x0
	v_fma_mix_f32 v5, v16, v18, 0 op_sel_hi:[0,1,0]
	v_fma_mix_f32 v8, v16, v18, 0 op_sel:[0,1,0] op_sel_hi:[0,1,0]
	v_mad_u32_u24 v6, 0xf0, v0, 0
	v_mad_u32_u24 v7, 0xf0, v0, v103
	v_and_or_b32 v1, 0x3fe0, v1, v4
	v_fma_mix_f32 v0, v17, v19, v5 op_sel_hi:[0,1,0]
	v_lshlrev_b32_e32 v14, 1, v10
	v_add_nc_u32_e32 v4, 0xe0, v6
	v_add_nc_u32_e32 v6, 0xc0, v7
	ds_load_2addr_stride64_b32 v[4:5], v4 offset1:15
	ds_load_2addr_stride64_b32 v[6:7], v6 offset1:15
	v_mad_u32_u24 v9, 0xf0, v1, 0
	v_mad_u32_u24 v1, 0xf0, v1, v103
	v_and_b32_e32 v15, 15, v10
	s_delay_alu instid0(VALU_DEP_3) | instskip(NEXT) | instid1(VALU_DEP_3)
	v_add_nc_u32_e32 v11, 0xe0, v9
	v_add_nc_u32_e32 v12, 0xc0, v1
	v_fma_mix_f32 v1, v17, v19, v8 op_sel:[0,1,0] op_sel_hi:[0,1,0]
	v_lshlrev_b64_e32 v[8:9], 3, v[2:3]
	v_and_or_b32 v2, 0x3fe0, v14, v15
	v_add_nc_u32_e32 v14, 12, v20
	ds_load_2addr_stride64_b32 v[10:11], v11 offset1:15
	ds_load_2addr_stride64_b32 v[12:13], v12 offset1:15
	v_mul_u32_u24_e32 v15, 56, v20
	v_mad_u32_u24 v16, 0xf0, v2, 0
	v_lshlrev_b32_e32 v17, 1, v14
	v_and_b32_e32 v14, 15, v14
	v_mad_u32_u24 v2, 0xf0, v2, v103
	v_add_co_u32 v8, vcc_lo, s0, v8
	s_wait_dscnt 0x2
	v_fma_mix_f32 v18, v4, v6, 0 op_sel_hi:[0,1,0]
	v_and_or_b32 v20, 0x3fe0, v17, v14
	v_add_nc_u32_e32 v16, 0xe0, v16
	v_add_nc_u32_e32 v19, 0xc0, v2
	v_fma_mix_f32 v6, v4, v6, 0 op_sel:[0,1,0] op_sel_hi:[0,1,0]
	v_fma_mix_f32 v4, v5, v7, v18 op_sel_hi:[0,1,0]
	v_mad_u32_u24 v18, 0xf0, v20, 0
	v_or_b32_e32 v2, v15, v102
	ds_load_2addr_stride64_b32 v[14:15], v16 offset1:15
	ds_load_2addr_stride64_b32 v[16:17], v19 offset1:15
	v_mad_u32_u24 v19, 0xf0, v20, v103
	v_fma_mix_f32 v5, v5, v7, v6 op_sel:[0,1,0] op_sel_hi:[0,1,0]
	v_add_nc_u32_e32 v20, 0xe0, v18
	s_wait_dscnt 0x2
	v_fma_mix_f32 v24, v10, v12, 0 op_sel_hi:[0,1,0]
	v_fma_mix_f32 v12, v10, v12, 0 op_sel:[0,1,0] op_sel_hi:[0,1,0]
	v_add_nc_u32_e32 v22, 0xc0, v19
	ds_load_2addr_stride64_b32 v[20:21], v20 offset1:15
	ds_load_2addr_stride64_b32 v[22:23], v22 offset1:15
	v_dual_mov_b32 v19, v3 :: v_dual_add_nc_u32 v18, 0xe0, v2
	v_fma_mix_f32 v10, v11, v13, v24 op_sel_hi:[0,1,0]
	v_fma_mix_f32 v11, v11, v13, v12 op_sel:[0,1,0] op_sel_hi:[0,1,0]
	v_lshlrev_b64_e32 v[6:7], 3, v[2:3]
	s_wait_alu 0xfffd
	v_add_co_ci_u32_e64 v9, null, s1, v9, vcc_lo
	v_lshlrev_b64_e32 v[12:13], 3, v[18:19]
	v_add_nc_u32_e32 v18, 0x1c0, v2
	v_add_nc_u32_e32 v2, 0x2a0, v2
	s_wait_dscnt 0x2
	v_fma_mix_f32 v24, v14, v16, 0 op_sel_hi:[0,1,0]
	v_fma_mix_f32 v16, v14, v16, 0 op_sel:[0,1,0] op_sel_hi:[0,1,0]
	v_add_co_u32 v6, vcc_lo, s0, v6
	v_lshlrev_b64_e32 v[18:19], 3, v[18:19]
	v_lshlrev_b64_e32 v[2:3], 3, v[2:3]
	s_wait_alu 0xfffd
	v_add_co_ci_u32_e64 v7, null, s1, v7, vcc_lo
	v_add_co_u32 v12, vcc_lo, s0, v12
	v_fma_mix_f32 v14, v15, v17, v24 op_sel_hi:[0,1,0]
	s_wait_dscnt 0x0
	v_fma_mix_f32 v24, v20, v22, 0 op_sel_hi:[0,1,0]
	v_fma_mix_f32 v20, v20, v22, 0 op_sel:[0,1,0] op_sel_hi:[0,1,0]
	s_wait_alu 0xfffd
	v_add_co_ci_u32_e64 v13, null, s1, v13, vcc_lo
	v_fma_mix_f32 v15, v15, v17, v16 op_sel:[0,1,0] op_sel_hi:[0,1,0]
	v_add_co_u32 v16, vcc_lo, s0, v18
	s_wait_alu 0xfffd
	v_add_co_ci_u32_e64 v17, null, s1, v19, vcc_lo
	v_add_co_u32 v2, vcc_lo, s0, v2
	v_fma_mix_f32 v18, v21, v23, v24 op_sel_hi:[0,1,0]
	v_fma_mix_f32 v19, v21, v23, v20 op_sel:[0,1,0] op_sel_hi:[0,1,0]
	s_wait_alu 0xfffd
	v_add_co_ci_u32_e64 v3, null, s1, v3, vcc_lo
	s_clause 0x4
	global_store_b64 v[8:9], v[0:1], off offset:256
	global_store_b64 v[6:7], v[4:5], off offset:384
	;; [unrolled: 1-line block ×5, first 2 shown]
.LBB19_503:
	s_wait_alu 0xfffe
	s_or_b32 exec_lo, exec_lo, s2
	s_wait_loadcnt 0x0
	s_wait_storecnt 0x0
	s_barrier_signal -1
	s_barrier_wait -1
	global_inv scope:SCOPE_SE
	s_endpgm
	.section	.rodata,"a",@progbits
	.p2align	6, 0x0
	.amdhsa_kernel _ZL18flash_attn_ext_f16ILi112ELi112ELi8ELi2ELb0ELb0EEvPKcS1_S1_S1_S1_PKiPfP15HIP_vector_typeIfLj2EEffffjfiS5_IjLj3EEiiiiiiiiiiiliiliiiiil
		.amdhsa_group_segment_fixed_size 0
		.amdhsa_private_segment_fixed_size 332
		.amdhsa_kernarg_size 464
		.amdhsa_user_sgpr_count 2
		.amdhsa_user_sgpr_dispatch_ptr 0
		.amdhsa_user_sgpr_queue_ptr 0
		.amdhsa_user_sgpr_kernarg_segment_ptr 1
		.amdhsa_user_sgpr_dispatch_id 0
		.amdhsa_user_sgpr_private_segment_size 0
		.amdhsa_wavefront_size32 1
		.amdhsa_uses_dynamic_stack 0
		.amdhsa_enable_private_segment 1
		.amdhsa_system_sgpr_workgroup_id_x 1
		.amdhsa_system_sgpr_workgroup_id_y 0
		.amdhsa_system_sgpr_workgroup_id_z 0
		.amdhsa_system_sgpr_workgroup_info 0
		.amdhsa_system_vgpr_workitem_id 1
		.amdhsa_next_free_vgpr 256
		.amdhsa_next_free_sgpr 105
		.amdhsa_reserve_vcc 1
		.amdhsa_float_round_mode_32 0
		.amdhsa_float_round_mode_16_64 0
		.amdhsa_float_denorm_mode_32 3
		.amdhsa_float_denorm_mode_16_64 3
		.amdhsa_fp16_overflow 0
		.amdhsa_workgroup_processor_mode 1
		.amdhsa_memory_ordered 1
		.amdhsa_forward_progress 1
		.amdhsa_inst_pref_size 255
		.amdhsa_round_robin_scheduling 0
		.amdhsa_exception_fp_ieee_invalid_op 0
		.amdhsa_exception_fp_denorm_src 0
		.amdhsa_exception_fp_ieee_div_zero 0
		.amdhsa_exception_fp_ieee_overflow 0
		.amdhsa_exception_fp_ieee_underflow 0
		.amdhsa_exception_fp_ieee_inexact 0
		.amdhsa_exception_int_div_zero 0
	.end_amdhsa_kernel
	.section	.text._ZL18flash_attn_ext_f16ILi112ELi112ELi8ELi2ELb0ELb0EEvPKcS1_S1_S1_S1_PKiPfP15HIP_vector_typeIfLj2EEffffjfiS5_IjLj3EEiiiiiiiiiiiliiliiiiil,"axG",@progbits,_ZL18flash_attn_ext_f16ILi112ELi112ELi8ELi2ELb0ELb0EEvPKcS1_S1_S1_S1_PKiPfP15HIP_vector_typeIfLj2EEffffjfiS5_IjLj3EEiiiiiiiiiiiliiliiiiil,comdat
.Lfunc_end19:
	.size	_ZL18flash_attn_ext_f16ILi112ELi112ELi8ELi2ELb0ELb0EEvPKcS1_S1_S1_S1_PKiPfP15HIP_vector_typeIfLj2EEffffjfiS5_IjLj3EEiiiiiiiiiiiliiliiiiil, .Lfunc_end19-_ZL18flash_attn_ext_f16ILi112ELi112ELi8ELi2ELb0ELb0EEvPKcS1_S1_S1_S1_PKiPfP15HIP_vector_typeIfLj2EEffffjfiS5_IjLj3EEiiiiiiiiiiiliiliiiiil
                                        ; -- End function
	.set _ZL18flash_attn_ext_f16ILi112ELi112ELi8ELi2ELb0ELb0EEvPKcS1_S1_S1_S1_PKiPfP15HIP_vector_typeIfLj2EEffffjfiS5_IjLj3EEiiiiiiiiiiiliiliiiiil.num_vgpr, 256
	.set _ZL18flash_attn_ext_f16ILi112ELi112ELi8ELi2ELb0ELb0EEvPKcS1_S1_S1_S1_PKiPfP15HIP_vector_typeIfLj2EEffffjfiS5_IjLj3EEiiiiiiiiiiiliiliiiiil.num_agpr, 0
	.set _ZL18flash_attn_ext_f16ILi112ELi112ELi8ELi2ELb0ELb0EEvPKcS1_S1_S1_S1_PKiPfP15HIP_vector_typeIfLj2EEffffjfiS5_IjLj3EEiiiiiiiiiiiliiliiiiil.numbered_sgpr, 105
	.set _ZL18flash_attn_ext_f16ILi112ELi112ELi8ELi2ELb0ELb0EEvPKcS1_S1_S1_S1_PKiPfP15HIP_vector_typeIfLj2EEffffjfiS5_IjLj3EEiiiiiiiiiiiliiliiiiil.num_named_barrier, 0
	.set _ZL18flash_attn_ext_f16ILi112ELi112ELi8ELi2ELb0ELb0EEvPKcS1_S1_S1_S1_PKiPfP15HIP_vector_typeIfLj2EEffffjfiS5_IjLj3EEiiiiiiiiiiiliiliiiiil.private_seg_size, 332
	.set _ZL18flash_attn_ext_f16ILi112ELi112ELi8ELi2ELb0ELb0EEvPKcS1_S1_S1_S1_PKiPfP15HIP_vector_typeIfLj2EEffffjfiS5_IjLj3EEiiiiiiiiiiiliiliiiiil.uses_vcc, 1
	.set _ZL18flash_attn_ext_f16ILi112ELi112ELi8ELi2ELb0ELb0EEvPKcS1_S1_S1_S1_PKiPfP15HIP_vector_typeIfLj2EEffffjfiS5_IjLj3EEiiiiiiiiiiiliiliiiiil.uses_flat_scratch, 1
	.set _ZL18flash_attn_ext_f16ILi112ELi112ELi8ELi2ELb0ELb0EEvPKcS1_S1_S1_S1_PKiPfP15HIP_vector_typeIfLj2EEffffjfiS5_IjLj3EEiiiiiiiiiiiliiliiiiil.has_dyn_sized_stack, 0
	.set _ZL18flash_attn_ext_f16ILi112ELi112ELi8ELi2ELb0ELb0EEvPKcS1_S1_S1_S1_PKiPfP15HIP_vector_typeIfLj2EEffffjfiS5_IjLj3EEiiiiiiiiiiiliiliiiiil.has_recursion, 0
	.set _ZL18flash_attn_ext_f16ILi112ELi112ELi8ELi2ELb0ELb0EEvPKcS1_S1_S1_S1_PKiPfP15HIP_vector_typeIfLj2EEffffjfiS5_IjLj3EEiiiiiiiiiiiliiliiiiil.has_indirect_call, 0
	.section	.AMDGPU.csdata,"",@progbits
; Kernel info:
; codeLenInByte = 69868
; TotalNumSgprs: 107
; NumVgprs: 256
; ScratchSize: 332
; MemoryBound: 0
; FloatMode: 240
; IeeeMode: 1
; LDSByteSize: 0 bytes/workgroup (compile time only)
; SGPRBlocks: 0
; VGPRBlocks: 31
; NumSGPRsForWavesPerEU: 107
; NumVGPRsForWavesPerEU: 256
; Occupancy: 5
; WaveLimiterHint : 1
; COMPUTE_PGM_RSRC2:SCRATCH_EN: 1
; COMPUTE_PGM_RSRC2:USER_SGPR: 2
; COMPUTE_PGM_RSRC2:TRAP_HANDLER: 0
; COMPUTE_PGM_RSRC2:TGID_X_EN: 1
; COMPUTE_PGM_RSRC2:TGID_Y_EN: 0
; COMPUTE_PGM_RSRC2:TGID_Z_EN: 0
; COMPUTE_PGM_RSRC2:TIDIG_COMP_CNT: 1
	.section	.text._ZL18flash_attn_ext_f16ILi112ELi112ELi8ELi2ELb1ELb0EEvPKcS1_S1_S1_S1_PKiPfP15HIP_vector_typeIfLj2EEffffjfiS5_IjLj3EEiiiiiiiiiiiliiliiiiil,"axG",@progbits,_ZL18flash_attn_ext_f16ILi112ELi112ELi8ELi2ELb1ELb0EEvPKcS1_S1_S1_S1_PKiPfP15HIP_vector_typeIfLj2EEffffjfiS5_IjLj3EEiiiiiiiiiiiliiliiiiil,comdat
	.globl	_ZL18flash_attn_ext_f16ILi112ELi112ELi8ELi2ELb1ELb0EEvPKcS1_S1_S1_S1_PKiPfP15HIP_vector_typeIfLj2EEffffjfiS5_IjLj3EEiiiiiiiiiiiliiliiiiil ; -- Begin function _ZL18flash_attn_ext_f16ILi112ELi112ELi8ELi2ELb1ELb0EEvPKcS1_S1_S1_S1_PKiPfP15HIP_vector_typeIfLj2EEffffjfiS5_IjLj3EEiiiiiiiiiiiliiliiiiil
	.p2align	8
	.type	_ZL18flash_attn_ext_f16ILi112ELi112ELi8ELi2ELb1ELb0EEvPKcS1_S1_S1_S1_PKiPfP15HIP_vector_typeIfLj2EEffffjfiS5_IjLj3EEiiiiiiiiiiiliiliiiiil,@function
_ZL18flash_attn_ext_f16ILi112ELi112ELi8ELi2ELb1ELb0EEvPKcS1_S1_S1_S1_PKiPfP15HIP_vector_typeIfLj2EEffffjfiS5_IjLj3EEiiiiiiiiiiiliiliiiiil: ; @_ZL18flash_attn_ext_f16ILi112ELi112ELi8ELi2ELb1ELb0EEvPKcS1_S1_S1_S1_PKiPfP15HIP_vector_typeIfLj2EEffffjfiS5_IjLj3EEiiiiiiiiiiiliiliiiiil
; %bb.0:
	v_mov_b32_e32 v0, 0x6cc
	s_add_nc_u64 s[8:9], s[0:1], 0xd0
	s_getpc_b64 s[0:1]
	s_sext_i32_i16 s1, s1
	s_add_co_u32 s0, s0, _ZL14no_device_codePKciS0_iS0_@rel32@lo+8
	s_add_co_ci_u32 s1, s1, _ZL14no_device_codePKciS0_iS0_@rel32@hi+16
	s_mov_b32 s32, 0
	s_swappc_b64 s[30:31], s[0:1]
	.section	.rodata,"a",@progbits
	.p2align	6, 0x0
	.amdhsa_kernel _ZL18flash_attn_ext_f16ILi112ELi112ELi8ELi2ELb1ELb0EEvPKcS1_S1_S1_S1_PKiPfP15HIP_vector_typeIfLj2EEffffjfiS5_IjLj3EEiiiiiiiiiiiliiliiiiil
		.amdhsa_group_segment_fixed_size 0
		.amdhsa_private_segment_fixed_size 16
		.amdhsa_kernarg_size 464
		.amdhsa_user_sgpr_count 2
		.amdhsa_user_sgpr_dispatch_ptr 0
		.amdhsa_user_sgpr_queue_ptr 0
		.amdhsa_user_sgpr_kernarg_segment_ptr 1
		.amdhsa_user_sgpr_dispatch_id 0
		.amdhsa_user_sgpr_private_segment_size 0
		.amdhsa_wavefront_size32 1
		.amdhsa_uses_dynamic_stack 0
		.amdhsa_enable_private_segment 1
		.amdhsa_system_sgpr_workgroup_id_x 1
		.amdhsa_system_sgpr_workgroup_id_y 0
		.amdhsa_system_sgpr_workgroup_id_z 0
		.amdhsa_system_sgpr_workgroup_info 0
		.amdhsa_system_vgpr_workitem_id 0
		.amdhsa_next_free_vgpr 40
		.amdhsa_next_free_sgpr 34
		.amdhsa_reserve_vcc 1
		.amdhsa_float_round_mode_32 0
		.amdhsa_float_round_mode_16_64 0
		.amdhsa_float_denorm_mode_32 3
		.amdhsa_float_denorm_mode_16_64 3
		.amdhsa_fp16_overflow 0
		.amdhsa_workgroup_processor_mode 1
		.amdhsa_memory_ordered 1
		.amdhsa_forward_progress 1
		.amdhsa_inst_pref_size 1
		.amdhsa_round_robin_scheduling 0
		.amdhsa_exception_fp_ieee_invalid_op 0
		.amdhsa_exception_fp_denorm_src 0
		.amdhsa_exception_fp_ieee_div_zero 0
		.amdhsa_exception_fp_ieee_overflow 0
		.amdhsa_exception_fp_ieee_underflow 0
		.amdhsa_exception_fp_ieee_inexact 0
		.amdhsa_exception_int_div_zero 0
	.end_amdhsa_kernel
	.section	.text._ZL18flash_attn_ext_f16ILi112ELi112ELi8ELi2ELb1ELb0EEvPKcS1_S1_S1_S1_PKiPfP15HIP_vector_typeIfLj2EEffffjfiS5_IjLj3EEiiiiiiiiiiiliiliiiiil,"axG",@progbits,_ZL18flash_attn_ext_f16ILi112ELi112ELi8ELi2ELb1ELb0EEvPKcS1_S1_S1_S1_PKiPfP15HIP_vector_typeIfLj2EEffffjfiS5_IjLj3EEiiiiiiiiiiiliiliiiiil,comdat
.Lfunc_end20:
	.size	_ZL18flash_attn_ext_f16ILi112ELi112ELi8ELi2ELb1ELb0EEvPKcS1_S1_S1_S1_PKiPfP15HIP_vector_typeIfLj2EEffffjfiS5_IjLj3EEiiiiiiiiiiiliiliiiiil, .Lfunc_end20-_ZL18flash_attn_ext_f16ILi112ELi112ELi8ELi2ELb1ELb0EEvPKcS1_S1_S1_S1_PKiPfP15HIP_vector_typeIfLj2EEffffjfiS5_IjLj3EEiiiiiiiiiiiliiliiiiil
                                        ; -- End function
	.set _ZL18flash_attn_ext_f16ILi112ELi112ELi8ELi2ELb1ELb0EEvPKcS1_S1_S1_S1_PKiPfP15HIP_vector_typeIfLj2EEffffjfiS5_IjLj3EEiiiiiiiiiiiliiliiiiil.num_vgpr, max(1, .L_ZL14no_device_codePKciS0_iS0_.num_vgpr)
	.set _ZL18flash_attn_ext_f16ILi112ELi112ELi8ELi2ELb1ELb0EEvPKcS1_S1_S1_S1_PKiPfP15HIP_vector_typeIfLj2EEffffjfiS5_IjLj3EEiiiiiiiiiiiliiliiiiil.num_agpr, max(0, .L_ZL14no_device_codePKciS0_iS0_.num_agpr)
	.set _ZL18flash_attn_ext_f16ILi112ELi112ELi8ELi2ELb1ELb0EEvPKcS1_S1_S1_S1_PKiPfP15HIP_vector_typeIfLj2EEffffjfiS5_IjLj3EEiiiiiiiiiiiliiliiiiil.numbered_sgpr, max(33, .L_ZL14no_device_codePKciS0_iS0_.numbered_sgpr)
	.set _ZL18flash_attn_ext_f16ILi112ELi112ELi8ELi2ELb1ELb0EEvPKcS1_S1_S1_S1_PKiPfP15HIP_vector_typeIfLj2EEffffjfiS5_IjLj3EEiiiiiiiiiiiliiliiiiil.num_named_barrier, max(0, .L_ZL14no_device_codePKciS0_iS0_.num_named_barrier)
	.set _ZL18flash_attn_ext_f16ILi112ELi112ELi8ELi2ELb1ELb0EEvPKcS1_S1_S1_S1_PKiPfP15HIP_vector_typeIfLj2EEffffjfiS5_IjLj3EEiiiiiiiiiiiliiliiiiil.private_seg_size, 0+max(.L_ZL14no_device_codePKciS0_iS0_.private_seg_size)
	.set _ZL18flash_attn_ext_f16ILi112ELi112ELi8ELi2ELb1ELb0EEvPKcS1_S1_S1_S1_PKiPfP15HIP_vector_typeIfLj2EEffffjfiS5_IjLj3EEiiiiiiiiiiiliiliiiiil.uses_vcc, or(1, .L_ZL14no_device_codePKciS0_iS0_.uses_vcc)
	.set _ZL18flash_attn_ext_f16ILi112ELi112ELi8ELi2ELb1ELb0EEvPKcS1_S1_S1_S1_PKiPfP15HIP_vector_typeIfLj2EEffffjfiS5_IjLj3EEiiiiiiiiiiiliiliiiiil.uses_flat_scratch, or(0, .L_ZL14no_device_codePKciS0_iS0_.uses_flat_scratch)
	.set _ZL18flash_attn_ext_f16ILi112ELi112ELi8ELi2ELb1ELb0EEvPKcS1_S1_S1_S1_PKiPfP15HIP_vector_typeIfLj2EEffffjfiS5_IjLj3EEiiiiiiiiiiiliiliiiiil.has_dyn_sized_stack, or(0, .L_ZL14no_device_codePKciS0_iS0_.has_dyn_sized_stack)
	.set _ZL18flash_attn_ext_f16ILi112ELi112ELi8ELi2ELb1ELb0EEvPKcS1_S1_S1_S1_PKiPfP15HIP_vector_typeIfLj2EEffffjfiS5_IjLj3EEiiiiiiiiiiiliiliiiiil.has_recursion, or(0, .L_ZL14no_device_codePKciS0_iS0_.has_recursion)
	.set _ZL18flash_attn_ext_f16ILi112ELi112ELi8ELi2ELb1ELb0EEvPKcS1_S1_S1_S1_PKiPfP15HIP_vector_typeIfLj2EEffffjfiS5_IjLj3EEiiiiiiiiiiiliiliiiiil.has_indirect_call, or(0, .L_ZL14no_device_codePKciS0_iS0_.has_indirect_call)
	.section	.AMDGPU.csdata,"",@progbits
; Kernel info:
; codeLenInByte = 48
; TotalNumSgprs: 36
; NumVgprs: 40
; ScratchSize: 16
; MemoryBound: 0
; FloatMode: 240
; IeeeMode: 1
; LDSByteSize: 0 bytes/workgroup (compile time only)
; SGPRBlocks: 0
; VGPRBlocks: 4
; NumSGPRsForWavesPerEU: 36
; NumVGPRsForWavesPerEU: 40
; Occupancy: 16
; WaveLimiterHint : 1
; COMPUTE_PGM_RSRC2:SCRATCH_EN: 1
; COMPUTE_PGM_RSRC2:USER_SGPR: 2
; COMPUTE_PGM_RSRC2:TRAP_HANDLER: 0
; COMPUTE_PGM_RSRC2:TGID_X_EN: 1
; COMPUTE_PGM_RSRC2:TGID_Y_EN: 0
; COMPUTE_PGM_RSRC2:TGID_Z_EN: 0
; COMPUTE_PGM_RSRC2:TIDIG_COMP_CNT: 0
	.section	.text._ZL33flash_attn_stream_k_fixup_uniformILi112ELi8ELi2EEvPfPK15HIP_vector_typeIfLj2EEiiiiiiS1_IjLj3EES5_S5_,"axG",@progbits,_ZL33flash_attn_stream_k_fixup_uniformILi112ELi8ELi2EEvPfPK15HIP_vector_typeIfLj2EEiiiiiiS1_IjLj3EES5_S5_,comdat
	.globl	_ZL33flash_attn_stream_k_fixup_uniformILi112ELi8ELi2EEvPfPK15HIP_vector_typeIfLj2EEiiiiiiS1_IjLj3EES5_S5_ ; -- Begin function _ZL33flash_attn_stream_k_fixup_uniformILi112ELi8ELi2EEvPfPK15HIP_vector_typeIfLj2EEiiiiiiS1_IjLj3EES5_S5_
	.p2align	8
	.type	_ZL33flash_attn_stream_k_fixup_uniformILi112ELi8ELi2EEvPfPK15HIP_vector_typeIfLj2EEiiiiiiS1_IjLj3EES5_S5_,@function
_ZL33flash_attn_stream_k_fixup_uniformILi112ELi8ELi2EEvPfPK15HIP_vector_typeIfLj2EEiiiiiiS1_IjLj3EES5_S5_: ; @_ZL33flash_attn_stream_k_fixup_uniformILi112ELi8ELi2EEvPfPK15HIP_vector_typeIfLj2EEiiiiiiS1_IjLj3EES5_S5_
; %bb.0:
	s_clause 0x1
	s_load_b256 s[4:11], s[0:1], 0x1c
	s_load_b128 s[12:15], s[0:1], 0x3c
	s_wait_kmcnt 0x0
	s_mul_hi_u32 s2, s7, ttmp9
	s_delay_alu instid0(SALU_CYCLE_1) | instskip(NEXT) | instid1(SALU_CYCLE_1)
	s_add_co_i32 s2, ttmp9, s2
	s_lshr_b32 s2, s2, s8
	s_delay_alu instid0(SALU_CYCLE_1) | instskip(SKIP_2) | instid1(SALU_CYCLE_1)
	s_mul_i32 s3, s2, s9
	s_load_b64 s[8:9], s[0:1], 0x10
	s_sub_co_i32 s3, ttmp9, s3
	s_mul_hi_u32 s7, s3, s10
	s_delay_alu instid0(SALU_CYCLE_1) | instskip(NEXT) | instid1(SALU_CYCLE_1)
	s_add_co_i32 s7, s3, s7
	s_lshr_b32 s7, s7, s11
	s_lshr_b32 s11, ttmp7, 16
	s_mul_i32 s10, s7, s12
	s_delay_alu instid0(SALU_CYCLE_1) | instskip(NEXT) | instid1(SALU_CYCLE_1)
	s_sub_co_i32 s3, s3, s10
	s_mul_hi_u32 s10, s3, s13
	s_delay_alu instid0(SALU_CYCLE_1) | instskip(NEXT) | instid1(SALU_CYCLE_1)
	s_add_co_i32 s10, s3, s10
	s_lshr_b32 s13, s10, s14
	s_delay_alu instid0(SALU_CYCLE_1) | instskip(SKIP_4) | instid1(SALU_CYCLE_1)
	s_mul_i32 s10, s13, s15
	s_lshl_b32 s13, s13, 1
	s_sub_co_i32 s12, s3, s10
	s_and_b32 s10, ttmp7, 0xffff
	s_lshl_b32 s3, s12, 3
	s_add_co_i32 s3, s3, s10
	s_wait_kmcnt 0x0
	s_cmp_lt_i32 s3, s8
	s_cselect_b32 s3, -1, 0
	s_add_co_i32 s13, s13, s11
	s_delay_alu instid0(SALU_CYCLE_1) | instskip(SKIP_1) | instid1(SALU_CYCLE_1)
	s_cmp_lt_i32 s13, s5
	s_cselect_b32 s14, -1, 0
	s_and_b32 s3, s3, s14
	s_delay_alu instid0(SALU_CYCLE_1)
	s_and_not1_b32 vcc_lo, exec_lo, s3
	s_cbranch_vccnz .LBB21_6
; %bb.1:
	s_mul_i32 s8, s2, s8
	s_mul_i32 s7, s7, s5
	s_add_co_i32 s8, s8, s10
	s_add_co_i32 s5, s13, s7
	s_mul_i32 s8, s8, s9
	s_load_b128 s[0:3], s[0:1], 0x0
	s_mul_i32 s7, s9, s12
	s_add_co_i32 s5, s5, s8
	s_mulk_i32 s7, 0x380
	s_mulk_i32 s5, 0x70
	s_mul_i32 s8, s6, ttmp9
	v_add3_u32 v1, s5, s7, v0
	s_lshl_b32 s5, s10, 1
	s_add_co_i32 s9, s8, s6
	s_delay_alu instid0(SALU_CYCLE_1) | instskip(NEXT) | instid1(VALU_DEP_1)
	s_add_co_i32 s7, s9, -2
	v_ashrrev_i32_e32 v2, 31, v1
	s_delay_alu instid0(VALU_DEP_1) | instskip(SKIP_1) | instid1(VALU_DEP_1)
	v_lshlrev_b64_e32 v[1:2], 2, v[1:2]
	s_wait_kmcnt 0x0
	v_add_co_u32 v1, vcc_lo, s0, v1
	s_delay_alu instid0(VALU_DEP_1)
	v_add_co_ci_u32_e64 v2, null, s1, v2, vcc_lo
	s_wait_alu 0xfffe
	s_add_co_i32 s0, s5, s11
	s_lshl_b32 s1, s9, 4
	global_load_b32 v5, v[1:2], off
	s_wait_alu 0xfffe
	s_add_co_i32 s0, s0, s1
	s_wait_alu 0xfffe
	s_add_co_i32 s0, s0, -16
	s_wait_alu 0xfffe
	s_ashr_i32 s1, s0, 31
	s_wait_alu 0xfffe
	s_lshl_b64 s[0:1], s[0:1], 3
	s_cmp_lt_i32 s7, s8
	s_wait_alu 0xfffe
	s_add_nc_u64 s[0:1], s[2:3], s[0:1]
	s_load_b32 s12, s[0:1], 0x4
	s_cbranch_scc1 .LBB21_4
; %bb.2:
	s_load_b32 s0, s[0:1], 0x0
	s_add_co_i32 s1, ttmp9, 1
	s_mulk_i32 s10, 0xe0
	s_wait_alu 0xfffe
	s_mul_i32 s1, s6, s1
	s_lshl_b32 s14, s4, 6
	s_wait_alu 0xfffe
	s_lshl_b32 s13, s1, 4
	s_mulk_i32 s1, 0x700
	s_add_co_i32 s13, s11, s13
	s_mulk_i32 s11, 0x70
	s_lshl_b32 s4, s4, 4
	s_add_co_i32 s10, s11, s10
	s_ashr_i32 s15, s14, 31
	s_wait_alu 0xfffe
	s_add_co_i32 s10, s10, s1
	s_add_co_i32 s1, s13, s4
	v_add3_u32 v3, s10, v0, 0xfffff200
	s_wait_kmcnt 0x0
	v_mov_b32_e32 v6, s12
	s_lshl_b64 s[6:7], s[14:15], 2
	s_wait_alu 0xfffe
	s_add_co_i32 s4, s1, s5
	s_add_nc_u64 s[6:7], s[2:3], s[6:7]
	s_add_co_i32 s1, s9, -1
	s_wait_alu 0xfffe
	s_sub_co_i32 s4, s4, 32
.LBB21_3:                               ; =>This Inner Loop Header: Depth=1
	v_ashrrev_i32_e32 v4, 31, v3
	s_wait_alu 0xfffe
	s_ashr_i32 s5, s4, 31
	v_mov_b32_e32 v10, v6
	s_wait_alu 0xfffe
	s_lshl_b64 s[10:11], s[4:5], 3
	s_wait_loadcnt 0x0
	v_mov_b32_e32 v9, v5
	v_lshlrev_b64_e32 v[7:8], 2, v[3:4]
	s_wait_alu 0xfffe
	s_add_nc_u64 s[10:11], s[2:3], s[10:11]
	v_max_num_f32_e64 v4, s0, s0
	s_load_b64 s[10:11], s[10:11], 0x0
	v_add_nc_u32_e32 v3, 0xfffff900, v3
	v_add_co_u32 v7, vcc_lo, s6, v7
	s_wait_alu 0xfffd
	v_add_co_ci_u32_e64 v8, null, s7, v8, vcc_lo
	v_readfirstlane_b32 s5, v4
	global_load_b32 v0, v[7:8], off
	s_wait_kmcnt 0x0
	v_max_num_f32_e64 v4, s10, s10
	s_delay_alu instid0(VALU_DEP_1) | instskip(SKIP_2) | instid1(SALU_CYCLE_2)
	v_readfirstlane_b32 s9, v4
	s_max_num_f32 s5, s5, s9
	s_wait_alu 0xfffe
	s_sub_f32 s0, s0, s5
	s_sub_f32 s9, s10, s5
	s_wait_alu 0xfffe
	s_delay_alu instid0(SALU_CYCLE_1) | instskip(NEXT) | instid1(SALU_CYCLE_1)
	s_mul_f32 s10, s0, 0x3fb8aa3b
	s_mul_f32 s12, s9, 0x3fb8aa3b
	s_wait_alu 0xfffe
	s_delay_alu instid0(SALU_CYCLE_1)
	s_xor_b32 s13, s10, 0x80000000
	s_rndne_f32 s14, s10
	s_wait_alu 0xfffe
	s_fmamk_f32 s13, s0, 0x3fb8aa3b, s13
	s_cmp_nlt_f32 s0, 0xc2ce8ed0
	s_rndne_f32 s15, s12
	s_sub_f32 s10, s10, s14
	s_wait_alu 0xfffe
	s_fmamk_f32 s13, s0, 0x32a5705f, s13
	s_cvt_i32_f32 s14, s14
	s_cselect_b32 vcc_lo, -1, 0
	s_cmp_ngt_f32 s0, 0x42b17218
	s_wait_alu 0xfffe
	s_add_f32 s10, s10, s13
	s_sub_f32 s13, s12, s15
	s_wait_alu 0xfffe
	s_delay_alu instid0(SALU_CYCLE_1) | instskip(SKIP_1) | instid1(TRANS32_DEP_1)
	v_s_exp_f32 s10, s10
	s_wait_alu 0xf1ff
	v_ldexp_f32 v4, s10, s14
	s_cvt_i32_f32 s10, s15
	s_delay_alu instid0(VALU_DEP_1) | instskip(SKIP_3) | instid1(VALU_DEP_1)
	v_cndmask_b32_e32 v4, 0, v4, vcc_lo
	s_cselect_b32 vcc_lo, -1, 0
	s_cmp_ge_f32 s0, 0xc1a00000
	s_wait_alu 0xfffe
	v_cndmask_b32_e32 v4, 0x7f800000, v4, vcc_lo
	s_cselect_b32 vcc_lo, -1, 0
	s_xor_b32 s0, s12, 0x80000000
	s_cmp_nlt_f32 s9, 0xc2ce8ed0
	s_wait_alu 0xfffe
	s_fmamk_f32 s0, s9, 0x3fb8aa3b, s0
	s_wait_alu 0xfffe
	s_delay_alu instid0(SALU_CYCLE_2) | instskip(SKIP_1) | instid1(SALU_CYCLE_2)
	s_fmamk_f32 s0, s9, 0x32a5705f, s0
	s_wait_alu 0xfffe
	s_add_f32 s0, s13, s0
	s_wait_alu 0xfffe
	s_delay_alu instid0(SALU_CYCLE_2) | instskip(SKIP_1) | instid1(TRANS32_DEP_1)
	v_s_exp_f32 s0, s0
	s_wait_alu 0xf1ff
	v_ldexp_f32 v7, s0, s10
	s_cselect_b32 s0, -1, 0
	s_cmp_ngt_f32 s9, 0x42b17218
	s_wait_alu 0xfffe
	s_delay_alu instid0(VALU_DEP_1) | instskip(SKIP_3) | instid1(VALU_DEP_1)
	v_cndmask_b32_e64 v7, 0, v7, s0
	s_cselect_b32 s0, -1, 0
	s_cmp_ge_f32 s9, 0xc1a00000
	s_wait_alu 0xfffe
	v_cndmask_b32_e64 v7, 0x7f800000, v7, s0
	s_cselect_b32 s0, -1, 0
	s_add_co_i32 s1, s1, -1
	s_add_co_i32 s4, s4, -16
	s_wait_alu 0xfffe
	s_cmp_le_i32 s1, s8
	v_cndmask_b32_e64 v7, 0, v7, s0
	s_mov_b32 s0, s5
	s_wait_loadcnt 0x0
	s_delay_alu instid0(VALU_DEP_1) | instskip(NEXT) | instid1(VALU_DEP_1)
	v_dual_mul_f32 v5, v0, v7 :: v_dual_cndmask_b32 v4, 0, v4
	v_dual_mul_f32 v8, s11, v7 :: v_dual_fmac_f32 v5, v9, v4
	s_delay_alu instid0(VALU_DEP_1) | instskip(NEXT) | instid1(VALU_DEP_1)
	v_mov_b32_e32 v6, v8
	v_fmac_f32_e32 v6, v10, v4
	s_cbranch_scc0 .LBB21_3
	s_branch .LBB21_5
.LBB21_4:
	s_wait_kmcnt 0x0
	v_mov_b32_e32 v6, s12
.LBB21_5:
	s_wait_loadcnt 0x0
	s_delay_alu instid0(VALU_DEP_1) | instskip(NEXT) | instid1(VALU_DEP_1)
	v_div_scale_f32 v0, null, v6, v6, v5
	v_rcp_f32_e32 v3, v0
	s_delay_alu instid0(TRANS32_DEP_1) | instskip(NEXT) | instid1(VALU_DEP_1)
	v_fma_f32 v4, -v0, v3, 1.0
	v_fmac_f32_e32 v3, v4, v3
	v_div_scale_f32 v4, vcc_lo, v5, v6, v5
	s_delay_alu instid0(VALU_DEP_1) | instskip(NEXT) | instid1(VALU_DEP_1)
	v_mul_f32_e32 v7, v4, v3
	v_fma_f32 v8, -v0, v7, v4
	s_delay_alu instid0(VALU_DEP_1) | instskip(NEXT) | instid1(VALU_DEP_1)
	v_fmac_f32_e32 v7, v8, v3
	v_fma_f32 v0, -v0, v7, v4
	s_wait_alu 0xfffd
	s_delay_alu instid0(VALU_DEP_1) | instskip(NEXT) | instid1(VALU_DEP_1)
	v_div_fmas_f32 v0, v0, v3, v7
	v_div_fixup_f32 v0, v0, v6, v5
	global_store_b32 v[1:2], v0, off
.LBB21_6:
	s_endpgm
	.section	.rodata,"a",@progbits
	.p2align	6, 0x0
	.amdhsa_kernel _ZL33flash_attn_stream_k_fixup_uniformILi112ELi8ELi2EEvPfPK15HIP_vector_typeIfLj2EEiiiiiiS1_IjLj3EES5_S5_
		.amdhsa_group_segment_fixed_size 0
		.amdhsa_private_segment_fixed_size 0
		.amdhsa_kernarg_size 76
		.amdhsa_user_sgpr_count 2
		.amdhsa_user_sgpr_dispatch_ptr 0
		.amdhsa_user_sgpr_queue_ptr 0
		.amdhsa_user_sgpr_kernarg_segment_ptr 1
		.amdhsa_user_sgpr_dispatch_id 0
		.amdhsa_user_sgpr_private_segment_size 0
		.amdhsa_wavefront_size32 1
		.amdhsa_uses_dynamic_stack 0
		.amdhsa_enable_private_segment 0
		.amdhsa_system_sgpr_workgroup_id_x 1
		.amdhsa_system_sgpr_workgroup_id_y 1
		.amdhsa_system_sgpr_workgroup_id_z 1
		.amdhsa_system_sgpr_workgroup_info 0
		.amdhsa_system_vgpr_workitem_id 0
		.amdhsa_next_free_vgpr 11
		.amdhsa_next_free_sgpr 16
		.amdhsa_reserve_vcc 1
		.amdhsa_float_round_mode_32 0
		.amdhsa_float_round_mode_16_64 0
		.amdhsa_float_denorm_mode_32 3
		.amdhsa_float_denorm_mode_16_64 3
		.amdhsa_fp16_overflow 0
		.amdhsa_workgroup_processor_mode 1
		.amdhsa_memory_ordered 1
		.amdhsa_forward_progress 1
		.amdhsa_inst_pref_size 9
		.amdhsa_round_robin_scheduling 0
		.amdhsa_exception_fp_ieee_invalid_op 0
		.amdhsa_exception_fp_denorm_src 0
		.amdhsa_exception_fp_ieee_div_zero 0
		.amdhsa_exception_fp_ieee_overflow 0
		.amdhsa_exception_fp_ieee_underflow 0
		.amdhsa_exception_fp_ieee_inexact 0
		.amdhsa_exception_int_div_zero 0
	.end_amdhsa_kernel
	.section	.text._ZL33flash_attn_stream_k_fixup_uniformILi112ELi8ELi2EEvPfPK15HIP_vector_typeIfLj2EEiiiiiiS1_IjLj3EES5_S5_,"axG",@progbits,_ZL33flash_attn_stream_k_fixup_uniformILi112ELi8ELi2EEvPfPK15HIP_vector_typeIfLj2EEiiiiiiS1_IjLj3EES5_S5_,comdat
.Lfunc_end21:
	.size	_ZL33flash_attn_stream_k_fixup_uniformILi112ELi8ELi2EEvPfPK15HIP_vector_typeIfLj2EEiiiiiiS1_IjLj3EES5_S5_, .Lfunc_end21-_ZL33flash_attn_stream_k_fixup_uniformILi112ELi8ELi2EEvPfPK15HIP_vector_typeIfLj2EEiiiiiiS1_IjLj3EES5_S5_
                                        ; -- End function
	.set _ZL33flash_attn_stream_k_fixup_uniformILi112ELi8ELi2EEvPfPK15HIP_vector_typeIfLj2EEiiiiiiS1_IjLj3EES5_S5_.num_vgpr, 11
	.set _ZL33flash_attn_stream_k_fixup_uniformILi112ELi8ELi2EEvPfPK15HIP_vector_typeIfLj2EEiiiiiiS1_IjLj3EES5_S5_.num_agpr, 0
	.set _ZL33flash_attn_stream_k_fixup_uniformILi112ELi8ELi2EEvPfPK15HIP_vector_typeIfLj2EEiiiiiiS1_IjLj3EES5_S5_.numbered_sgpr, 16
	.set _ZL33flash_attn_stream_k_fixup_uniformILi112ELi8ELi2EEvPfPK15HIP_vector_typeIfLj2EEiiiiiiS1_IjLj3EES5_S5_.num_named_barrier, 0
	.set _ZL33flash_attn_stream_k_fixup_uniformILi112ELi8ELi2EEvPfPK15HIP_vector_typeIfLj2EEiiiiiiS1_IjLj3EES5_S5_.private_seg_size, 0
	.set _ZL33flash_attn_stream_k_fixup_uniformILi112ELi8ELi2EEvPfPK15HIP_vector_typeIfLj2EEiiiiiiS1_IjLj3EES5_S5_.uses_vcc, 1
	.set _ZL33flash_attn_stream_k_fixup_uniformILi112ELi8ELi2EEvPfPK15HIP_vector_typeIfLj2EEiiiiiiS1_IjLj3EES5_S5_.uses_flat_scratch, 0
	.set _ZL33flash_attn_stream_k_fixup_uniformILi112ELi8ELi2EEvPfPK15HIP_vector_typeIfLj2EEiiiiiiS1_IjLj3EES5_S5_.has_dyn_sized_stack, 0
	.set _ZL33flash_attn_stream_k_fixup_uniformILi112ELi8ELi2EEvPfPK15HIP_vector_typeIfLj2EEiiiiiiS1_IjLj3EES5_S5_.has_recursion, 0
	.set _ZL33flash_attn_stream_k_fixup_uniformILi112ELi8ELi2EEvPfPK15HIP_vector_typeIfLj2EEiiiiiiS1_IjLj3EES5_S5_.has_indirect_call, 0
	.section	.AMDGPU.csdata,"",@progbits
; Kernel info:
; codeLenInByte = 1148
; TotalNumSgprs: 18
; NumVgprs: 11
; ScratchSize: 0
; MemoryBound: 0
; FloatMode: 240
; IeeeMode: 1
; LDSByteSize: 0 bytes/workgroup (compile time only)
; SGPRBlocks: 0
; VGPRBlocks: 1
; NumSGPRsForWavesPerEU: 18
; NumVGPRsForWavesPerEU: 11
; Occupancy: 16
; WaveLimiterHint : 0
; COMPUTE_PGM_RSRC2:SCRATCH_EN: 0
; COMPUTE_PGM_RSRC2:USER_SGPR: 2
; COMPUTE_PGM_RSRC2:TRAP_HANDLER: 0
; COMPUTE_PGM_RSRC2:TGID_X_EN: 1
; COMPUTE_PGM_RSRC2:TGID_Y_EN: 1
; COMPUTE_PGM_RSRC2:TGID_Z_EN: 1
; COMPUTE_PGM_RSRC2:TIDIG_COMP_CNT: 0
	.section	.text._ZL33flash_attn_stream_k_fixup_generalILi112ELi8ELi2EEvPfPK15HIP_vector_typeIfLj2EEiiiiS1_IjLj3EES5_S5_S5_,"axG",@progbits,_ZL33flash_attn_stream_k_fixup_generalILi112ELi8ELi2EEvPfPK15HIP_vector_typeIfLj2EEiiiiS1_IjLj3EES5_S5_S5_,comdat
	.globl	_ZL33flash_attn_stream_k_fixup_generalILi112ELi8ELi2EEvPfPK15HIP_vector_typeIfLj2EEiiiiS1_IjLj3EES5_S5_S5_ ; -- Begin function _ZL33flash_attn_stream_k_fixup_generalILi112ELi8ELi2EEvPfPK15HIP_vector_typeIfLj2EEiiiiS1_IjLj3EES5_S5_S5_
	.p2align	8
	.type	_ZL33flash_attn_stream_k_fixup_generalILi112ELi8ELi2EEvPfPK15HIP_vector_typeIfLj2EEiiiiS1_IjLj3EES5_S5_S5_,@function
_ZL33flash_attn_stream_k_fixup_generalILi112ELi8ELi2EEvPfPK15HIP_vector_typeIfLj2EEiiiiS1_IjLj3EES5_S5_S5_: ; @_ZL33flash_attn_stream_k_fixup_generalILi112ELi8ELi2EEvPfPK15HIP_vector_typeIfLj2EEiiiiS1_IjLj3EES5_S5_S5_
; %bb.0:
	s_clause 0x1
	s_load_b128 s[4:7], s[0:1], 0x10
	s_load_b32 s16, s[0:1], 0x50
	s_mov_b32 s2, ttmp9
	s_ashr_i32 s3, ttmp9, 31
	s_mov_b32 s17, 0
	s_delay_alu instid0(SALU_CYCLE_1) | instskip(SKIP_3) | instid1(SALU_CYCLE_1)
	s_mov_b32 s8, s17
	s_wait_kmcnt 0x0
	s_ashr_i32 s19, s7, 31
	s_mov_b32 s18, s7
	s_mul_u64 s[2:3], s[18:19], s[2:3]
	s_delay_alu instid0(SALU_CYCLE_1) | instskip(NEXT) | instid1(SALU_CYCLE_1)
	s_mov_b32 s9, s3
	s_cmp_lg_u64 s[8:9], 0
	s_cbranch_scc0 .LBB22_21
; %bb.1:
	s_add_nc_u64 s[8:9], s[16:17], 0
	s_mov_b32 s15, s17
	s_xor_b64 s[8:9], s[8:9], 0
	s_mov_b32 s23, s17
	s_cvt_f32_u32 s7, s8
	s_cvt_f32_u32 s10, s9
	s_sub_nc_u64 s[12:13], 0, s[8:9]
	s_delay_alu instid0(SALU_CYCLE_2) | instskip(NEXT) | instid1(SALU_CYCLE_3)
	s_fmamk_f32 s7, s10, 0x4f800000, s7
	v_s_rcp_f32 s7, s7
	s_delay_alu instid0(TRANS32_DEP_1) | instskip(SKIP_1) | instid1(SALU_CYCLE_2)
	s_mul_f32 s7, s7, 0x5f7ffffc
	s_wait_alu 0xfffe
	s_mul_f32 s10, s7, 0x2f800000
	s_delay_alu instid0(SALU_CYCLE_3) | instskip(NEXT) | instid1(SALU_CYCLE_3)
	s_trunc_f32 s10, s10
	s_fmamk_f32 s7, s10, 0xcf800000, s7
	s_cvt_u32_f32 s11, s10
	s_wait_alu 0xfffe
	s_delay_alu instid0(SALU_CYCLE_1) | instskip(NEXT) | instid1(SALU_CYCLE_3)
	s_cvt_u32_f32 s10, s7
	s_mul_u64 s[20:21], s[12:13], s[10:11]
	s_delay_alu instid0(SALU_CYCLE_1)
	s_mul_hi_u32 s25, s10, s21
	s_mul_i32 s24, s10, s21
	s_mul_hi_u32 s14, s10, s20
	s_mul_i32 s22, s11, s20
	s_add_nc_u64 s[14:15], s[14:15], s[24:25]
	s_mul_hi_u32 s7, s11, s20
	s_mul_hi_u32 s26, s11, s21
	s_add_co_u32 s14, s14, s22
	s_wait_alu 0xfffe
	s_add_co_ci_u32 s22, s15, s7
	s_mul_i32 s20, s11, s21
	s_add_co_ci_u32 s21, s26, 0
	s_delay_alu instid0(SALU_CYCLE_1)
	s_add_nc_u64 s[14:15], s[22:23], s[20:21]
	s_mov_b32 s21, s17
	s_add_co_u32 s10, s10, s14
	s_cselect_b32 s7, -1, 0
	s_wait_alu 0xfffe
	s_cmp_lg_u32 s7, 0
	s_add_co_ci_u32 s11, s11, s15
	s_mov_b32 s15, s17
	s_mul_u64 s[12:13], s[12:13], s[10:11]
	s_delay_alu instid0(SALU_CYCLE_1)
	s_mul_hi_u32 s23, s10, s13
	s_mul_i32 s22, s10, s13
	s_mul_hi_u32 s14, s10, s12
	s_mul_i32 s20, s11, s12
	s_add_nc_u64 s[14:15], s[14:15], s[22:23]
	s_mul_hi_u32 s7, s11, s12
	s_mul_hi_u32 s24, s11, s13
	s_mul_i32 s12, s11, s13
	s_add_co_u32 s13, s14, s20
	s_wait_alu 0xfffe
	s_add_co_ci_u32 s20, s15, s7
	s_add_co_ci_u32 s13, s24, 0
	s_mov_b32 s15, s17
	s_add_nc_u64 s[12:13], s[20:21], s[12:13]
	s_delay_alu instid0(SALU_CYCLE_1) | instskip(SKIP_1) | instid1(SALU_CYCLE_1)
	s_add_co_u32 s7, s10, s12
	s_cselect_b32 s10, -1, 0
	s_cmp_lg_u32 s10, 0
	s_add_co_ci_u32 s20, s11, s13
	s_ashr_i32 s10, s3, 31
	s_delay_alu instid0(SALU_CYCLE_1) | instskip(NEXT) | instid1(SALU_CYCLE_1)
	s_mov_b32 s11, s10
	s_add_nc_u64 s[12:13], s[2:3], s[10:11]
	s_delay_alu instid0(SALU_CYCLE_1) | instskip(NEXT) | instid1(SALU_CYCLE_1)
	s_xor_b64 s[12:13], s[12:13], s[10:11]
	s_mul_hi_u32 s23, s12, s20
	s_mul_i32 s22, s12, s20
	s_wait_alu 0xfffe
	s_mul_hi_u32 s14, s12, s7
	s_mul_hi_u32 s24, s13, s7
	s_mul_i32 s7, s13, s7
	s_add_nc_u64 s[14:15], s[14:15], s[22:23]
	s_mul_hi_u32 s3, s13, s20
	s_wait_alu 0xfffe
	s_add_co_u32 s7, s14, s7
	s_mul_i32 s22, s13, s20
	s_add_co_ci_u32 s20, s15, s24
	s_add_co_ci_u32 s23, s3, 0
	s_delay_alu instid0(SALU_CYCLE_1) | instskip(NEXT) | instid1(SALU_CYCLE_1)
	s_add_nc_u64 s[14:15], s[20:21], s[22:23]
	s_mul_u64 s[20:21], s[8:9], s[14:15]
	s_delay_alu instid0(SALU_CYCLE_1)
	s_sub_co_u32 s3, s12, s20
	s_cselect_b32 s7, -1, 0
	s_sub_co_i32 s12, s13, s21
	s_wait_alu 0xfffe
	s_cmp_lg_u32 s7, 0
	s_sub_co_ci_u32 s12, s12, s9
	s_sub_co_u32 s20, s3, s8
	s_cselect_b32 s22, -1, 0
	s_delay_alu instid0(SALU_CYCLE_1) | instskip(SKIP_2) | instid1(SALU_CYCLE_1)
	s_cmp_lg_u32 s22, 0
	s_add_nc_u64 s[22:23], s[14:15], 1
	s_sub_co_ci_u32 s12, s12, 0
	s_cmp_ge_u32 s12, s9
	s_cselect_b32 s24, -1, 0
	s_cmp_ge_u32 s20, s8
	s_cselect_b32 s20, -1, 0
	s_cmp_eq_u32 s12, s9
	s_cselect_b32 s12, s20, s24
	s_add_nc_u64 s[24:25], s[14:15], 2
	s_cmp_lg_u32 s12, 0
	s_cselect_b32 s12, s24, s22
	s_cselect_b32 s20, s25, s23
	s_cmp_lg_u32 s7, 0
	s_sub_co_ci_u32 s7, s13, s21
	s_wait_alu 0xfffe
	s_cmp_ge_u32 s7, s9
	s_cselect_b32 s13, -1, 0
	s_cmp_ge_u32 s3, s8
	s_cselect_b32 s3, -1, 0
	s_cmp_eq_u32 s7, s9
	s_cselect_b32 s3, s3, s13
	s_delay_alu instid0(SALU_CYCLE_1) | instskip(SKIP_4) | instid1(SALU_CYCLE_1)
	s_cmp_lg_u32 s3, 0
	s_mov_b32 s3, s17
	s_cselect_b32 s9, s20, s15
	s_cselect_b32 s8, s12, s14
	s_xor_b64 s[10:11], s[10:11], 0
	s_xor_b64 s[8:9], s[8:9], s[10:11]
	s_delay_alu instid0(SALU_CYCLE_1)
	s_sub_nc_u64 s[20:21], s[8:9], s[10:11]
	s_and_not1_b32 vcc_lo, exec_lo, s3
	s_cbranch_vccnz .LBB22_3
.LBB22_2:
	v_cvt_f32_u32_e32 v1, s16
	s_sub_co_i32 s7, 0, s16
	s_delay_alu instid0(VALU_DEP_1) | instskip(NEXT) | instid1(TRANS32_DEP_1)
	v_rcp_iflag_f32_e32 v1, v1
	v_mul_f32_e32 v1, 0x4f7ffffe, v1
	s_delay_alu instid0(VALU_DEP_1) | instskip(NEXT) | instid1(VALU_DEP_1)
	v_cvt_u32_f32_e32 v1, v1
	v_readfirstlane_b32 s3, v1
	s_wait_alu 0xfffe
	s_mul_i32 s7, s7, s3
	s_wait_alu 0xfffe
	s_mul_hi_u32 s7, s3, s7
	s_wait_alu 0xfffe
	s_add_co_i32 s3, s3, s7
	s_delay_alu instid0(SALU_CYCLE_1) | instskip(NEXT) | instid1(SALU_CYCLE_1)
	s_mul_hi_u32 s3, s2, s3
	s_mul_i32 s7, s3, s16
	s_wait_alu 0xfffe
	s_sub_co_i32 s2, s2, s7
	s_add_co_i32 s7, s3, 1
	s_sub_co_i32 s8, s2, s16
	s_cmp_ge_u32 s2, s16
	s_wait_alu 0xfffe
	s_cselect_b32 s3, s7, s3
	s_cselect_b32 s2, s8, s2
	s_add_co_i32 s7, s3, 1
	s_cmp_ge_u32 s2, s16
	s_wait_alu 0xfffe
	s_cselect_b32 s20, s7, s3
.LBB22_3:
	s_add_co_i32 s2, ttmp9, 1
	s_mov_b32 s8, 0
	s_ashr_i32 s3, s2, 31
	s_delay_alu instid0(SALU_CYCLE_1) | instskip(NEXT) | instid1(SALU_CYCLE_1)
	s_mul_u64 s[2:3], s[18:19], s[2:3]
	s_mov_b32 s9, s3
	s_delay_alu instid0(SALU_CYCLE_1)
	s_cmp_lg_u64 s[8:9], 0
	s_cbranch_scc0 .LBB22_22
; %bb.4:
	s_add_nc_u64 s[10:11], s[16:17], 0
	s_mov_b32 s23, s8
	s_xor_b64 s[10:11], s[10:11], 0
	s_mov_b32 s27, s8
	s_cvt_f32_u32 s7, s10
	s_cvt_f32_u32 s9, s11
	s_sub_nc_u64 s[14:15], 0, s[10:11]
	s_wait_alu 0xfffe
	s_delay_alu instid0(SALU_CYCLE_1) | instskip(SKIP_1) | instid1(SALU_CYCLE_2)
	s_fmamk_f32 s7, s9, 0x4f800000, s7
	s_wait_alu 0xfffe
	v_s_rcp_f32 s7, s7
	s_delay_alu instid0(TRANS32_DEP_1) | instskip(SKIP_1) | instid1(SALU_CYCLE_2)
	s_mul_f32 s7, s7, 0x5f7ffffc
	s_wait_alu 0xfffe
	s_mul_f32 s9, s7, 0x2f800000
	s_delay_alu instid0(SALU_CYCLE_3) | instskip(NEXT) | instid1(SALU_CYCLE_3)
	s_trunc_f32 s9, s9
	s_fmamk_f32 s7, s9, 0xcf800000, s7
	s_cvt_u32_f32 s13, s9
	s_wait_alu 0xfffe
	s_delay_alu instid0(SALU_CYCLE_1) | instskip(NEXT) | instid1(SALU_CYCLE_3)
	s_cvt_u32_f32 s12, s7
	s_mul_u64 s[24:25], s[14:15], s[12:13]
	s_delay_alu instid0(SALU_CYCLE_1)
	s_mul_hi_u32 s29, s12, s25
	s_mul_i32 s28, s12, s25
	s_mul_hi_u32 s22, s12, s24
	s_mul_i32 s9, s13, s24
	s_add_nc_u64 s[22:23], s[22:23], s[28:29]
	s_mul_hi_u32 s7, s13, s24
	s_mul_hi_u32 s21, s13, s25
	s_add_co_u32 s9, s22, s9
	s_wait_alu 0xfffe
	s_add_co_ci_u32 s26, s23, s7
	s_mul_i32 s24, s13, s25
	s_add_co_ci_u32 s25, s21, 0
	s_delay_alu instid0(SALU_CYCLE_1)
	s_add_nc_u64 s[22:23], s[26:27], s[24:25]
	s_mov_b32 s25, s8
	s_add_co_u32 s12, s12, s22
	s_cselect_b32 s7, -1, 0
	s_wait_alu 0xfffe
	s_cmp_lg_u32 s7, 0
	s_add_co_ci_u32 s13, s13, s23
	s_mov_b32 s23, s8
	s_mul_u64 s[14:15], s[14:15], s[12:13]
	s_delay_alu instid0(SALU_CYCLE_1)
	s_mul_hi_u32 s27, s12, s15
	s_mul_i32 s26, s12, s15
	s_mul_hi_u32 s22, s12, s14
	s_mul_i32 s9, s13, s14
	s_add_nc_u64 s[22:23], s[22:23], s[26:27]
	s_mul_hi_u32 s7, s13, s14
	s_mul_hi_u32 s21, s13, s15
	s_add_co_u32 s9, s22, s9
	s_wait_alu 0xfffe
	s_add_co_ci_u32 s24, s23, s7
	s_mul_i32 s14, s13, s15
	s_add_co_ci_u32 s15, s21, 0
	s_mov_b32 s23, s8
	s_add_nc_u64 s[14:15], s[24:25], s[14:15]
	s_delay_alu instid0(SALU_CYCLE_1) | instskip(SKIP_1) | instid1(SALU_CYCLE_1)
	s_add_co_u32 s7, s12, s14
	s_cselect_b32 s9, -1, 0
	s_cmp_lg_u32 s9, 0
	s_add_co_ci_u32 s9, s13, s15
	s_ashr_i32 s12, s3, 31
	s_delay_alu instid0(SALU_CYCLE_1) | instskip(NEXT) | instid1(SALU_CYCLE_1)
	s_mov_b32 s13, s12
	s_add_nc_u64 s[14:15], s[2:3], s[12:13]
	s_delay_alu instid0(SALU_CYCLE_1) | instskip(NEXT) | instid1(SALU_CYCLE_1)
	s_xor_b64 s[14:15], s[14:15], s[12:13]
	s_mul_hi_u32 s27, s14, s9
	s_mul_i32 s26, s14, s9
	s_wait_alu 0xfffe
	s_mul_hi_u32 s22, s14, s7
	s_mul_hi_u32 s21, s15, s7
	s_mul_i32 s7, s15, s7
	s_add_nc_u64 s[22:23], s[22:23], s[26:27]
	s_mul_hi_u32 s3, s15, s9
	s_wait_alu 0xfffe
	s_add_co_u32 s7, s22, s7
	s_add_co_ci_u32 s24, s23, s21
	s_mul_i32 s26, s15, s9
	s_add_co_ci_u32 s27, s3, 0
	s_delay_alu instid0(SALU_CYCLE_1) | instskip(NEXT) | instid1(SALU_CYCLE_1)
	s_add_nc_u64 s[22:23], s[24:25], s[26:27]
	s_mul_u64 s[24:25], s[10:11], s[22:23]
	s_add_nc_u64 s[26:27], s[22:23], 1
	s_sub_co_u32 s3, s14, s24
	s_cselect_b32 s7, -1, 0
	s_sub_co_i32 s9, s15, s25
	s_wait_alu 0xfffe
	s_cmp_lg_u32 s7, 0
	s_add_nc_u64 s[28:29], s[22:23], 2
	s_sub_co_ci_u32 s9, s9, s11
	s_sub_co_u32 s14, s3, s10
	s_cselect_b32 s21, -1, 0
	s_delay_alu instid0(SALU_CYCLE_1) | instskip(SKIP_1) | instid1(SALU_CYCLE_1)
	s_cmp_lg_u32 s21, 0
	s_sub_co_ci_u32 s9, s9, 0
	s_cmp_ge_u32 s9, s11
	s_cselect_b32 s21, -1, 0
	s_cmp_ge_u32 s14, s10
	s_cselect_b32 s14, -1, 0
	s_cmp_eq_u32 s9, s11
	s_cselect_b32 s9, s14, s21
	s_delay_alu instid0(SALU_CYCLE_1)
	s_cmp_lg_u32 s9, 0
	s_cselect_b32 s9, s28, s26
	s_cselect_b32 s14, s29, s27
	s_cmp_lg_u32 s7, 0
	s_sub_co_ci_u32 s7, s15, s25
	s_wait_alu 0xfffe
	s_cmp_ge_u32 s7, s11
	s_cselect_b32 s15, -1, 0
	s_cmp_ge_u32 s3, s10
	s_cselect_b32 s3, -1, 0
	s_cmp_eq_u32 s7, s11
	s_cselect_b32 s3, s3, s15
	s_delay_alu instid0(SALU_CYCLE_1) | instskip(SKIP_3) | instid1(SALU_CYCLE_1)
	s_cmp_lg_u32 s3, 0
	s_cselect_b32 s11, s14, s23
	s_cselect_b32 s10, s9, s22
	s_xor_b64 s[12:13], s[12:13], 0
	s_xor_b64 s[10:11], s[10:11], s[12:13]
	s_delay_alu instid0(SALU_CYCLE_1)
	s_sub_nc_u64 s[10:11], s[10:11], s[12:13]
	s_load_b96 s[12:14], s[0:1], 0x44
	s_and_not1_b32 vcc_lo, exec_lo, s8
	s_cbranch_vccnz .LBB22_6
.LBB22_5:
	v_cvt_f32_u32_e32 v1, s16
	s_sub_co_i32 s7, 0, s16
	s_delay_alu instid0(VALU_DEP_1) | instskip(NEXT) | instid1(TRANS32_DEP_1)
	v_rcp_iflag_f32_e32 v1, v1
	v_mul_f32_e32 v1, 0x4f7ffffe, v1
	s_delay_alu instid0(VALU_DEP_1) | instskip(NEXT) | instid1(VALU_DEP_1)
	v_cvt_u32_f32_e32 v1, v1
	v_readfirstlane_b32 s3, v1
	s_wait_alu 0xfffe
	s_mul_i32 s7, s7, s3
	s_wait_alu 0xfffe
	s_mul_hi_u32 s7, s3, s7
	s_wait_alu 0xfffe
	s_add_co_i32 s3, s3, s7
	s_delay_alu instid0(SALU_CYCLE_1) | instskip(NEXT) | instid1(SALU_CYCLE_1)
	s_mul_hi_u32 s3, s2, s3
	s_mul_i32 s7, s3, s16
	s_wait_alu 0xfffe
	s_sub_co_i32 s2, s2, s7
	s_add_co_i32 s7, s3, 1
	s_sub_co_i32 s8, s2, s16
	s_cmp_ge_u32 s2, s16
	s_wait_alu 0xfffe
	s_cselect_b32 s3, s7, s3
	s_cselect_b32 s2, s8, s2
	s_add_co_i32 s7, s3, 1
	s_cmp_ge_u32 s2, s16
	s_wait_alu 0xfffe
	s_cselect_b32 s10, s7, s3
.LBB22_6:
	s_mov_b32 s21, 0
	s_wait_kmcnt 0x0
	s_mov_b32 s22, s12
	s_mov_b32 s23, s21
	s_cmp_eq_u32 s20, s10
	s_mul_u64 s[2:3], s[20:21], s[22:23]
	s_cselect_b32 s7, -1, 0
	s_add_co_i32 s2, s3, s20
	s_mov_b32 s11, s21
	s_lshr_b32 s12, s2, s13
	s_mul_u64 s[2:3], s[10:11], s[22:23]
	s_mul_i32 s2, s12, s14
	s_delay_alu instid0(SALU_CYCLE_1) | instskip(SKIP_2) | instid1(SALU_CYCLE_1)
	s_cmp_eq_u32 s2, s20
	s_cselect_b32 s2, -1, 0
	s_add_co_i32 s3, s3, s10
	s_lshr_b32 s3, s3, s13
	s_delay_alu instid0(SALU_CYCLE_1)
	s_cmp_eq_u32 s12, s3
	s_mul_i32 s3, s3, s14
	s_cselect_b32 s8, -1, 0
	s_cmp_lg_u32 s3, s10
	s_cselect_b32 s3, -1, 0
	s_wait_alu 0xfffe
	s_or_b32 s2, s7, s2
	s_and_b32 s3, s8, s3
	s_delay_alu instid0(SALU_CYCLE_1) | instskip(NEXT) | instid1(SALU_CYCLE_1)
	s_or_b32 s2, s2, s3
	s_and_b32 vcc_lo, exec_lo, s2
	s_cbranch_vccnz .LBB22_24
; %bb.7:
	s_load_b256 s[24:31], s[0:1], 0x20
	s_mov_b32 s3, s21
	s_wait_kmcnt 0x0
	s_mov_b32 s2, s24
	s_delay_alu instid0(SALU_CYCLE_1) | instskip(NEXT) | instid1(SALU_CYCLE_1)
	s_mul_u64 s[2:3], s[20:21], s[2:3]
	s_add_co_i32 s2, s3, s20
	s_delay_alu instid0(SALU_CYCLE_1) | instskip(SKIP_2) | instid1(SALU_CYCLE_1)
	s_lshr_b32 s7, s2, s25
	s_load_b32 s2, s[0:1], 0x40
	s_mul_i32 s3, s7, s26
	s_sub_co_i32 s3, s20, s3
	s_delay_alu instid0(SALU_CYCLE_1) | instskip(NEXT) | instid1(SALU_CYCLE_1)
	s_mul_hi_u32 s8, s3, s27
	s_add_co_i32 s8, s3, s8
	s_delay_alu instid0(SALU_CYCLE_1) | instskip(NEXT) | instid1(SALU_CYCLE_1)
	s_lshr_b32 s15, s8, s28
	s_mul_i32 s8, s15, s29
	s_delay_alu instid0(SALU_CYCLE_1) | instskip(NEXT) | instid1(SALU_CYCLE_1)
	s_sub_co_i32 s8, s3, s8
	s_mul_hi_u32 s3, s8, s30
	s_delay_alu instid0(SALU_CYCLE_1) | instskip(NEXT) | instid1(SALU_CYCLE_1)
	s_add_co_i32 s3, s8, s3
	s_lshr_b32 s10, s3, s31
	s_mov_b32 s3, s21
	s_wait_kmcnt 0x0
	s_mul_i32 s2, s10, s2
	s_lshl_b32 s24, s10, 1
	s_sub_co_i32 s2, s8, s2
	s_delay_alu instid0(SALU_CYCLE_1) | instskip(SKIP_2) | instid1(SALU_CYCLE_1)
	s_mul_u64 s[8:9], s[2:3], s[22:23]
	s_lshr_b32 s3, ttmp7, 16
	s_add_co_i32 s2, s2, s9
	s_lshr_b32 s21, s2, s13
	s_and_b32 s2, ttmp7, 0xffff
	s_lshl_b32 s8, s21, 3
	s_delay_alu instid0(SALU_CYCLE_1) | instskip(NEXT) | instid1(SALU_CYCLE_1)
	s_add_co_i32 s8, s8, s2
	s_cmp_lt_i32 s8, s4
	s_cselect_b32 s8, -1, 0
	s_add_co_i32 s24, s24, s3
	s_delay_alu instid0(SALU_CYCLE_1) | instskip(SKIP_1) | instid1(SALU_CYCLE_1)
	s_cmp_lt_i32 s24, s6
	s_cselect_b32 s9, -1, 0
	s_and_b32 s8, s8, s9
	s_delay_alu instid0(SALU_CYCLE_1)
	s_and_not1_b32 vcc_lo, exec_lo, s8
	s_cbranch_vccnz .LBB22_24
; %bb.8:
	s_mul_i32 s4, s7, s4
	s_load_b128 s[8:11], s[0:1], 0x0
	s_add_co_i32 s0, s4, s2
	s_mul_i32 s15, s15, s6
	s_mul_i32 s0, s0, s5
	s_add_co_i32 s1, s24, s15
	s_mul_i32 s4, s5, s21
	s_add_co_i32 s0, s1, s0
	s_mulk_i32 s4, 0x380
	s_mulk_i32 s0, 0x70
	s_lshl_b32 s15, s2, 1
	v_add3_u32 v1, s4, s0, v0
	s_add_nc_u64 s[0:1], s[16:17], 0
	s_add_co_i32 s15, s15, s3
	s_wait_alu 0xfffe
	s_xor_b64 s[6:7], s[0:1], 0
	s_lshl_b32 s0, ttmp9, 4
	v_ashrrev_i32_e32 v2, 31, v1
	s_wait_alu 0xfffe
	s_cvt_f32_u32 s1, s6
	s_cvt_f32_u32 s2, s7
	s_add_co_i32 s0, s15, s0
	v_cvt_f32_u32_e32 v3, s16
	v_lshlrev_b64_e32 v[1:2], 2, v[1:2]
	s_wait_alu 0xfffe
	s_fmamk_f32 s2, s2, 0x4f800000, s1
	s_ashr_i32 s1, s0, 31
	s_add_co_i32 s34, ttmp9, -1
	s_wait_alu 0xfffe
	s_lshl_b64 s[0:1], s[0:1], 3
	v_s_rcp_f32 s2, s2
	s_wait_kmcnt 0x0
	v_add_co_u32 v1, vcc_lo, s8, v1
	s_delay_alu instid0(VALU_DEP_1)
	v_add_co_ci_u32_e64 v2, null, s9, v2, vcc_lo
	s_wait_alu 0xfffe
	s_add_nc_u64 s[0:1], s[10:11], s[0:1]
	v_rcp_iflag_f32_e32 v3, v3
	s_load_b64 s[26:27], s[0:1], 0x0
	global_load_b32 v5, v[1:2], off
	s_mul_f32 s2, s2, 0x5f7ffffc
	s_mov_b32 s8, 0
	s_lshl_b32 s0, s16, 6
	s_wait_alu 0xfffe
	s_mov_b32 s1, s8
	s_mul_f32 s3, s2, 0x2f800000
	s_wait_alu 0xfffe
	s_lshl_b64 s[0:1], s[0:1], 2
	s_sub_nc_u64 s[30:31], 0, s[6:7]
	v_mul_f32_e32 v6, 0x4f7ffffe, v3
	s_trunc_f32 s3, s3
	s_wait_alu 0xfffe
	s_add_nc_u64 s[24:25], s[10:11], s[0:1]
	v_mad_co_u64_u32 v[3:4], null, 0x70, s15, v[0:1]
	s_fmamk_f32 s0, s3, 0xcf800000, s2
	v_cvt_u32_f32_e32 v0, v6
	s_cvt_u32_f32 s29, s3
	s_wait_alu 0xfffe
	s_cvt_u32_f32 s28, s0
	s_wait_kmcnt 0x0
	v_mov_b32_e32 v4, s27
.LBB22_9:                               ; =>This Inner Loop Header: Depth=1
	s_wait_alu 0xfffe
	s_ashr_i32 s35, s34, 31
	s_mov_b32 s2, -1
	s_wait_alu 0xfffe
	s_mul_u64 s[0:1], s[34:35], s[18:19]
                                        ; implicit-def: $sgpr38_sgpr39
	s_wait_alu 0xfffe
	s_mov_b32 s9, s1
	s_wait_alu 0xfffe
	s_cmp_lg_u64 s[8:9], 0
	s_cbranch_scc0 .LBB22_11
; %bb.10:                               ;   in Loop: Header=BB22_9 Depth=1
	s_mul_u64 s[2:3], s[30:31], s[28:29]
	s_mov_b32 s37, s8
	s_wait_alu 0xfffe
	s_mul_hi_u32 s5, s28, s3
	s_mul_i32 s4, s28, s3
	s_mul_hi_u32 s36, s28, s2
	s_mul_hi_u32 s9, s29, s2
	s_wait_alu 0xfffe
	s_add_nc_u64 s[4:5], s[36:37], s[4:5]
	s_mul_i32 s2, s29, s2
	s_mul_hi_u32 s17, s29, s3
	s_wait_alu 0xfffe
	s_add_co_u32 s2, s4, s2
	s_add_co_ci_u32 s2, s5, s9
	s_add_co_ci_u32 s5, s17, 0
	s_mul_i32 s4, s29, s3
	s_mov_b32 s3, s8
	s_mov_b32 s39, s8
	s_wait_alu 0xfffe
	s_add_nc_u64 s[2:3], s[2:3], s[4:5]
	s_wait_alu 0xfffe
	s_add_co_u32 s2, s28, s2
	s_cselect_b32 s4, -1, 0
	s_wait_alu 0xfffe
	s_cmp_lg_u32 s4, 0
	s_add_co_ci_u32 s3, s29, s3
	s_wait_alu 0xfffe
	s_mul_u64 s[4:5], s[30:31], s[2:3]
	s_wait_alu 0xfffe
	s_mul_hi_u32 s37, s2, s5
	s_mul_i32 s36, s2, s5
	s_mul_hi_u32 s38, s2, s4
	s_mul_hi_u32 s9, s3, s4
	s_mul_i32 s4, s3, s4
	s_wait_alu 0xfffe
	s_add_nc_u64 s[36:37], s[38:39], s[36:37]
	s_mul_hi_u32 s17, s3, s5
	s_wait_alu 0xfffe
	s_add_co_u32 s4, s36, s4
	s_add_co_ci_u32 s4, s37, s9
	s_add_co_ci_u32 s37, s17, 0
	s_mul_i32 s36, s3, s5
	s_mov_b32 s5, s8
	s_wait_alu 0xfffe
	s_add_nc_u64 s[4:5], s[4:5], s[36:37]
	s_mov_b32 s37, s8
	s_wait_alu 0xfffe
	s_add_co_u32 s9, s2, s4
	s_cselect_b32 s2, -1, 0
	s_wait_alu 0xfffe
	s_cmp_lg_u32 s2, 0
	s_add_co_ci_u32 s17, s3, s5
	s_ashr_i32 s2, s1, 31
	s_wait_alu 0xfffe
	s_mov_b32 s3, s2
	s_wait_alu 0xfffe
	s_add_nc_u64 s[4:5], s[0:1], s[2:3]
	s_wait_alu 0xfffe
	s_xor_b64 s[4:5], s[4:5], s[2:3]
	s_wait_alu 0xfffe
	s_mul_hi_u32 s39, s4, s17
	s_mul_i32 s38, s4, s17
	s_mul_hi_u32 s36, s4, s9
	s_mul_i32 s21, s5, s9
	s_wait_alu 0xfffe
	s_add_nc_u64 s[36:37], s[36:37], s[38:39]
	s_mul_hi_u32 s9, s5, s9
	s_mul_hi_u32 s1, s5, s17
	s_wait_alu 0xfffe
	s_add_co_u32 s21, s36, s21
	s_add_co_ci_u32 s36, s37, s9
	s_add_co_ci_u32 s39, s1, 0
	s_mul_i32 s38, s5, s17
	s_mov_b32 s37, s8
	s_wait_alu 0xfffe
	s_add_nc_u64 s[36:37], s[36:37], s[38:39]
	s_wait_alu 0xfffe
	s_mul_u64 s[38:39], s[6:7], s[36:37]
	s_add_nc_u64 s[40:41], s[36:37], 1
	s_sub_co_u32 s1, s4, s38
	s_cselect_b32 s4, -1, 0
	s_sub_co_i32 s9, s5, s39
	s_wait_alu 0xfffe
	s_cmp_lg_u32 s4, 0
	s_add_nc_u64 s[42:43], s[36:37], 2
	s_sub_co_ci_u32 s9, s9, s7
	s_sub_co_u32 s17, s1, s6
	s_cselect_b32 s21, -1, 0
	s_delay_alu instid0(SALU_CYCLE_1)
	s_cmp_lg_u32 s21, 0
	s_wait_alu 0xfffe
	s_sub_co_ci_u32 s9, s9, 0
	s_wait_alu 0xfffe
	s_cmp_ge_u32 s9, s7
	s_cselect_b32 s21, -1, 0
	s_cmp_ge_u32 s17, s6
	s_cselect_b32 s17, -1, 0
	s_cmp_eq_u32 s9, s7
	s_wait_alu 0xfffe
	s_cselect_b32 s9, s17, s21
	s_wait_alu 0xfffe
	s_cmp_lg_u32 s9, 0
	s_cselect_b32 s9, s42, s40
	s_cselect_b32 s17, s43, s41
	s_cmp_lg_u32 s4, 0
	s_sub_co_ci_u32 s4, s5, s39
	s_wait_alu 0xfffe
	s_cmp_ge_u32 s4, s7
	s_cselect_b32 s5, -1, 0
	s_cmp_ge_u32 s1, s6
	s_cselect_b32 s1, -1, 0
	s_cmp_eq_u32 s4, s7
	s_wait_alu 0xfffe
	s_cselect_b32 s1, s1, s5
	s_wait_alu 0xfffe
	s_cmp_lg_u32 s1, 0
	s_cselect_b32 s5, s17, s37
	s_cselect_b32 s4, s9, s36
	s_xor_b64 s[2:3], s[2:3], 0
	s_wait_alu 0xfffe
	s_xor_b64 s[4:5], s[4:5], s[2:3]
	s_wait_alu 0xfffe
	s_sub_nc_u64 s[38:39], s[4:5], s[2:3]
	s_mov_b32 s2, 0
.LBB22_11:                              ;   in Loop: Header=BB22_9 Depth=1
	s_wait_alu 0xfffe
	s_and_not1_b32 vcc_lo, exec_lo, s2
	s_wait_alu 0xfffe
	s_cbranch_vccnz .LBB22_13
; %bb.12:                               ;   in Loop: Header=BB22_9 Depth=1
	v_readfirstlane_b32 s1, v0
	s_sub_co_i32 s2, 0, s16
	s_wait_alu 0xfffe
	s_mul_i32 s2, s2, s1
	s_wait_alu 0xfffe
	s_mul_hi_u32 s2, s1, s2
	s_wait_alu 0xfffe
	s_add_co_i32 s1, s1, s2
	s_wait_alu 0xfffe
	s_mul_hi_u32 s1, s0, s1
	s_wait_alu 0xfffe
	s_mul_i32 s2, s1, s16
	s_wait_alu 0xfffe
	s_sub_co_i32 s0, s0, s2
	s_add_co_i32 s2, s1, 1
	s_wait_alu 0xfffe
	s_sub_co_i32 s3, s0, s16
	s_cmp_ge_u32 s0, s16
	s_cselect_b32 s1, s2, s1
	s_wait_alu 0xfffe
	s_cselect_b32 s0, s3, s0
	s_add_co_i32 s2, s1, 1
	s_wait_alu 0xfffe
	s_cmp_ge_u32 s0, s16
	s_cselect_b32 s38, s2, s1
.LBB22_13:                              ;   in Loop: Header=BB22_9 Depth=1
	v_readfirstlane_b32 s9, v0
	s_cmp_lg_u32 s20, s38
	s_mov_b32 s0, -1
                                        ; implicit-def: $sgpr21
                                        ; implicit-def: $vgpr6
                                        ; implicit-def: $vgpr7
                                        ; implicit-def: $sgpr17
                                        ; implicit-def: $sgpr27
	s_cbranch_scc1 .LBB22_16
; %bb.14:                               ;   in Loop: Header=BB22_9 Depth=1
	s_wait_alu 0xfffe
	s_and_not1_b32 vcc_lo, exec_lo, s0
	s_wait_alu 0xfffe
	s_cbranch_vccz .LBB22_19
.LBB22_15:                              ;   in Loop: Header=BB22_9 Depth=1
	s_and_not1_b32 vcc_lo, exec_lo, s21
	s_wait_alu 0xfffe
	s_cbranch_vccnz .LBB22_20
	s_branch .LBB22_23
.LBB22_16:                              ;   in Loop: Header=BB22_9 Depth=1
	s_add_co_i32 s0, s34, s16
	s_mov_b32 s1, s8
	s_wait_alu 0xfffe
	s_lshl_b32 s0, s0, 4
	v_max_num_f32_e64 v6, s26, s26
	s_wait_alu 0xfffe
	s_add_co_i32 s0, s0, s15
	s_mov_b32 s39, s8
	s_wait_alu 0xfffe
	s_lshl_b64 s[0:1], s[0:1], 3
	s_mul_u64 s[40:41], s[38:39], s[22:23]
	s_wait_alu 0xfffe
	s_add_nc_u64 s[0:1], s[10:11], s[0:1]
	s_mov_b32 s27, s20
	s_load_b64 s[36:37], s[0:1], 0x0
	v_readfirstlane_b32 s0, v6
	s_wait_kmcnt 0x0
	v_max_num_f32_e64 v7, s36, s36
	s_delay_alu instid0(VALU_DEP_1) | instskip(SKIP_2) | instid1(SALU_CYCLE_2)
	v_readfirstlane_b32 s1, v7
	s_max_num_f32 s9, s0, s1
	s_wait_alu 0xfffe
	s_sub_f32 s33, s26, s9
	s_sub_f32 s35, s36, s9
	s_wait_alu 0xfffe
	s_delay_alu instid0(SALU_CYCLE_1)
	s_cmp_nlt_f32 s33, 0xc2ce8ed0
	s_cselect_b32 s0, -1, 0
	s_cmp_ngt_f32 s33, 0x42b17218
	s_cselect_b32 s1, -1, 0
	s_cmp_ge_f32 s33, 0xc1a00000
	s_cselect_b32 s2, -1, 0
	s_cmp_nlt_f32 s35, 0xc2ce8ed0
	s_cselect_b32 s3, -1, 0
	s_cmp_ngt_f32 s35, 0x42b17218
	s_cselect_b32 s4, -1, 0
	s_cmp_ge_f32 s35, 0xc1a00000
	s_cselect_b32 s5, -1, 0
	s_add_co_i32 s17, s41, s38
	s_wait_alu 0xfffe
	s_lshr_b32 s17, s17, s13
	s_wait_alu 0xfffe
	s_mul_i32 s21, s17, s14
	s_delay_alu instid0(SALU_CYCLE_1)
	s_cmp_eq_u32 s21, s38
	s_cselect_b32 s21, -1, 0
	s_cmp_lt_u32 s17, s12
	s_cselect_b32 s17, -1, 0
	s_wait_alu 0xfffe
	s_or_b32 s17, s17, s21
	s_mov_b32 s21, -1
	s_wait_alu 0xfffe
	s_and_b32 vcc_lo, exec_lo, s17
	s_mov_b32 s17, s34
	s_wait_alu 0xfffe
	s_cbranch_vccnz .LBB22_18
; %bb.17:                               ;   in Loop: Header=BB22_9 Depth=1
	s_add_co_i32 s17, s34, -1
	s_mov_b32 s21, 0
	s_mov_b32 s27, s38
.LBB22_18:                              ;   in Loop: Header=BB22_9 Depth=1
	v_mad_co_u64_u32 v[6:7], null, 0x700, s34, v[3:4]
	s_mul_f32 s36, s35, 0x3fb8aa3b
	s_mul_f32 s38, s33, 0x3fb8aa3b
	s_wait_alu 0xfffe
	s_delay_alu instid0(SALU_CYCLE_1)
	s_xor_b32 s39, s36, 0x80000000
	s_rndne_f32 s40, s36
	v_ashrrev_i32_e32 v7, 31, v6
	s_fmamk_f32 s39, s35, 0x3fb8aa3b, s39
	s_xor_b32 s41, s38, 0x80000000
	s_sub_f32 s36, s36, s40
	s_rndne_f32 s42, s38
	v_lshlrev_b64_e32 v[6:7], 2, v[6:7]
	s_fmamk_f32 s35, s35, 0x32a5705f, s39
	s_fmamk_f32 s39, s33, 0x3fb8aa3b, s41
	s_sub_f32 s38, s38, s42
	s_wait_alu 0xfffe
	s_add_f32 s35, s36, s35
	v_add_co_u32 v6, vcc_lo, s24, v6
	s_wait_alu 0xfffd
	v_add_co_ci_u32_e64 v7, null, s25, v7, vcc_lo
	s_fmamk_f32 s33, s33, 0x32a5705f, s39
	s_wait_alu 0xfffe
	v_s_exp_f32 s35, s35
	s_cvt_i32_f32 s36, s40
	global_load_b32 v6, v[6:7], off
	s_add_f32 s33, s38, s33
	s_wait_alu 0xfffe
	s_delay_alu instid0(SALU_CYCLE_2) | instskip(SKIP_2) | instid1(VALU_DEP_1)
	v_s_exp_f32 s33, s33
	v_ldexp_f32 v7, s35, s36
	s_cvt_i32_f32 s35, s42
	v_cndmask_b32_e64 v7, 0, v7, s3
	s_wait_alu 0xf1fe
	s_delay_alu instid0(TRANS32_DEP_1) | instid1(SALU_CYCLE_1)
	v_ldexp_f32 v8, s33, s35
	s_delay_alu instid0(VALU_DEP_2) | instskip(NEXT) | instid1(VALU_DEP_2)
	v_cndmask_b32_e64 v7, 0x7f800000, v7, s4
	v_cndmask_b32_e64 v8, 0, v8, s0
	s_delay_alu instid0(VALU_DEP_2) | instskip(NEXT) | instid1(VALU_DEP_2)
	v_cndmask_b32_e64 v7, 0, v7, s5
	v_cndmask_b32_e64 v8, 0x7f800000, v8, s1
	s_delay_alu instid0(VALU_DEP_1) | instskip(SKIP_1) | instid1(VALU_DEP_3)
	v_cndmask_b32_e64 v8, 0, v8, s2
	s_wait_loadcnt 0x0
	v_mul_f32_e32 v6, v6, v7
	v_mul_f32_e32 v7, s37, v7
	s_delay_alu instid0(VALU_DEP_1) | instskip(NEXT) | instid1(VALU_DEP_3)
	v_fmac_f32_e32 v7, v4, v8
	v_fmac_f32_e32 v6, v5, v8
	s_cbranch_execnz .LBB22_15
.LBB22_19:                              ;   in Loop: Header=BB22_9 Depth=1
	s_wait_loadcnt 0x0
	v_dual_mov_b32 v7, v4 :: v_dual_mov_b32 v6, v5
	s_add_co_i32 s17, s34, -1
	s_mov_b32 s27, s20
	s_mov_b32 s9, s26
	s_cbranch_execz .LBB22_23
.LBB22_20:                              ;   in Loop: Header=BB22_9 Depth=1
	s_wait_loadcnt 0x0
	v_dual_mov_b32 v4, v7 :: v_dual_mov_b32 v5, v6
	s_wait_alu 0xfffe
	s_mov_b32 s20, s27
	s_mov_b32 s34, s17
	;; [unrolled: 1-line block ×3, first 2 shown]
	s_branch .LBB22_9
.LBB22_21:
                                        ; implicit-def: $sgpr20_sgpr21
	s_branch .LBB22_2
.LBB22_22:
                                        ; implicit-def: $sgpr10_sgpr11
	s_load_b96 s[12:14], s[0:1], 0x44
	s_branch .LBB22_5
.LBB22_23:
	v_div_scale_f32 v0, null, v7, v7, v6
	s_delay_alu instid0(VALU_DEP_1) | instskip(NEXT) | instid1(TRANS32_DEP_1)
	v_rcp_f32_e32 v3, v0
	v_fma_f32 v4, -v0, v3, 1.0
	s_delay_alu instid0(VALU_DEP_1) | instskip(SKIP_2) | instid1(VALU_DEP_1)
	v_fmac_f32_e32 v3, v4, v3
	v_div_scale_f32 v4, vcc_lo, v6, v7, v6
	s_wait_loadcnt 0x0
	v_mul_f32_e32 v5, v4, v3
	s_delay_alu instid0(VALU_DEP_1) | instskip(NEXT) | instid1(VALU_DEP_1)
	v_fma_f32 v8, -v0, v5, v4
	v_fmac_f32_e32 v5, v8, v3
	s_delay_alu instid0(VALU_DEP_1) | instskip(SKIP_1) | instid1(VALU_DEP_1)
	v_fma_f32 v0, -v0, v5, v4
	s_wait_alu 0xfffd
	v_div_fmas_f32 v0, v0, v3, v5
	s_delay_alu instid0(VALU_DEP_1)
	v_div_fixup_f32 v0, v0, v7, v6
	global_store_b32 v[1:2], v0, off
.LBB22_24:
	s_endpgm
	.section	.rodata,"a",@progbits
	.p2align	6, 0x0
	.amdhsa_kernel _ZL33flash_attn_stream_k_fixup_generalILi112ELi8ELi2EEvPfPK15HIP_vector_typeIfLj2EEiiiiS1_IjLj3EES5_S5_S5_
		.amdhsa_group_segment_fixed_size 0
		.amdhsa_private_segment_fixed_size 0
		.amdhsa_kernarg_size 336
		.amdhsa_user_sgpr_count 2
		.amdhsa_user_sgpr_dispatch_ptr 0
		.amdhsa_user_sgpr_queue_ptr 0
		.amdhsa_user_sgpr_kernarg_segment_ptr 1
		.amdhsa_user_sgpr_dispatch_id 0
		.amdhsa_user_sgpr_private_segment_size 0
		.amdhsa_wavefront_size32 1
		.amdhsa_uses_dynamic_stack 0
		.amdhsa_enable_private_segment 0
		.amdhsa_system_sgpr_workgroup_id_x 1
		.amdhsa_system_sgpr_workgroup_id_y 1
		.amdhsa_system_sgpr_workgroup_id_z 1
		.amdhsa_system_sgpr_workgroup_info 0
		.amdhsa_system_vgpr_workitem_id 0
		.amdhsa_next_free_vgpr 9
		.amdhsa_next_free_sgpr 44
		.amdhsa_reserve_vcc 1
		.amdhsa_float_round_mode_32 0
		.amdhsa_float_round_mode_16_64 0
		.amdhsa_float_denorm_mode_32 3
		.amdhsa_float_denorm_mode_16_64 3
		.amdhsa_fp16_overflow 0
		.amdhsa_workgroup_processor_mode 1
		.amdhsa_memory_ordered 1
		.amdhsa_forward_progress 1
		.amdhsa_inst_pref_size 28
		.amdhsa_round_robin_scheduling 0
		.amdhsa_exception_fp_ieee_invalid_op 0
		.amdhsa_exception_fp_denorm_src 0
		.amdhsa_exception_fp_ieee_div_zero 0
		.amdhsa_exception_fp_ieee_overflow 0
		.amdhsa_exception_fp_ieee_underflow 0
		.amdhsa_exception_fp_ieee_inexact 0
		.amdhsa_exception_int_div_zero 0
	.end_amdhsa_kernel
	.section	.text._ZL33flash_attn_stream_k_fixup_generalILi112ELi8ELi2EEvPfPK15HIP_vector_typeIfLj2EEiiiiS1_IjLj3EES5_S5_S5_,"axG",@progbits,_ZL33flash_attn_stream_k_fixup_generalILi112ELi8ELi2EEvPfPK15HIP_vector_typeIfLj2EEiiiiS1_IjLj3EES5_S5_S5_,comdat
.Lfunc_end22:
	.size	_ZL33flash_attn_stream_k_fixup_generalILi112ELi8ELi2EEvPfPK15HIP_vector_typeIfLj2EEiiiiS1_IjLj3EES5_S5_S5_, .Lfunc_end22-_ZL33flash_attn_stream_k_fixup_generalILi112ELi8ELi2EEvPfPK15HIP_vector_typeIfLj2EEiiiiS1_IjLj3EES5_S5_S5_
                                        ; -- End function
	.set _ZL33flash_attn_stream_k_fixup_generalILi112ELi8ELi2EEvPfPK15HIP_vector_typeIfLj2EEiiiiS1_IjLj3EES5_S5_S5_.num_vgpr, 9
	.set _ZL33flash_attn_stream_k_fixup_generalILi112ELi8ELi2EEvPfPK15HIP_vector_typeIfLj2EEiiiiS1_IjLj3EES5_S5_S5_.num_agpr, 0
	.set _ZL33flash_attn_stream_k_fixup_generalILi112ELi8ELi2EEvPfPK15HIP_vector_typeIfLj2EEiiiiS1_IjLj3EES5_S5_S5_.numbered_sgpr, 44
	.set _ZL33flash_attn_stream_k_fixup_generalILi112ELi8ELi2EEvPfPK15HIP_vector_typeIfLj2EEiiiiS1_IjLj3EES5_S5_S5_.num_named_barrier, 0
	.set _ZL33flash_attn_stream_k_fixup_generalILi112ELi8ELi2EEvPfPK15HIP_vector_typeIfLj2EEiiiiS1_IjLj3EES5_S5_S5_.private_seg_size, 0
	.set _ZL33flash_attn_stream_k_fixup_generalILi112ELi8ELi2EEvPfPK15HIP_vector_typeIfLj2EEiiiiS1_IjLj3EES5_S5_S5_.uses_vcc, 1
	.set _ZL33flash_attn_stream_k_fixup_generalILi112ELi8ELi2EEvPfPK15HIP_vector_typeIfLj2EEiiiiS1_IjLj3EES5_S5_S5_.uses_flat_scratch, 0
	.set _ZL33flash_attn_stream_k_fixup_generalILi112ELi8ELi2EEvPfPK15HIP_vector_typeIfLj2EEiiiiS1_IjLj3EES5_S5_S5_.has_dyn_sized_stack, 0
	.set _ZL33flash_attn_stream_k_fixup_generalILi112ELi8ELi2EEvPfPK15HIP_vector_typeIfLj2EEiiiiS1_IjLj3EES5_S5_S5_.has_recursion, 0
	.set _ZL33flash_attn_stream_k_fixup_generalILi112ELi8ELi2EEvPfPK15HIP_vector_typeIfLj2EEiiiiS1_IjLj3EES5_S5_S5_.has_indirect_call, 0
	.section	.AMDGPU.csdata,"",@progbits
; Kernel info:
; codeLenInByte = 3540
; TotalNumSgprs: 46
; NumVgprs: 9
; ScratchSize: 0
; MemoryBound: 0
; FloatMode: 240
; IeeeMode: 1
; LDSByteSize: 0 bytes/workgroup (compile time only)
; SGPRBlocks: 0
; VGPRBlocks: 1
; NumSGPRsForWavesPerEU: 46
; NumVGPRsForWavesPerEU: 9
; Occupancy: 16
; WaveLimiterHint : 0
; COMPUTE_PGM_RSRC2:SCRATCH_EN: 0
; COMPUTE_PGM_RSRC2:USER_SGPR: 2
; COMPUTE_PGM_RSRC2:TRAP_HANDLER: 0
; COMPUTE_PGM_RSRC2:TGID_X_EN: 1
; COMPUTE_PGM_RSRC2:TGID_Y_EN: 1
; COMPUTE_PGM_RSRC2:TGID_Z_EN: 1
; COMPUTE_PGM_RSRC2:TIDIG_COMP_CNT: 0
	.section	.text._ZL26flash_attn_combine_resultsILi112EEvPKfPK15HIP_vector_typeIfLj2EEPfi,"axG",@progbits,_ZL26flash_attn_combine_resultsILi112EEvPKfPK15HIP_vector_typeIfLj2EEPfi,comdat
	.globl	_ZL26flash_attn_combine_resultsILi112EEvPKfPK15HIP_vector_typeIfLj2EEPfi ; -- Begin function _ZL26flash_attn_combine_resultsILi112EEvPKfPK15HIP_vector_typeIfLj2EEPfi
	.p2align	8
	.type	_ZL26flash_attn_combine_resultsILi112EEvPKfPK15HIP_vector_typeIfLj2EEPfi,@function
_ZL26flash_attn_combine_resultsILi112EEvPKfPK15HIP_vector_typeIfLj2EEPfi: ; @_ZL26flash_attn_combine_resultsILi112EEvPKfPK15HIP_vector_typeIfLj2EEPfi
; %bb.0:
	s_clause 0x2
	s_load_b64 s[2:3], s[0:1], 0x20
	s_load_b96 s[12:14], s[0:1], 0x10
	s_load_b128 s[8:11], s[0:1], 0x0
	s_lshr_b32 s0, ttmp7, 16
	v_lshlrev_b32_e32 v5, 2, v0
	s_mov_b32 s4, exec_lo
	s_wait_kmcnt 0x0
	s_mul_i32 s0, s2, s0
	s_and_b32 s2, ttmp7, 0xffff
	s_add_co_i32 s0, s0, ttmp9
	s_lshl_b32 s1, s14, 1
	s_mul_i32 s15, s0, s3
	s_delay_alu instid0(SALU_CYCLE_1) | instskip(NEXT) | instid1(SALU_CYCLE_1)
	s_add_co_i32 s15, s15, s2
	s_mul_i32 s2, s15, s14
	v_cmpx_gt_i32_e64 s1, v0
	s_cbranch_execz .LBB23_3
; %bb.1:
	s_ashr_i32 s3, s2, 31
	v_dual_mov_b32 v4, v0 :: v_dual_add_nc_u32 v3, 0, v5
	s_lshl_b64 s[6:7], s[2:3], 3
	s_mov_b32 s3, 0
	s_add_nc_u64 s[6:7], s[10:11], s[6:7]
	s_delay_alu instid0(SALU_CYCLE_1)
	v_add_co_u32 v1, s0, s6, v5
	s_wait_alu 0xf1ff
	v_add_co_ci_u32_e64 v2, null, s7, 0, s0
.LBB23_2:                               ; =>This Inner Loop Header: Depth=1
	global_load_b32 v6, v[1:2], off
	v_add_nc_u32_e32 v4, 0x70, v4
	v_add_co_u32 v1, vcc_lo, 0x1c0, v1
	s_wait_alu 0xfffd
	v_add_co_ci_u32_e64 v2, null, 0, v2, vcc_lo
	s_delay_alu instid0(VALU_DEP_3)
	v_cmp_le_i32_e64 s0, s1, v4
	s_or_b32 s3, s0, s3
	s_wait_loadcnt 0x0
	ds_store_b32 v3, v6
	v_add_nc_u32_e32 v3, 0x1c0, v3
	s_and_not1_b32 exec_lo, exec_lo, s3
	s_cbranch_execnz .LBB23_2
.LBB23_3:
	s_or_b32 exec_lo, exec_lo, s4
	v_mov_b32_e32 v1, 0
	s_wait_dscnt 0x0
	s_barrier_signal -1
	s_barrier_wait -1
	global_inv scope:SCOPE_SE
	ds_load_b32 v6, v1
	s_cmp_lt_i32 s14, 2
	s_cbranch_scc1 .LBB23_11
; %bb.4:
	s_add_co_i32 s1, s14, -2
	s_add_co_i32 s0, s14, -1
	s_wait_alu 0xfffe
	s_cmp_lt_u32 s1, 7
	s_cbranch_scc1 .LBB23_8
; %bb.5:
	s_mov_b32 s3, 0
	s_add_co_i32 s1, 0, 8
	s_and_b32 s4, s0, -8
.LBB23_6:                               ; =>This Inner Loop Header: Depth=1
	s_wait_alu 0xfffe
	v_mov_b32_e32 v9, s1
	s_mov_b32 s5, s3
	s_add_co_i32 s3, s3, 8
	s_add_co_i32 s1, s1, 64
	s_cmp_eq_u32 s4, s3
	ds_load_2addr_b32 v[1:2], v9 offset1:2
	ds_load_2addr_b32 v[3:4], v9 offset0:4 offset1:6
	ds_load_2addr_b32 v[7:8], v9 offset0:8 offset1:10
	;; [unrolled: 1-line block ×3, first 2 shown]
	s_wait_dscnt 0x3
	v_max3_num_f32 v1, v6, v1, v2
	s_wait_dscnt 0x2
	s_delay_alu instid0(VALU_DEP_1) | instskip(SKIP_1) | instid1(VALU_DEP_1)
	v_max3_num_f32 v1, v1, v3, v4
	s_wait_dscnt 0x1
	v_max3_num_f32 v1, v1, v7, v8
	s_wait_dscnt 0x0
	s_delay_alu instid0(VALU_DEP_1)
	v_max3_num_f32 v6, v1, v9, v10
	s_cbranch_scc0 .LBB23_6
; %bb.7:
	s_add_co_i32 s1, s5, 9
	s_and_b32 s0, s0, 7
	s_wait_alu 0xfffe
	s_cmp_eq_u32 s0, 0
	s_cbranch_scc0 .LBB23_9
	s_branch .LBB23_11
.LBB23_8:
	s_mov_b32 s1, 1
	s_and_b32 s0, s0, 7
	s_wait_alu 0xfffe
	s_cmp_eq_u32 s0, 0
	s_cbranch_scc1 .LBB23_11
.LBB23_9:
	s_lshl_b32 s1, s1, 3
	s_wait_alu 0xfffe
	s_add_co_i32 s1, s1, 0
.LBB23_10:                              ; =>This Inner Loop Header: Depth=1
	s_wait_dscnt 0x0
	s_wait_alu 0xfffe
	s_delay_alu instid0(VALU_DEP_1)
	v_dual_mov_b32 v1, s1 :: v_dual_max_num_f32 v2, v6, v6
	s_add_co_i32 s0, s0, -1
	s_add_co_i32 s1, s1, 8
	s_wait_alu 0xfffe
	s_cmp_lg_u32 s0, 0
	ds_load_b32 v1, v1
	s_wait_dscnt 0x0
	v_max_num_f32_e32 v1, v1, v1
	s_delay_alu instid0(VALU_DEP_1)
	v_max_num_f32_e32 v6, v2, v1
	s_cbranch_scc1 .LBB23_10
.LBB23_11:
	s_cmp_lt_i32 s14, 1
	s_cbranch_scc1 .LBB23_16
; %bb.12:
	s_mul_i32 s6, s2, 0x70
	s_wait_alu 0xfffe
	s_ashr_i32 s7, s6, 31
	s_cmp_lt_u32 s14, 8
	s_cbranch_scc1 .LBB23_17
; %bb.13:
	v_dual_mov_b32 v4, 0 :: v_dual_add_nc_u32 v1, 0x1c0, v0
	v_dual_mov_b32 v7, 0 :: v_dual_mov_b32 v8, 0
	s_wait_alu 0xfffe
	s_lshl_b64 s[0:1], s[6:7], 2
	s_and_b32 s16, s14, 0x7ffffff8
	s_wait_alu 0xfffe
	s_add_nc_u64 s[10:11], s[8:9], s[0:1]
	s_mov_b32 s17, 0
	s_mov_b32 s18, 0
.LBB23_14:                              ; =>This Inner Loop Header: Depth=1
	v_dual_mov_b32 v2, v4 :: v_dual_add_nc_u32 v3, 0xfffffe40, v1
	s_add_co_i32 s17, s17, 8
	s_delay_alu instid0(VALU_DEP_1) | instskip(SKIP_1) | instid1(VALU_DEP_3)
	v_lshlrev_b64_e32 v[9:10], 2, v[3:4]
	v_add_nc_u32_e32 v3, 0xfffffeb0, v1
	v_lshlrev_b64_e32 v[11:12], 2, v[1:2]
	s_delay_alu instid0(VALU_DEP_2) | instskip(NEXT) | instid1(VALU_DEP_4)
	v_lshlrev_b64_e32 v[13:14], 2, v[3:4]
	v_add_co_u32 v9, vcc_lo, s10, v9
	s_wait_alu 0xfffd
	v_add_co_ci_u32_e64 v10, null, s11, v10, vcc_lo
	v_add_nc_u32_e32 v3, 0xffffff20, v1
	v_add_co_u32 v11, vcc_lo, s10, v11
	global_load_b32 v25, v[9:10], off
	s_wait_alu 0xfffd
	v_add_co_ci_u32_e64 v12, null, s11, v12, vcc_lo
	v_add_co_u32 v13, vcc_lo, s10, v13
	v_lshlrev_b64_e32 v[15:16], 2, v[3:4]
	s_wait_alu 0xfffd
	v_add_co_ci_u32_e64 v14, null, s11, v14, vcc_lo
	global_load_b32 v29, v[11:12], off
	v_add_nc_u32_e32 v3, 0xffffff90, v1
	global_load_b32 v26, v[13:14], off
	v_add_co_u32 v13, vcc_lo, s10, v15
	s_wait_alu 0xfffd
	v_add_co_ci_u32_e64 v14, null, s11, v16, vcc_lo
	v_lshlrev_b64_e32 v[9:10], 2, v[3:4]
	v_add_nc_u32_e32 v3, 0x70, v1
	global_load_b32 v27, v[13:14], off
	v_add_co_u32 v9, vcc_lo, s10, v9
	v_lshlrev_b64_e32 v[15:16], 2, v[3:4]
	v_add_nc_u32_e32 v3, 0xe0, v1
	s_wait_alu 0xfffd
	v_add_co_ci_u32_e64 v10, null, s11, v10, vcc_lo
	global_load_b32 v28, v[9:10], off
	v_lshlrev_b64_e32 v[13:14], 2, v[3:4]
	v_add_nc_u32_e32 v3, 0x150, v1
	v_add_co_u32 v9, vcc_lo, s10, v15
	s_wait_alu 0xfffd
	v_add_co_ci_u32_e64 v10, null, s11, v16, vcc_lo
	s_delay_alu instid0(VALU_DEP_3)
	v_lshlrev_b64_e32 v[2:3], 2, v[3:4]
	v_add_nc_u32_e32 v1, 0x380, v1
	global_load_b32 v30, v[9:10], off
	v_add_co_u32 v9, vcc_lo, s10, v13
	s_wait_alu 0xfffd
	v_add_co_ci_u32_e64 v10, null, s11, v14, vcc_lo
	v_add_co_u32 v2, vcc_lo, s10, v2
	s_wait_alu 0xfffd
	v_add_co_ci_u32_e64 v3, null, s11, v3, vcc_lo
	s_clause 0x1
	global_load_b32 v31, v[9:10], off
	global_load_b32 v2, v[2:3], off
	s_wait_alu 0xfffe
	v_mov_b32_e32 v3, s18
	ds_load_2addr_b64 v[9:12], v3 offset1:1
	ds_load_2addr_b64 v[13:16], v3 offset0:2 offset1:3
	ds_load_2addr_b64 v[17:20], v3 offset0:4 offset1:5
	;; [unrolled: 1-line block ×3, first 2 shown]
	s_add_co_i32 s18, s18, 64
	s_cmp_eq_u32 s16, s17
	s_wait_dscnt 0x3
	v_sub_f32_e32 v3, v9, v6
	v_sub_f32_e32 v9, v11, v6
	s_wait_dscnt 0x2
	v_sub_f32_e32 v11, v13, v6
	v_sub_f32_e32 v13, v15, v6
	;; [unrolled: 3-line block ×3, first 2 shown]
	s_wait_dscnt 0x0
	v_sub_f32_e32 v19, v21, v6
	s_delay_alu instid0(VALU_DEP_2) | instskip(SKIP_1) | instid1(VALU_DEP_2)
	v_dual_sub_f32 v21, v23, v6 :: v_dual_mul_f32 v36, 0x3fb8aa3b, v17
	v_mul_f32_e32 v32, 0x3fb8aa3b, v9
	v_dual_mul_f32 v38, 0x3fb8aa3b, v21 :: v_dual_mul_f32 v33, 0x3fb8aa3b, v11
	v_cmp_ngt_f32_e32 vcc_lo, 0xc2ce8ed0, v11
	s_delay_alu instid0(VALU_DEP_4) | instskip(NEXT) | instid1(VALU_DEP_4)
	v_xor_b32_e32 v49, 0x80000000, v36
	v_xor_b32_e32 v41, 0x80000000, v32
	v_rndne_f32_e32 v42, v32
	v_xor_b32_e32 v43, 0x80000000, v33
	v_rndne_f32_e32 v44, v33
	v_rndne_f32_e32 v50, v36
	s_delay_alu instid0(VALU_DEP_4) | instskip(NEXT) | instid1(VALU_DEP_4)
	v_dual_fmac_f32 v41, 0x3fb8aa3b, v9 :: v_dual_sub_f32 v32, v32, v42
	v_fmac_f32_e32 v43, 0x3fb8aa3b, v11
	s_delay_alu instid0(VALU_DEP_4) | instskip(SKIP_1) | instid1(VALU_DEP_4)
	v_sub_f32_e32 v33, v33, v44
	v_cvt_i32_f32_e32 v42, v42
	v_fmac_f32_e32 v41, 0x32a5705f, v9
	v_cvt_i32_f32_e32 v44, v44
	v_fmac_f32_e32 v43, 0x32a5705f, v11
	v_dual_fmac_f32 v49, 0x3fb8aa3b, v17 :: v_dual_sub_f32 v36, v36, v50
	s_delay_alu instid0(VALU_DEP_4) | instskip(SKIP_1) | instid1(VALU_DEP_4)
	v_add_f32_e32 v32, v32, v41
	v_dual_mul_f32 v34, 0x3fb8aa3b, v13 :: v_dual_mul_f32 v23, 0x3fb8aa3b, v3
	v_add_f32_e32 v33, v33, v43
	v_cmp_ngt_f32_e64 s5, 0xc2ce8ed0, v3
	s_delay_alu instid0(VALU_DEP_4) | instskip(NEXT) | instid1(VALU_DEP_3)
	v_exp_f32_e32 v32, v32
	v_xor_b32_e32 v45, 0x80000000, v34
	v_xor_b32_e32 v39, 0x80000000, v23
	v_rndne_f32_e32 v40, v23
	v_rndne_f32_e32 v46, v34
	v_exp_f32_e32 v33, v33
	v_fmac_f32_e32 v45, 0x3fb8aa3b, v13
	v_fmac_f32_e32 v39, 0x3fb8aa3b, v3
	v_sub_f32_e32 v23, v23, v40
	v_cvt_i32_f32_e32 v40, v40
	s_delay_alu instid0(VALU_DEP_4) | instskip(NEXT) | instid1(VALU_DEP_4)
	v_dual_sub_f32 v34, v34, v46 :: v_dual_fmac_f32 v45, 0x32a5705f, v13
	v_fmac_f32_e32 v39, 0x32a5705f, v3
	v_ldexp_f32 v32, v32, v42
	v_cvt_i32_f32_e32 v46, v46
	s_delay_alu instid0(TRANS32_DEP_1) | instskip(NEXT) | instid1(VALU_DEP_4)
	v_ldexp_f32 v33, v33, v44
	v_dual_add_f32 v34, v34, v45 :: v_dual_add_f32 v23, v23, v39
	v_cmp_ngt_f32_e64 s0, 0xc2ce8ed0, v13
	v_fmac_f32_e32 v49, 0x32a5705f, v17
	v_xor_b32_e32 v53, 0x80000000, v38
	s_delay_alu instid0(VALU_DEP_4)
	v_exp_f32_e32 v34, v34
	v_exp_f32_e32 v23, v23
	v_cvt_i32_f32_e32 v50, v50
	v_add_f32_e32 v36, v36, v49
	v_cmp_ngt_f32_e64 s1, 0xc2ce8ed0, v15
	v_rndne_f32_e32 v54, v38
	v_cmp_ngt_f32_e64 s2, 0xc2ce8ed0, v17
	s_delay_alu instid0(VALU_DEP_4) | instskip(NEXT) | instid1(TRANS32_DEP_3)
	v_exp_f32_e32 v36, v36
	v_ldexp_f32 v34, v34, v46
	s_delay_alu instid0(TRANS32_DEP_2) | instskip(SKIP_3) | instid1(VALU_DEP_3)
	v_ldexp_f32 v23, v23, v40
	v_sub_f32_e32 v38, v38, v54
	v_cvt_i32_f32_e32 v54, v54
	s_wait_alu 0xf1ff
	v_cndmask_b32_e64 v23, 0, v23, s5
	v_cmp_ngt_f32_e64 s5, 0xc2ce8ed0, v9
	s_delay_alu instid0(TRANS32_DEP_1) | instskip(SKIP_1) | instid1(VALU_DEP_2)
	v_ldexp_f32 v36, v36, v50
	s_wait_alu 0xf1ff
	v_cndmask_b32_e64 v32, 0, v32, s5
	v_cmp_nlt_f32_e64 s5, 0x42b17218, v3
	s_wait_alu 0xf1ff
	s_delay_alu instid0(VALU_DEP_1)
	v_cndmask_b32_e64 v3, 0x7f800000, v23, s5
	s_wait_alu 0xfffd
	v_cndmask_b32_e32 v23, 0, v33, vcc_lo
	v_cmp_nlt_f32_e32 vcc_lo, 0x42b17218, v9
	s_wait_alu 0xfffd
	v_dual_fmac_f32 v8, v3, v10 :: v_dual_cndmask_b32 v9, 0x7f800000, v32
	v_cmp_nlt_f32_e32 vcc_lo, 0x42b17218, v11
	s_delay_alu instid0(VALU_DEP_2)
	v_fmac_f32_e32 v8, v9, v12
	s_wait_alu 0xfffd
	v_cndmask_b32_e32 v10, 0x7f800000, v23, vcc_lo
	v_cmp_nlt_f32_e32 vcc_lo, 0x42b17218, v13
	v_fmac_f32_e32 v53, 0x3fb8aa3b, v21
	v_cmp_ngt_f32_e64 s4, 0xc2ce8ed0, v21
	s_delay_alu instid0(VALU_DEP_2) | instskip(NEXT) | instid1(VALU_DEP_1)
	v_dual_fmac_f32 v8, v10, v14 :: v_dual_fmac_f32 v53, 0x32a5705f, v21
	v_add_f32_e32 v38, v38, v53
	v_cmp_ngt_f32_e64 s3, 0xc2ce8ed0, v19
	s_delay_alu instid0(VALU_DEP_2) | instskip(NEXT) | instid1(TRANS32_DEP_1)
	v_exp_f32_e32 v38, v38
	v_ldexp_f32 v38, v38, v54
	s_wait_loadcnt 0x7
	v_fmac_f32_e32 v7, v25, v3
	v_cndmask_b32_e64 v3, 0, v34, s0
	s_wait_alu 0xfffd
	s_delay_alu instid0(VALU_DEP_1) | instskip(SKIP_2) | instid1(VALU_DEP_2)
	v_cndmask_b32_e32 v3, 0x7f800000, v3, vcc_lo
	v_cmp_nlt_f32_e32 vcc_lo, 0x42b17218, v15
	s_wait_loadcnt 0x5
	v_dual_fmac_f32 v7, v26, v9 :: v_dual_fmac_f32 v8, v3, v16
	v_mul_f32_e32 v35, 0x3fb8aa3b, v15
	s_delay_alu instid0(VALU_DEP_1)
	v_xor_b32_e32 v47, 0x80000000, v35
	v_rndne_f32_e32 v48, v35
	s_wait_loadcnt 0x4
	v_fmac_f32_e32 v7, v27, v10
	v_cndmask_b32_e64 v10, 0, v36, s2
	v_fmac_f32_e32 v47, 0x3fb8aa3b, v15
	v_sub_f32_e32 v35, v35, v48
	v_cvt_i32_f32_e32 v48, v48
	s_delay_alu instid0(VALU_DEP_3) | instskip(SKIP_2) | instid1(VALU_DEP_2)
	v_fmac_f32_e32 v47, 0x32a5705f, v15
	s_wait_loadcnt 0x3
	v_fmac_f32_e32 v7, v28, v3
	v_add_f32_e32 v35, v35, v47
	s_delay_alu instid0(VALU_DEP_1) | instskip(NEXT) | instid1(TRANS32_DEP_1)
	v_exp_f32_e32 v35, v35
	v_ldexp_f32 v35, v35, v48
	s_delay_alu instid0(VALU_DEP_1) | instskip(SKIP_1) | instid1(VALU_DEP_1)
	v_cndmask_b32_e64 v9, 0, v35, s1
	s_wait_alu 0xfffd
	v_cndmask_b32_e32 v9, 0x7f800000, v9, vcc_lo
	v_cmp_nlt_f32_e32 vcc_lo, 0x42b17218, v17
	s_delay_alu instid0(VALU_DEP_2)
	v_fmac_f32_e32 v8, v9, v18
	s_wait_alu 0xfffd
	v_cndmask_b32_e32 v10, 0x7f800000, v10, vcc_lo
	v_mul_f32_e32 v37, 0x3fb8aa3b, v19
	v_fmac_f32_e32 v7, v29, v9
	v_cmp_nlt_f32_e32 vcc_lo, 0x42b17218, v19
	s_wait_alu 0xf1ff
	v_cndmask_b32_e64 v9, 0, v38, s4
	v_fmac_f32_e32 v8, v10, v20
	v_xor_b32_e32 v51, 0x80000000, v37
	v_rndne_f32_e32 v52, v37
	s_wait_loadcnt 0x2
	v_fmac_f32_e32 v7, v30, v10
	s_delay_alu instid0(VALU_DEP_3) | instskip(NEXT) | instid1(VALU_DEP_3)
	v_fmac_f32_e32 v51, 0x3fb8aa3b, v19
	v_sub_f32_e32 v37, v37, v52
	v_cvt_i32_f32_e32 v52, v52
	s_delay_alu instid0(VALU_DEP_3) | instskip(NEXT) | instid1(VALU_DEP_1)
	v_fmac_f32_e32 v51, 0x32a5705f, v19
	v_add_f32_e32 v37, v37, v51
	s_delay_alu instid0(VALU_DEP_1) | instskip(NEXT) | instid1(TRANS32_DEP_1)
	v_exp_f32_e32 v37, v37
	v_ldexp_f32 v37, v37, v52
	s_delay_alu instid0(VALU_DEP_1) | instskip(SKIP_1) | instid1(VALU_DEP_1)
	v_cndmask_b32_e64 v3, 0, v37, s3
	s_wait_alu 0xfffd
	v_cndmask_b32_e32 v3, 0x7f800000, v3, vcc_lo
	v_cmp_nlt_f32_e32 vcc_lo, 0x42b17218, v21
	s_wait_alu 0xfffd
	s_delay_alu instid0(VALU_DEP_2) | instskip(SKIP_1) | instid1(VALU_DEP_1)
	v_dual_fmac_f32 v8, v3, v22 :: v_dual_cndmask_b32 v9, 0x7f800000, v9
	s_wait_loadcnt 0x1
	v_dual_fmac_f32 v7, v31, v3 :: v_dual_fmac_f32 v8, v9, v24
	s_wait_loadcnt 0x0
	s_delay_alu instid0(VALU_DEP_1)
	v_fmac_f32_e32 v7, v2, v9
	s_cbranch_scc0 .LBB23_14
; %bb.15:
	s_and_b32 s1, s14, 7
	s_wait_alu 0xfffe
	s_cmp_eq_u32 s1, 0
	s_cbranch_scc0 .LBB23_18
	s_branch .LBB23_20
.LBB23_16:
	v_mov_b32_e32 v0, 0x7fc00000
	s_branch .LBB23_21
.LBB23_17:
	v_dual_mov_b32 v7, 0 :: v_dual_mov_b32 v8, 0
	s_mov_b32 s16, 0
	s_and_b32 s1, s14, 7
	s_wait_alu 0xfffe
	s_cmp_eq_u32 s1, 0
	s_cbranch_scc1 .LBB23_20
.LBB23_18:
	v_mad_co_u64_u32 v[0:1], null, 0x70, s16, v[0:1]
	v_mov_b32_e32 v1, 0
	s_lshl_b64 s[2:3], s[6:7], 2
	s_lshl_b32 s0, s16, 3
	s_wait_alu 0xfffe
	s_add_nc_u64 s[2:3], s[8:9], s[2:3]
	s_delay_alu instid0(VALU_DEP_2) | instskip(SKIP_1) | instid1(VALU_DEP_1)
	v_lshlrev_b64_e32 v[0:1], 2, v[0:1]
	s_wait_alu 0xfffe
	v_add_co_u32 v0, vcc_lo, s2, v0
	s_wait_alu 0xfffd
	s_delay_alu instid0(VALU_DEP_2)
	v_add_co_ci_u32_e64 v1, null, s3, v1, vcc_lo
	s_add_co_i32 s2, s0, 0
.LBB23_19:                              ; =>This Inner Loop Header: Depth=1
	global_load_b32 v4, v[0:1], off
	s_wait_alu 0xfffe
	v_mov_b32_e32 v2, s2
	s_add_co_i32 s1, s1, -1
	s_add_co_i32 s2, s2, 8
	s_wait_alu 0xfffe
	s_cmp_lg_u32 s1, 0
	ds_load_b64 v[2:3], v2
	s_wait_dscnt 0x0
	v_sub_f32_e32 v2, v2, v6
	s_delay_alu instid0(VALU_DEP_1) | instskip(SKIP_1) | instid1(VALU_DEP_2)
	v_mul_f32_e32 v9, 0x3fb8aa3b, v2
	v_cmp_ngt_f32_e32 vcc_lo, 0xc2ce8ed0, v2
	v_xor_b32_e32 v10, 0x80000000, v9
	v_rndne_f32_e32 v11, v9
	s_delay_alu instid0(VALU_DEP_1) | instskip(NEXT) | instid1(VALU_DEP_1)
	v_dual_fmac_f32 v10, 0x3fb8aa3b, v2 :: v_dual_sub_f32 v9, v9, v11
	v_fmac_f32_e32 v10, 0x32a5705f, v2
	s_delay_alu instid0(VALU_DEP_1) | instskip(SKIP_1) | instid1(VALU_DEP_2)
	v_add_f32_e32 v9, v9, v10
	v_cvt_i32_f32_e32 v10, v11
	v_exp_f32_e32 v9, v9
	s_delay_alu instid0(TRANS32_DEP_1) | instskip(SKIP_1) | instid1(VALU_DEP_1)
	v_ldexp_f32 v9, v9, v10
	s_wait_alu 0xfffd
	v_cndmask_b32_e32 v9, 0, v9, vcc_lo
	v_cmp_nlt_f32_e64 s0, 0x42b17218, v2
	v_add_co_u32 v0, vcc_lo, 0x1c0, v0
	s_wait_alu 0xfffd
	v_add_co_ci_u32_e64 v1, null, 0, v1, vcc_lo
	s_wait_alu 0xf1ff
	v_cndmask_b32_e64 v2, 0x7f800000, v9, s0
	s_wait_loadcnt 0x0
	s_delay_alu instid0(VALU_DEP_1)
	v_dual_fmac_f32 v8, v2, v3 :: v_dual_fmac_f32 v7, v4, v2
	s_cbranch_scc1 .LBB23_19
.LBB23_20:
	s_delay_alu instid0(VALU_DEP_1) | instskip(NEXT) | instid1(VALU_DEP_1)
	v_div_scale_f32 v0, null, v8, v8, v7
	v_rcp_f32_e32 v1, v0
	s_delay_alu instid0(TRANS32_DEP_1) | instskip(NEXT) | instid1(VALU_DEP_1)
	v_fma_f32 v2, -v0, v1, 1.0
	v_fmac_f32_e32 v1, v2, v1
	v_div_scale_f32 v2, vcc_lo, v7, v8, v7
	s_delay_alu instid0(VALU_DEP_1) | instskip(NEXT) | instid1(VALU_DEP_1)
	v_mul_f32_e32 v3, v2, v1
	v_fma_f32 v4, -v0, v3, v2
	s_delay_alu instid0(VALU_DEP_1) | instskip(NEXT) | instid1(VALU_DEP_1)
	v_fmac_f32_e32 v3, v4, v1
	v_fma_f32 v0, -v0, v3, v2
	s_wait_alu 0xfffd
	s_delay_alu instid0(VALU_DEP_1) | instskip(NEXT) | instid1(VALU_DEP_1)
	v_div_fmas_f32 v0, v0, v1, v3
	v_div_fixup_f32 v0, v0, v8, v7
.LBB23_21:
	s_mul_i32 s0, s15, 0x70
	s_wait_alu 0xfffe
	s_ashr_i32 s1, s0, 31
	s_wait_alu 0xfffe
	s_lshl_b64 s[0:1], s[0:1], 2
	s_wait_alu 0xfffe
	s_add_nc_u64 s[0:1], s[12:13], s[0:1]
	global_store_b32 v5, v0, s[0:1]
	s_endpgm
	.section	.rodata,"a",@progbits
	.p2align	6, 0x0
	.amdhsa_kernel _ZL26flash_attn_combine_resultsILi112EEvPKfPK15HIP_vector_typeIfLj2EEPfi
		.amdhsa_group_segment_fixed_size 0
		.amdhsa_private_segment_fixed_size 0
		.amdhsa_kernarg_size 288
		.amdhsa_user_sgpr_count 2
		.amdhsa_user_sgpr_dispatch_ptr 0
		.amdhsa_user_sgpr_queue_ptr 0
		.amdhsa_user_sgpr_kernarg_segment_ptr 1
		.amdhsa_user_sgpr_dispatch_id 0
		.amdhsa_user_sgpr_private_segment_size 0
		.amdhsa_wavefront_size32 1
		.amdhsa_uses_dynamic_stack 0
		.amdhsa_enable_private_segment 0
		.amdhsa_system_sgpr_workgroup_id_x 1
		.amdhsa_system_sgpr_workgroup_id_y 1
		.amdhsa_system_sgpr_workgroup_id_z 1
		.amdhsa_system_sgpr_workgroup_info 0
		.amdhsa_system_vgpr_workitem_id 0
		.amdhsa_next_free_vgpr 55
		.amdhsa_next_free_sgpr 19
		.amdhsa_reserve_vcc 1
		.amdhsa_float_round_mode_32 0
		.amdhsa_float_round_mode_16_64 0
		.amdhsa_float_denorm_mode_32 3
		.amdhsa_float_denorm_mode_16_64 3
		.amdhsa_fp16_overflow 0
		.amdhsa_workgroup_processor_mode 1
		.amdhsa_memory_ordered 1
		.amdhsa_forward_progress 1
		.amdhsa_inst_pref_size 21
		.amdhsa_round_robin_scheduling 0
		.amdhsa_exception_fp_ieee_invalid_op 0
		.amdhsa_exception_fp_denorm_src 0
		.amdhsa_exception_fp_ieee_div_zero 0
		.amdhsa_exception_fp_ieee_overflow 0
		.amdhsa_exception_fp_ieee_underflow 0
		.amdhsa_exception_fp_ieee_inexact 0
		.amdhsa_exception_int_div_zero 0
	.end_amdhsa_kernel
	.section	.text._ZL26flash_attn_combine_resultsILi112EEvPKfPK15HIP_vector_typeIfLj2EEPfi,"axG",@progbits,_ZL26flash_attn_combine_resultsILi112EEvPKfPK15HIP_vector_typeIfLj2EEPfi,comdat
.Lfunc_end23:
	.size	_ZL26flash_attn_combine_resultsILi112EEvPKfPK15HIP_vector_typeIfLj2EEPfi, .Lfunc_end23-_ZL26flash_attn_combine_resultsILi112EEvPKfPK15HIP_vector_typeIfLj2EEPfi
                                        ; -- End function
	.set _ZL26flash_attn_combine_resultsILi112EEvPKfPK15HIP_vector_typeIfLj2EEPfi.num_vgpr, 55
	.set _ZL26flash_attn_combine_resultsILi112EEvPKfPK15HIP_vector_typeIfLj2EEPfi.num_agpr, 0
	.set _ZL26flash_attn_combine_resultsILi112EEvPKfPK15HIP_vector_typeIfLj2EEPfi.numbered_sgpr, 19
	.set _ZL26flash_attn_combine_resultsILi112EEvPKfPK15HIP_vector_typeIfLj2EEPfi.num_named_barrier, 0
	.set _ZL26flash_attn_combine_resultsILi112EEvPKfPK15HIP_vector_typeIfLj2EEPfi.private_seg_size, 0
	.set _ZL26flash_attn_combine_resultsILi112EEvPKfPK15HIP_vector_typeIfLj2EEPfi.uses_vcc, 1
	.set _ZL26flash_attn_combine_resultsILi112EEvPKfPK15HIP_vector_typeIfLj2EEPfi.uses_flat_scratch, 0
	.set _ZL26flash_attn_combine_resultsILi112EEvPKfPK15HIP_vector_typeIfLj2EEPfi.has_dyn_sized_stack, 0
	.set _ZL26flash_attn_combine_resultsILi112EEvPKfPK15HIP_vector_typeIfLj2EEPfi.has_recursion, 0
	.set _ZL26flash_attn_combine_resultsILi112EEvPKfPK15HIP_vector_typeIfLj2EEPfi.has_indirect_call, 0
	.section	.AMDGPU.csdata,"",@progbits
; Kernel info:
; codeLenInByte = 2608
; TotalNumSgprs: 21
; NumVgprs: 55
; ScratchSize: 0
; MemoryBound: 0
; FloatMode: 240
; IeeeMode: 1
; LDSByteSize: 0 bytes/workgroup (compile time only)
; SGPRBlocks: 0
; VGPRBlocks: 6
; NumSGPRsForWavesPerEU: 21
; NumVGPRsForWavesPerEU: 55
; Occupancy: 16
; WaveLimiterHint : 0
; COMPUTE_PGM_RSRC2:SCRATCH_EN: 0
; COMPUTE_PGM_RSRC2:USER_SGPR: 2
; COMPUTE_PGM_RSRC2:TRAP_HANDLER: 0
; COMPUTE_PGM_RSRC2:TGID_X_EN: 1
; COMPUTE_PGM_RSRC2:TGID_Y_EN: 1
; COMPUTE_PGM_RSRC2:TGID_Z_EN: 1
; COMPUTE_PGM_RSRC2:TIDIG_COMP_CNT: 0
	.section	.text._ZL18flash_attn_ext_f16ILi128ELi128ELi8ELi2ELb0ELb0EEvPKcS1_S1_S1_S1_PKiPfP15HIP_vector_typeIfLj2EEffffjfiS5_IjLj3EEiiiiiiiiiiiliiliiiiil,"axG",@progbits,_ZL18flash_attn_ext_f16ILi128ELi128ELi8ELi2ELb0ELb0EEvPKcS1_S1_S1_S1_PKiPfP15HIP_vector_typeIfLj2EEffffjfiS5_IjLj3EEiiiiiiiiiiiliiliiiiil,comdat
	.globl	_ZL18flash_attn_ext_f16ILi128ELi128ELi8ELi2ELb0ELb0EEvPKcS1_S1_S1_S1_PKiPfP15HIP_vector_typeIfLj2EEffffjfiS5_IjLj3EEiiiiiiiiiiiliiliiiiil ; -- Begin function _ZL18flash_attn_ext_f16ILi128ELi128ELi8ELi2ELb0ELb0EEvPKcS1_S1_S1_S1_PKiPfP15HIP_vector_typeIfLj2EEffffjfiS5_IjLj3EEiiiiiiiiiiiliiliiiiil
	.p2align	8
	.type	_ZL18flash_attn_ext_f16ILi128ELi128ELi8ELi2ELb0ELb0EEvPKcS1_S1_S1_S1_PKiPfP15HIP_vector_typeIfLj2EEffffjfiS5_IjLj3EEiiiiiiiiiiiliiliiiiil,@function
_ZL18flash_attn_ext_f16ILi128ELi128ELi8ELi2ELb0ELb0EEvPKcS1_S1_S1_S1_PKiPfP15HIP_vector_typeIfLj2EEffffjfiS5_IjLj3EEiiiiiiiiiiiliiliiiiil: ; @_ZL18flash_attn_ext_f16ILi128ELi128ELi8ELi2ELb0ELb0EEvPKcS1_S1_S1_S1_PKiPfP15HIP_vector_typeIfLj2EEffffjfiS5_IjLj3EEiiiiiiiiiiiliiliiiiil
; %bb.0:
	s_clause 0x1
	s_load_b64 s[2:3], s[0:1], 0x80
	s_load_b128 s[24:27], s[0:1], 0x64
	s_mov_b32 s34, ttmp9
	s_mov_b32 s35, 0
                                        ; implicit-def: $vgpr255 : SGPR spill to VGPR lane
	s_wait_kmcnt 0x0
	s_abs_i32 s4, s3
	s_abs_i32 s7, s25
	s_cvt_f32_u32 s5, s4
	s_sub_co_i32 s6, 0, s4
	s_delay_alu instid0(SALU_CYCLE_2) | instskip(NEXT) | instid1(TRANS32_DEP_1)
	v_rcp_iflag_f32_e32 v1, s5
	v_readfirstlane_b32 s5, v1
	s_mul_f32 s5, s5, 0x4f7ffffe
	s_wait_alu 0xfffe
	s_delay_alu instid0(SALU_CYCLE_2) | instskip(SKIP_1) | instid1(SALU_CYCLE_2)
	s_cvt_u32_f32 s5, s5
	s_wait_alu 0xfffe
	s_mul_i32 s6, s6, s5
	s_delay_alu instid0(SALU_CYCLE_1) | instskip(NEXT) | instid1(SALU_CYCLE_1)
	s_mul_hi_u32 s6, s5, s6
	s_add_co_i32 s5, s5, s6
	s_xor_b32 s6, s25, s3
	s_wait_alu 0xfffe
	s_mul_hi_u32 s5, s7, s5
	s_ashr_i32 s6, s6, 31
	s_wait_alu 0xfffe
	s_mul_i32 s8, s5, s4
	s_delay_alu instid0(SALU_CYCLE_1)
	s_sub_co_i32 s7, s7, s8
	s_add_co_i32 s8, s5, 1
	s_sub_co_i32 s9, s7, s4
	s_cmp_ge_u32 s7, s4
	s_cselect_b32 s5, s8, s5
	s_cselect_b32 s7, s9, s7
	s_wait_alu 0xfffe
	s_add_co_i32 s8, s5, 1
	s_cmp_ge_u32 s7, s4
	s_cselect_b32 s4, s8, s5
	s_add_co_i32 s2, s2, 31
	s_wait_alu 0xfffe
	s_xor_b32 s4, s4, s6
	s_add_co_i32 s5, s24, 7
	s_ashr_i32 s7, s2, 31
	s_wait_alu 0xfffe
	s_sub_co_i32 s33, s4, s6
	s_lshr_b32 s8, s5, 3
	s_lshr_b32 s4, s7, 27
	s_add_co_i32 s5, s33, 1
	s_wait_alu 0xfffe
	s_add_co_i32 s2, s2, s4
	s_lshr_b32 s4, s5, 31
	s_ashr_i32 s100, s2, 5
	s_wait_alu 0xfffe
	s_add_co_i32 s5, s5, s4
	s_mul_i32 s97, s8, s100
	s_wait_alu 0xfffe
	s_ashr_i32 s2, s5, 1
	v_writelane_b32 v255, s8, 0
	s_mul_i32 s98, s97, s2
	s_mov_b32 s4, s35
	s_mul_i32 s99, s98, s3
	s_delay_alu instid0(SALU_CYCLE_1) | instskip(NEXT) | instid1(SALU_CYCLE_1)
	s_mul_i32 s2, s99, s26
	s_ashr_i32 s3, s2, 31
	s_delay_alu instid0(SALU_CYCLE_1)
	s_mul_u64 s[6:7], s[2:3], s[34:35]
	s_load_b32 s34, s[0:1], 0xd0
	s_mov_b32 s5, s7
	s_wait_alu 0xfffe
	s_cmp_lg_u64 s[4:5], 0
	s_wait_kmcnt 0x0
	s_add_nc_u64 s[4:5], s[34:35], 0
	s_cbranch_scc0 .LBB24_305
; %bb.1:
	s_wait_alu 0xfffe
	s_xor_b64 s[8:9], s[4:5], 0
	s_mov_b32 s15, s35
	s_wait_alu 0xfffe
	s_cvt_f32_u32 s10, s8
	s_cvt_f32_u32 s11, s9
	s_sub_nc_u64 s[12:13], 0, s[8:9]
	s_mov_b32 s19, s35
	s_delay_alu instid0(SALU_CYCLE_1) | instskip(NEXT) | instid1(SALU_CYCLE_3)
	s_fmamk_f32 s10, s11, 0x4f800000, s10
	v_s_rcp_f32 s10, s10
	s_delay_alu instid0(TRANS32_DEP_1) | instskip(SKIP_1) | instid1(SALU_CYCLE_2)
	s_mul_f32 s10, s10, 0x5f7ffffc
	s_wait_alu 0xfffe
	s_mul_f32 s11, s10, 0x2f800000
	s_wait_alu 0xfffe
	s_delay_alu instid0(SALU_CYCLE_2) | instskip(SKIP_1) | instid1(SALU_CYCLE_2)
	s_trunc_f32 s11, s11
	s_wait_alu 0xfffe
	s_fmamk_f32 s10, s11, 0xcf800000, s10
	s_cvt_u32_f32 s11, s11
	s_wait_alu 0xfffe
	s_delay_alu instid0(SALU_CYCLE_1) | instskip(SKIP_1) | instid1(SALU_CYCLE_2)
	s_cvt_u32_f32 s10, s10
	s_wait_alu 0xfffe
	s_mul_u64 s[16:17], s[12:13], s[10:11]
	s_delay_alu instid0(SALU_CYCLE_1)
	s_mul_hi_u32 s21, s10, s17
	s_mul_i32 s20, s10, s17
	s_mul_hi_u32 s14, s10, s16
	s_mul_i32 s22, s11, s16
	s_add_nc_u64 s[14:15], s[14:15], s[20:21]
	s_mul_hi_u32 s18, s11, s16
	s_mul_hi_u32 s23, s11, s17
	s_add_co_u32 s14, s14, s22
	s_add_co_ci_u32 s18, s15, s18
	s_mul_i32 s16, s11, s17
	s_add_co_ci_u32 s17, s23, 0
	s_delay_alu instid0(SALU_CYCLE_1) | instskip(SKIP_3) | instid1(SALU_CYCLE_1)
	s_add_nc_u64 s[14:15], s[18:19], s[16:17]
	s_mov_b32 s17, s35
	s_add_co_u32 s10, s10, s14
	s_cselect_b32 s14, -1, 0
	s_cmp_lg_u32 s14, 0
	s_add_co_ci_u32 s11, s11, s15
	s_mov_b32 s15, s35
	s_wait_alu 0xfffe
	s_mul_u64 s[12:13], s[12:13], s[10:11]
	s_delay_alu instid0(SALU_CYCLE_1)
	s_mul_hi_u32 s19, s10, s13
	s_mul_i32 s18, s10, s13
	s_mul_hi_u32 s14, s10, s12
	s_mul_i32 s20, s11, s12
	s_add_nc_u64 s[14:15], s[14:15], s[18:19]
	s_mul_hi_u32 s16, s11, s12
	s_mul_hi_u32 s21, s11, s13
	s_mul_i32 s12, s11, s13
	s_add_co_u32 s13, s14, s20
	s_add_co_ci_u32 s16, s15, s16
	s_add_co_ci_u32 s13, s21, 0
	s_mov_b32 s15, s35
	s_add_nc_u64 s[12:13], s[16:17], s[12:13]
	s_delay_alu instid0(SALU_CYCLE_1)
	s_add_co_u32 s16, s10, s12
	s_cselect_b32 s10, -1, 0
	s_wait_alu 0xfffe
	s_cmp_lg_u32 s10, 0
	s_add_co_ci_u32 s20, s11, s13
	s_ashr_i32 s10, s7, 31
	s_wait_alu 0xfffe
	s_mov_b32 s11, s10
	s_wait_alu 0xfffe
	s_add_nc_u64 s[12:13], s[6:7], s[10:11]
	s_delay_alu instid0(SALU_CYCLE_1) | instskip(NEXT) | instid1(SALU_CYCLE_1)
	s_xor_b64 s[12:13], s[12:13], s[10:11]
	s_mul_hi_u32 s19, s12, s20
	s_mul_i32 s18, s12, s20
	s_mul_hi_u32 s14, s12, s16
	s_mul_hi_u32 s21, s13, s16
	s_mul_i32 s16, s13, s16
	s_add_nc_u64 s[14:15], s[14:15], s[18:19]
	s_mul_hi_u32 s7, s13, s20
	s_add_co_u32 s14, s14, s16
	s_add_co_ci_u32 s16, s15, s21
	s_mul_i32 s18, s13, s20
	s_add_co_ci_u32 s19, s7, 0
	s_delay_alu instid0(SALU_CYCLE_1) | instskip(NEXT) | instid1(SALU_CYCLE_1)
	s_add_nc_u64 s[14:15], s[16:17], s[18:19]
	s_mul_u64 s[16:17], s[8:9], s[14:15]
	s_delay_alu instid0(SALU_CYCLE_1)
	s_sub_co_u32 s7, s12, s16
	s_cselect_b32 s12, -1, 0
	s_sub_co_i32 s16, s13, s17
	s_cmp_lg_u32 s12, 0
	s_sub_co_ci_u32 s16, s16, s9
	s_sub_co_u32 s18, s7, s8
	s_cselect_b32 s19, -1, 0
	s_delay_alu instid0(SALU_CYCLE_1) | instskip(SKIP_1) | instid1(SALU_CYCLE_1)
	s_cmp_lg_u32 s19, 0
	s_sub_co_ci_u32 s16, s16, 0
	s_cmp_ge_u32 s16, s9
	s_cselect_b32 s20, -1, 0
	s_cmp_ge_u32 s18, s8
	s_add_nc_u64 s[18:19], s[14:15], 1
	s_cselect_b32 s21, -1, 0
	s_cmp_eq_u32 s16, s9
	s_cselect_b32 s16, s21, s20
	s_add_nc_u64 s[20:21], s[14:15], 2
	s_cmp_lg_u32 s16, 0
	s_cselect_b32 s16, s20, s18
	s_cselect_b32 s18, s21, s19
	s_cmp_lg_u32 s12, 0
	s_sub_co_ci_u32 s12, s13, s17
	s_delay_alu instid0(SALU_CYCLE_1)
	s_cmp_ge_u32 s12, s9
	s_cselect_b32 s13, -1, 0
	s_cmp_ge_u32 s7, s8
	s_cselect_b32 s7, -1, 0
	s_cmp_eq_u32 s12, s9
	s_cselect_b32 s7, s7, s13
	s_delay_alu instid0(SALU_CYCLE_1)
	s_cmp_lg_u32 s7, 0
	s_cselect_b32 s9, s18, s15
	s_cselect_b32 s8, s16, s14
	s_xor_b64 s[10:11], s[10:11], 0
	s_wait_alu 0xfffe
	s_xor_b64 s[8:9], s[8:9], s[10:11]
	s_wait_alu 0xfffe
	s_sub_nc_u64 s[48:49], s[8:9], s[10:11]
	s_load_b64 s[46:47], s[0:1], 0x74
	v_cvt_f32_u32_e32 v1, s34
	s_and_not1_b32 vcc_lo, exec_lo, s35
	s_cbranch_vccnz .LBB24_3
.LBB24_2:
	s_delay_alu instid0(VALU_DEP_1) | instskip(SKIP_1) | instid1(TRANS32_DEP_1)
	v_rcp_iflag_f32_e32 v2, v1
	s_sub_co_i32 s8, 0, s34
	v_mul_f32_e32 v2, 0x4f7ffffe, v2
	s_delay_alu instid0(VALU_DEP_1) | instskip(NEXT) | instid1(VALU_DEP_1)
	v_cvt_u32_f32_e32 v2, v2
	v_readfirstlane_b32 s7, v2
	s_wait_alu 0xfffe
	s_mul_i32 s8, s8, s7
	s_wait_alu 0xfffe
	s_mul_hi_u32 s8, s7, s8
	s_wait_alu 0xfffe
	s_add_co_i32 s7, s7, s8
	s_delay_alu instid0(SALU_CYCLE_1) | instskip(NEXT) | instid1(SALU_CYCLE_1)
	s_mul_hi_u32 s7, s6, s7
	s_mul_i32 s8, s7, s34
	s_wait_alu 0xfffe
	s_sub_co_i32 s6, s6, s8
	s_add_co_i32 s8, s7, 1
	s_sub_co_i32 s9, s6, s34
	s_cmp_ge_u32 s6, s34
	s_wait_alu 0xfffe
	s_cselect_b32 s7, s8, s7
	s_cselect_b32 s6, s9, s6
	s_add_co_i32 s8, s7, 1
	s_cmp_ge_u32 s6, s34
	s_wait_alu 0xfffe
	s_cselect_b32 s48, s8, s7
.LBB24_3:
	s_add_co_i32 s6, ttmp9, 1
	s_mov_b32 s7, 0
	s_delay_alu instid0(SALU_CYCLE_1)
	s_mul_u64 s[2:3], s[2:3], s[6:7]
	s_mov_b32 s8, s7
	s_mov_b32 s9, s3
	s_wait_alu 0xfffe
	s_cmp_lg_u64 s[8:9], 0
	s_cbranch_scc0 .LBB24_306
; %bb.4:
	s_xor_b64 s[4:5], s[4:5], 0
	s_wait_alu 0xfffe
	s_cvt_f32_u32 s6, s4
	s_cvt_f32_u32 s8, s5
	s_sub_nc_u64 s[10:11], 0, s[4:5]
	s_wait_alu 0xfffe
	s_delay_alu instid0(SALU_CYCLE_1) | instskip(NEXT) | instid1(SALU_CYCLE_3)
	s_fmamk_f32 s6, s8, 0x4f800000, s6
	v_s_rcp_f32 s6, s6
	s_delay_alu instid0(TRANS32_DEP_1) | instskip(SKIP_1) | instid1(SALU_CYCLE_2)
	s_mul_f32 s6, s6, 0x5f7ffffc
	s_wait_alu 0xfffe
	s_mul_f32 s8, s6, 0x2f800000
	s_wait_alu 0xfffe
	s_delay_alu instid0(SALU_CYCLE_2) | instskip(SKIP_1) | instid1(SALU_CYCLE_2)
	s_trunc_f32 s8, s8
	s_wait_alu 0xfffe
	s_fmamk_f32 s6, s8, 0xcf800000, s6
	s_cvt_u32_f32 s9, s8
	s_wait_alu 0xfffe
	s_delay_alu instid0(SALU_CYCLE_1) | instskip(SKIP_1) | instid1(SALU_CYCLE_2)
	s_cvt_u32_f32 s8, s6
	s_wait_alu 0xfffe
	s_mul_u64 s[12:13], s[10:11], s[8:9]
	s_delay_alu instid0(SALU_CYCLE_1)
	s_mul_hi_u32 s15, s8, s13
	s_mul_i32 s14, s8, s13
	s_mul_hi_u32 s6, s8, s12
	s_mul_i32 s17, s9, s12
	s_wait_alu 0xfffe
	s_add_nc_u64 s[14:15], s[6:7], s[14:15]
	s_mul_hi_u32 s16, s9, s12
	s_mul_hi_u32 s18, s9, s13
	s_add_co_u32 s6, s14, s17
	s_add_co_ci_u32 s6, s15, s16
	s_mul_i32 s12, s9, s13
	s_add_co_ci_u32 s13, s18, 0
	s_wait_alu 0xfffe
	s_add_nc_u64 s[12:13], s[6:7], s[12:13]
	s_delay_alu instid0(SALU_CYCLE_1)
	s_add_co_u32 s8, s8, s12
	s_cselect_b32 s6, -1, 0
	s_wait_alu 0xfffe
	s_cmp_lg_u32 s6, 0
	s_add_co_ci_u32 s9, s9, s13
	s_wait_alu 0xfffe
	s_mul_u64 s[10:11], s[10:11], s[8:9]
	s_wait_alu 0xfffe
	s_mul_hi_u32 s13, s8, s11
	s_mul_i32 s12, s8, s11
	s_mul_hi_u32 s6, s8, s10
	s_mul_i32 s15, s9, s10
	s_wait_alu 0xfffe
	s_add_nc_u64 s[12:13], s[6:7], s[12:13]
	s_mul_hi_u32 s14, s9, s10
	s_mul_hi_u32 s16, s9, s11
	s_add_co_u32 s6, s12, s15
	s_add_co_ci_u32 s6, s13, s14
	s_mul_i32 s10, s9, s11
	s_add_co_ci_u32 s11, s16, 0
	s_wait_alu 0xfffe
	s_add_nc_u64 s[10:11], s[6:7], s[10:11]
	s_wait_alu 0xfffe
	s_add_co_u32 s14, s8, s10
	s_cselect_b32 s6, -1, 0
	s_wait_alu 0xfffe
	s_cmp_lg_u32 s6, 0
	s_add_co_ci_u32 s15, s9, s11
	s_ashr_i32 s8, s3, 31
	s_wait_alu 0xfffe
	s_mov_b32 s9, s8
	s_wait_alu 0xfffe
	s_add_nc_u64 s[10:11], s[2:3], s[8:9]
	s_wait_alu 0xfffe
	s_xor_b64 s[10:11], s[10:11], s[8:9]
	s_wait_alu 0xfffe
	s_mul_hi_u32 s13, s10, s15
	s_mul_i32 s12, s10, s15
	s_mul_hi_u32 s6, s10, s14
	s_mul_i32 s17, s11, s14
	s_wait_alu 0xfffe
	s_add_nc_u64 s[12:13], s[6:7], s[12:13]
	s_mul_hi_u32 s16, s11, s14
	s_mul_hi_u32 s3, s11, s15
	s_add_co_u32 s6, s12, s17
	s_add_co_ci_u32 s6, s13, s16
	s_mul_i32 s14, s11, s15
	s_add_co_ci_u32 s15, s3, 0
	s_wait_alu 0xfffe
	s_add_nc_u64 s[12:13], s[6:7], s[14:15]
	s_delay_alu instid0(SALU_CYCLE_1) | instskip(NEXT) | instid1(SALU_CYCLE_1)
	s_mul_u64 s[14:15], s[4:5], s[12:13]
	s_sub_co_u32 s3, s10, s14
	s_cselect_b32 s6, -1, 0
	s_sub_co_i32 s10, s11, s15
	s_wait_alu 0xfffe
	s_cmp_lg_u32 s6, 0
	s_sub_co_ci_u32 s10, s10, s5
	s_sub_co_u32 s14, s3, s4
	s_cselect_b32 s16, -1, 0
	s_delay_alu instid0(SALU_CYCLE_1)
	s_cmp_lg_u32 s16, 0
	s_add_nc_u64 s[16:17], s[12:13], 1
	s_wait_alu 0xfffe
	s_sub_co_ci_u32 s10, s10, 0
	s_wait_alu 0xfffe
	s_cmp_ge_u32 s10, s5
	s_cselect_b32 s18, -1, 0
	s_cmp_ge_u32 s14, s4
	s_cselect_b32 s14, -1, 0
	s_cmp_eq_u32 s10, s5
	s_cselect_b32 s10, s14, s18
	s_add_nc_u64 s[18:19], s[12:13], 2
	s_wait_alu 0xfffe
	s_cmp_lg_u32 s10, 0
	s_cselect_b32 s10, s18, s16
	s_cselect_b32 s14, s19, s17
	s_cmp_lg_u32 s6, 0
	s_sub_co_ci_u32 s6, s11, s15
	s_wait_alu 0xfffe
	s_cmp_ge_u32 s6, s5
	s_cselect_b32 s11, -1, 0
	s_cmp_ge_u32 s3, s4
	s_cselect_b32 s3, -1, 0
	s_cmp_eq_u32 s6, s5
	s_wait_alu 0xfffe
	s_cselect_b32 s3, s3, s11
	s_delay_alu instid0(SALU_CYCLE_1)
	s_cmp_lg_u32 s3, 0
	s_cselect_b32 s5, s14, s13
	s_cselect_b32 s4, s10, s12
	s_xor_b64 s[8:9], s[8:9], 0
	s_wait_alu 0xfffe
	s_xor_b64 s[4:5], s[4:5], s[8:9]
	s_wait_alu 0xfffe
	s_sub_nc_u64 s[54:55], s[4:5], s[8:9]
	s_load_b64 s[38:39], s[0:1], 0x5c
	s_and_not1_b32 vcc_lo, exec_lo, s7
	s_cbranch_vccnz .LBB24_6
.LBB24_5:
	v_rcp_iflag_f32_e32 v1, v1
	s_sub_co_i32 s4, 0, s34
	s_delay_alu instid0(TRANS32_DEP_1) | instskip(NEXT) | instid1(VALU_DEP_1)
	v_mul_f32_e32 v1, 0x4f7ffffe, v1
	v_cvt_u32_f32_e32 v1, v1
	s_delay_alu instid0(VALU_DEP_1)
	v_readfirstlane_b32 s3, v1
	s_wait_alu 0xfffe
	s_mul_i32 s4, s4, s3
	s_wait_alu 0xfffe
	s_mul_hi_u32 s4, s3, s4
	s_wait_alu 0xfffe
	s_add_co_i32 s3, s3, s4
	s_delay_alu instid0(SALU_CYCLE_1) | instskip(NEXT) | instid1(SALU_CYCLE_1)
	s_mul_hi_u32 s3, s2, s3
	s_mul_i32 s4, s3, s34
	s_wait_alu 0xfffe
	s_sub_co_i32 s2, s2, s4
	s_add_co_i32 s4, s3, 1
	s_sub_co_i32 s5, s2, s34
	s_cmp_ge_u32 s2, s34
	s_wait_alu 0xfffe
	s_cselect_b32 s3, s4, s3
	s_cselect_b32 s2, s5, s2
	s_add_co_i32 s4, s3, 1
	s_cmp_ge_u32 s2, s34
	s_wait_alu 0xfffe
	s_cselect_b32 s54, s4, s3
.LBB24_6:
	s_abs_i32 s55, s100
	s_load_b64 s[44:45], s[0:1], 0xc8
	s_cvt_f32_u32 s2, s55
	s_ashr_i32 s35, s27, 3
	s_wait_kmcnt 0x0
	s_ashr_i32 s72, s46, 3
	s_ashr_i32 s101, s100, 31
	v_rcp_iflag_f32_e32 v1, s2
	s_clause 0x5
	s_load_b512 s[8:23], s[0:1], 0x0
	s_load_b32 s2, s[0:1], 0x40
	s_load_b64 s[6:7], s[0:1], 0x8c
	s_load_b64 s[50:51], s[0:1], 0xb8
	s_load_b128 s[28:31], s[0:1], 0x98
	s_load_b64 s[4:5], s[0:1], 0xa8
	s_ashr_i32 s1, s48, 31
	v_bfe_u32 v135, v0, 10, 10
	v_bfe_u32 v137, v0, 10, 1
	v_and_b32_e32 v96, 0x3ff, v0
	v_lshrrev_b32_e32 v106, 10, v0
	s_mov_b32 s57, 0
	v_lshlrev_b32_e32 v232, 3, v135
	v_readfirstlane_b32 s3, v1
	v_add_nc_u32_e32 v105, 2, v135
	v_add_nc_u32_e32 v104, 4, v135
	v_add_nc_u32_e32 v103, 6, v135
	v_add_nc_u32_e32 v102, 8, v135
	s_mul_f32 s0, s3, 0x4f7ffffe
	s_sub_co_i32 s3, 0, s55
	v_add_nc_u32_e32 v101, 10, v135
	v_add_nc_u32_e32 v100, 12, v135
	s_cvt_u32_f32 s0, s0
	s_wait_kmcnt 0x0
	s_ashr_i32 s40, s51, 1
	s_ashr_i32 s26, s6, 2
	v_writelane_b32 v255, s4, 1
	s_wait_alu 0xfffe
	s_mul_i32 s3, s3, s0
	s_ashr_i32 s36, s30, 2
	s_wait_alu 0xfffe
	s_mul_hi_u32 s3, s0, s3
	v_add_nc_u32_e32 v99, 14, v135
	v_writelane_b32 v255, s5, 2
	s_abs_i32 s4, s48
	s_wait_alu 0xfffe
	s_add_co_i32 s52, s0, s3
	s_cvt_f16_f32 s27, s2
	s_mul_hi_u32 s0, s4, s52
	s_mov_b32 s53, s57
	s_mul_i32 s0, s0, s55
	s_delay_alu instid0(SALU_CYCLE_1) | instskip(NEXT) | instid1(SALU_CYCLE_1)
	s_sub_co_i32 s0, s4, s0
	s_sub_co_i32 s3, s0, s55
	s_cmp_ge_u32 s0, s55
	s_wait_alu 0xfffe
	s_cselect_b32 s0, s3, s0
	s_delay_alu instid0(SALU_CYCLE_1)
	s_sub_co_i32 s3, s0, s55
	s_cmp_ge_u32 s0, s55
	s_wait_alu 0xfffe
	s_cselect_b32 s0, s3, s0
	s_sub_co_i32 s3, s54, s48
	s_xor_b32 s0, s0, s1
	s_delay_alu instid0(SALU_CYCLE_1) | instskip(SKIP_3) | instid1(SALU_CYCLE_1)
	s_sub_co_i32 s96, s0, s1
	v_cmp_eq_u32_e64 s0, 0, v137
	s_wait_alu 0xfffe
	s_add_co_i32 s1, s3, s96
	s_min_i32 s42, s100, s1
	s_cmp_gt_i32 s54, s48
	s_cselect_b32 s3, -1, 0
	s_cmp_le_i32 s54, s48
	s_cselect_b32 s4, -1, 0
	s_cmp_gt_i32 s100, s1
	s_cselect_b32 s1, -1, 0
	s_wait_alu 0xfffe
	s_or_b32 s1, s1, s4
	s_delay_alu instid0(SALU_CYCLE_1)
	s_and_b32 vcc_lo, exec_lo, s1
	s_cbranch_vccz .LBB24_9
; %bb.7:
	s_and_not1_b32 vcc_lo, exec_lo, s3
	s_cbranch_vccz .LBB24_269
.LBB24_8:
	s_endpgm
.LBB24_9:
	v_bfe_u32 v1, v0, 4, 6
	v_bfe_u32 v9, v0, 1, 9
	v_lshlrev_b32_e32 v36, 4, v135
	s_cmp_eq_u64 s[16:17], 0
	v_and_b32_e32 v5, 15, v0
	v_lshl_add_u32 v121, v135, 1, v1
	v_and_b32_e32 v23, 30, v9
	v_lshlrev_b32_e32 v4, 1, v96
	s_cselect_b32 s51, -1, 0
	s_cmp_lg_u64 s[18:19], 0
	v_mul_lo_u32 v1, s26, v121
	v_and_b32_e32 v30, 16, v36
	v_and_b32_e32 v37, 24, v9
	v_or_b32_e32 v34, 6, v23
	s_cselect_b32 s102, -1, 0
	s_lshl_b32 s1, s26, 2
	s_abs_i32 vcc_hi, s98
	v_and_b32_e32 v122, 30, v4
	v_add_nc_u32_e32 v3, s1, v1
	v_add_nc_u16 v4, v30, v37
	v_mul_u32_u24_e32 v34, 0x110, v34
	v_mad_u32_u24 v30, 0x110, v30, 0
	v_lshlrev_b32_e32 v40, 2, v5
	s_cvt_f32_u32 s4, vcc_hi
	s_mov_b32 s6, s50
	s_abs_i32 s50, s50
	v_dual_mov_b32 v181, 0 :: v_dual_lshlrev_b32 v6, 2, v96
	v_add_nc_u32_e32 v8, s1, v3
	v_add3_u32 v129, v30, v34, v40
	s_wait_alu 0xfffe
	v_rcp_iflag_f32_e32 v34, s4
	s_cvt_f32_u32 s4, s50
	v_and_b32_e32 v2, 0x1f0, v232
	v_and_b32_e32 v7, 60, v6
	v_add_nc_u32_e32 v10, s1, v8
	s_wait_alu 0xfffe
	v_rcp_iflag_f32_e32 v67, s4
	v_mul_u32_u24_e32 v31, 0x110, v121
	v_mad_u32_u24 v11, 0x110, v2, 0
	v_and_or_b32 v2, v0, 14, v2
	v_add_nc_u32_e32 v14, s1, v10
	v_lshrrev_b16 v4, 1, v4
	v_lshlrev_b32_e32 v39, 2, v7
	v_bfe_u32 v124, v106, 1, 9
	v_and_b32_e32 v27, 48, v0
	v_mul_u32_u24_e32 v29, 0x110, v5
	v_lshrrev_b32_e32 v2, 1, v2
	v_add_nc_u32_e32 v16, s1, v14
	v_and_b32_e32 v33, 0xffff, v4
	v_or_b32_e32 v35, 7, v23
	v_mul_u32_u24_e32 v38, 0x110, v37
	v_add3_u32 v125, 0, v31, v39
	v_add_nc_u32_e32 v39, 1, v124
	v_readfirstlane_b32 s43, v67
	v_or_b32_e32 v67, v232, v96
	s_lshl_b32 s56, ttmp9, 4
	v_add3_u32 v123, v11, v29, v27
	v_mul_u32_u24_e32 v32, 0x50, v2
	v_add_nc_u32_e32 v20, s1, v16
	v_mul_u32_u24_e32 v35, 0x110, v35
	v_lshlrev_b32_e32 v33, 2, v33
	v_add3_u32 v126, v30, v29, v27
	v_add3_u32 v128, v30, v38, v40
	v_and_b32_e32 v27, 0x400, v0
	v_lshlrev_b32_e32 v29, 1, v39
	v_and_b32_e32 v31, 15, v39
	v_add_nc_u32_e32 v38, 2, v124
	v_add_nc_u32_e32 v42, 4, v124
	v_and_b32_e32 v131, 1, v0
	v_lshlrev_b32_e32 v0, 3, v67
	v_bfe_u32 v70, v135, 1, 4
	s_lshl_b64 s[4:5], s[56:57], 3
	v_add_nc_u32_e32 v24, s1, v20
	s_wait_alu 0xfffe
	s_add_nc_u64 s[4:5], s[22:23], s[4:5]
	v_add3_u32 v127, 0, v32, v33
	v_add3_u32 v130, v30, v35, v40
	v_cmp_ne_u32_e64 s1, 0, v27
	v_add_nc_u32_e32 v40, 3, v124
	v_and_or_b32 v41, 0x60, v29, v31
	v_lshlrev_b32_e32 v27, 1, v38
	v_and_b32_e32 v29, 15, v38
	v_lshlrev_b32_e32 v32, 1, v42
	v_and_b32_e32 v33, 15, v42
	v_add_nc_u32_e32 v48, 7, v124
	v_or_b32_e32 v67, v36, v96
	v_add_nc_u32_e32 v69, v36, v96
	s_wait_alu 0xfffe
	v_add_co_u32 v71, s4, s4, v0
	v_or_b32_e32 v0, v36, v5
	v_and_or_b32 v36, v106, 32, v70
	v_lshlrev_b32_e32 v30, 1, v40
	v_and_b32_e32 v31, 15, v40
	v_and_or_b32 v43, 0x60, v27, v29
	v_add_nc_u32_e32 v44, 5, v124
	v_and_or_b32 v47, 0x60, v32, v33
	v_lshlrev_b32_e32 v32, 1, v48
	v_and_b32_e32 v33, 15, v48
	s_wait_alu 0xf1ff
	v_add_co_ci_u32_e64 v72, null, s5, 0, s4
	v_mad_u32_u24 v139, 0x110, v36, 0
	v_lshrrev_b32_e32 v36, 1, v38
	v_and_or_b32 v45, 0x60, v30, v31
	v_add_nc_u32_e32 v46, 6, v124
	v_lshlrev_b32_e32 v27, 1, v44
	v_and_b32_e32 v29, 15, v44
	v_add_nc_u32_e32 v50, 8, v124
	v_and_or_b32 v53, 0x60, v32, v33
	v_add_nc_u32_e32 v54, 10, v124
	v_add_nc_u32_e32 v58, 12, v124
	;; [unrolled: 1-line block ×3, first 2 shown]
	v_mul_u32_u24_e32 v138, 0x110, v0
	v_mad_u32_u24 v0, 0x110, v41, 0
	scratch_store_b64 off, v[71:72], off offset:100 ; 8-byte Folded Spill
	v_lshrrev_b32_e32 v38, 1, v42
	scratch_store_b32 off, v36, off offset:112 ; 4-byte Folded Spill
	v_mad_u32_u24 v36, 0x110, v43, 0
	v_and_or_b32 v49, 0x60, v27, v29
	v_lshlrev_b32_e32 v27, 1, v50
	v_and_b32_e32 v29, 15, v50
	v_lshl_add_u32 v134, v37, 2, 0
	v_mad_u32_u24 v37, 0x110, v45, 0
	v_lshrrev_b32_e32 v42, 1, v46
	v_mad_u32_u24 v43, 0x110, v53, 0
	v_lshrrev_b32_e32 v45, 1, v50
	s_clause 0x1
	scratch_store_b32 off, v38, off offset:140
	scratch_store_b32 off, v0, off offset:108
	v_mad_u32_u24 v38, 0x110, v47, 0
	v_lshrrev_b32_e32 v47, 1, v54
	v_lshrrev_b32_e32 v50, 1, v58
	;; [unrolled: 1-line block ×3, first 2 shown]
	v_add_nc_u32_e32 v164, v0, v6
	v_add_nc_u32_e32 v0, v36, v6
	v_lshlrev_b32_e32 v30, 1, v46
	v_and_b32_e32 v31, 15, v46
	s_clause 0x7
	scratch_store_b32 off, v42, off offset:176
	scratch_store_b32 off, v47, off offset:240
	;; [unrolled: 1-line block ×8, first 2 shown]
	v_add_nc_u32_e32 v0, v37, v6
	v_and_or_b32 v51, 0x60, v30, v31
	v_mad_u32_u24 v41, 0x110, v49, 0
	s_clause 0x1
	scratch_store_b32 off, v0, off offset:144
	scratch_store_b32 off, v38, off offset:160
	v_add_nc_u32_e32 v0, v38, v6
	v_add_nc_u32_e32 v52, 9, v124
	v_mad_u32_u24 v42, 0x110, v51, 0
	s_clause 0x1
	scratch_store_b32 off, v0, off offset:164
	scratch_store_b32 off, v41, off offset:172
	v_add_nc_u32_e32 v0, v41, v6
	v_lshlrev_b32_e32 v30, 1, v52
	v_and_b32_e32 v31, 15, v52
	v_and_or_b32 v55, 0x60, v27, v29
	s_clause 0x1
	scratch_store_b32 off, v0, off offset:180
	scratch_store_b32 off, v42, off offset:192
	v_add_nc_u32_e32 v0, v42, v6
	v_lshlrev_b32_e32 v32, 1, v54
	v_and_b32_e32 v33, 15, v54
	v_add_nc_u32_e32 v56, 11, v124
	v_and_or_b32 v57, 0x60, v30, v31
	v_mad_u32_u24 v45, 0x110, v55, 0
	s_clause 0x1
	scratch_store_b32 off, v0, off offset:196
	scratch_store_b32 off, v43, off offset:204
	v_add_nc_u32_e32 v0, v43, v6
	v_and_or_b32 v59, 0x60, v32, v33
	v_lshlrev_b32_e32 v27, 1, v56
	v_and_b32_e32 v29, 15, v56
	v_mad_u32_u24 v46, 0x110, v57, 0
	s_clause 0x1
	scratch_store_b32 off, v0, off offset:212
	scratch_store_b32 off, v45, off offset:224
	v_add_nc_u32_e32 v0, v45, v6
	v_add_nc_u32_e32 v60, 13, v124
	v_lshlrev_b32_e32 v30, 1, v58
	v_and_b32_e32 v31, 15, v58
	v_and_or_b32 v62, 0x60, v27, v29
	v_mad_u32_u24 v47, 0x110, v59, 0
	s_clause 0x1
	scratch_store_b32 off, v0, off offset:228
	scratch_store_b32 off, v46, off offset:236
	v_add_nc_u32_e32 v0, v46, v6
	v_lshlrev_b32_e32 v32, 1, v60
	v_and_b32_e32 v33, 15, v60
	v_and_or_b32 v63, 0x60, v30, v31
	v_mad_u32_u24 v49, 0x110, v62, 0
	s_clause 0x1
	scratch_store_b32 off, v0, off offset:244
	scratch_store_b32 off, v47, off offset:256
	v_add_nc_u32_e32 v0, v47, v6
	v_add_nc_u32_e32 v64, 15, v124
	v_and_or_b32 v65, 0x60, v32, v33
	v_lshlrev_b32_e32 v27, 1, v61
	v_and_b32_e32 v29, 15, v61
	v_mad_u32_u24 v50, 0x110, v63, 0
	s_clause 0x1
	scratch_store_b32 off, v0, off offset:260
	scratch_store_b32 off, v49, off offset:268
	v_add_nc_u32_e32 v0, v49, v6
	v_lshlrev_b32_e32 v31, 1, v64
	v_and_b32_e32 v32, 15, v64
	v_and_or_b32 v66, 0x60, v27, v29
	v_mad_u32_u24 v51, 0x110, v65, 0
	s_clause 0x1
	scratch_store_b32 off, v0, off offset:276
	scratch_store_b32 off, v50, off offset:288
	v_add_nc_u32_e32 v0, v50, v6
	v_and_or_b32 v68, 0x60, v31, v32
	v_mad_u32_u24 v53, 0x110, v66, 0
	s_clause 0x1
	scratch_store_b32 off, v0, off offset:292
	scratch_store_b32 off, v51, off offset:300
	v_add_nc_u32_e32 v0, v51, v6
	v_mad_u32_u24 v54, 0x110, v68, 0
	s_clause 0x1
	scratch_store_b32 off, v0, off offset:308
	scratch_store_b32 off, v53, off offset:320
	v_add_nc_u32_e32 v0, v53, v6
	s_clause 0x1
	scratch_store_b32 off, v0, off offset:324
	scratch_store_b32 off, v54, off offset:332
	v_add_nc_u32_e32 v0, v54, v6
	v_mul_lo_u32 v12, s36, v121
	s_lshl_b32 s2, s36, 2
	v_mul_u32_u24_e32 v132, 0x110, v67
	v_mul_u32_u24_e32 v133, 0x110, v69
	scratch_store_b32 off, v0, off offset:336 ; 4-byte Folded Spill
	v_lshrrev_b32_e32 v0, 1, v40
	s_abs_i32 s104, s99
	v_writelane_b32 v255, s34, 3
	v_ashrrev_i32_e32 v13, 31, v12
	s_wait_alu 0xfffe
	v_add_nc_u32_e32 v18, s2, v12
	scratch_store_b32 off, v0, off offset:132 ; 4-byte Folded Spill
	v_and_b32_e32 v0, 1, v40
	s_cvt_f32_u32 s3, s104
	v_lshlrev_b64_e32 v[66:67], 2, v[12:13]
	v_ashrrev_i32_e32 v19, 31, v18
	v_add_nc_u32_e32 v22, s2, v18
	scratch_store_b64 off, v[0:1], off offset:116 ; 8-byte Folded Spill
	v_lshrrev_b32_e32 v0, 1, v44
	v_writelane_b32 v255, s35, 4
	v_lshlrev_b64_e32 v[68:69], 2, v[18:19]
	v_ashrrev_i32_e32 v23, 31, v22
	v_add_nc_u32_e32 v26, s2, v22
	scratch_store_b32 off, v0, off offset:168 ; 4-byte Folded Spill
	v_and_b32_e32 v0, 1, v44
	s_wait_alu 0xfffe
	v_rcp_iflag_f32_e32 v33, s3
	v_lshlrev_b64_e32 v[70:71], 2, v[22:23]
	v_ashrrev_i32_e32 v27, 31, v26
	v_add_nc_u32_e32 v28, s2, v26
	scratch_store_b64 off, v[0:1], off offset:152 ; 8-byte Folded Spill
	v_lshrrev_b32_e32 v0, 1, v48
	s_abs_i32 s30, s97
	v_lshlrev_b64_e32 v[72:73], 2, v[26:27]
	v_ashrrev_i32_e32 v29, 31, v28
	v_add_nc_u32_e32 v30, s2, v28
	scratch_store_b32 off, v0, off offset:200 ; 4-byte Folded Spill
	v_and_b32_e32 v0, 1, v48
	v_writelane_b32 v255, s27, 5
	v_lshlrev_b64_e32 v[74:75], 2, v[28:29]
	v_ashrrev_i32_e32 v31, 31, v30
	v_add_nc_u32_e32 v32, s2, v30
	scratch_store_b64 off, v[0:1], off offset:184 ; 8-byte Folded Spill
	v_lshrrev_b32_e32 v0, 1, v52
	s_cvt_f32_u32 s3, s30
	v_lshlrev_b64_e32 v[76:77], 2, v[30:31]
	v_writelane_b32 v255, s6, 6
	v_ashrrev_i32_e32 v2, 31, v1
	scratch_store_b32 off, v0, off offset:232 ; 4-byte Folded Spill
	v_and_b32_e32 v0, 1, v52
	s_wait_alu 0xfffe
	v_rcp_iflag_f32_e32 v35, s3
	v_readfirstlane_b32 s3, v33
	v_ashrrev_i32_e32 v33, 31, v32
	v_writelane_b32 v255, s7, 7
	scratch_store_b64 off, v[0:1], off offset:216 ; 8-byte Folded Spill
	v_lshrrev_b32_e32 v0, 1, v56
	v_readfirstlane_b32 s6, v34
	v_add_nc_u32_e32 v34, s2, v32
	v_lshlrev_b64_e32 v[78:79], 2, v[32:33]
	v_lshlrev_b64_e32 v[82:83], 2, v[1:2]
	scratch_store_b32 off, v0, off offset:264 ; 4-byte Folded Spill
	v_and_b32_e32 v0, 1, v56
	v_readfirstlane_b32 s34, v35
	v_ashrrev_i32_e32 v35, 31, v34
	v_ashrrev_i32_e32 v4, 31, v3
	s_mul_f32 s3, s3, 0x4f7ffffe
	scratch_store_b64 off, v[0:1], off offset:248 ; 8-byte Folded Spill
	v_lshrrev_b32_e32 v0, 1, v60
	v_lshlrev_b64_e32 v[80:81], 2, v[34:35]
	v_lshlrev_b64_e32 v[84:85], 2, v[3:4]
	v_ashrrev_i32_e32 v9, 31, v8
	s_wait_alu 0xfffe
	s_cvt_u32_f32 s3, s3
	scratch_store_b32 off, v0, off offset:296 ; 4-byte Folded Spill
	v_and_b32_e32 v0, 1, v60
	s_sub_co_i32 s4, 0, s104
	s_mul_f32 s5, s6, 0x4f7ffffe
	s_wait_alu 0xfffe
	s_mul_i32 s4, s4, s3
	v_lshlrev_b64_e32 v[86:87], 2, v[8:9]
	scratch_store_b64 off, v[0:1], off offset:280 ; 8-byte Folded Spill
	v_lshrrev_b32_e32 v0, 1, v64
	s_wait_alu 0xfffe
	s_mul_hi_u32 s4, s3, s4
	s_cvt_u32_f32 s5, s5
	s_wait_alu 0xfffe
	s_add_co_i32 s58, s3, s4
	s_sub_co_i32 s3, 0, vcc_hi
	scratch_store_b32 off, v0, off offset:328 ; 4-byte Folded Spill
	v_and_b32_e32 v0, 1, v64
	v_ashrrev_i32_e32 v11, 31, v10
	s_wait_alu 0xfffe
	s_mul_i32 s3, s3, s5
	s_mul_f32 s4, s34, 0x4f7ffffe
	s_wait_alu 0xfffe
	s_mul_hi_u32 s3, s5, s3
	scratch_store_b64 off, v[0:1], off offset:312 ; 8-byte Folded Spill
	v_add_co_u32 v0, vcc_lo, s12, v66
	scratch_store_b32 off, v106, off offset:148 ; 4-byte Folded Spill
	s_wait_alu 0xfffe
	s_add_co_i32 s60, s5, s3
	s_mul_f32 s3, s43, 0x4f7ffffe
	scratch_store_b32 off, v0, off          ; 4-byte Folded Spill
	v_add_co_ci_u32_e64 v0, null, s13, v67, vcc_lo
	v_lshlrev_b64_e32 v[88:89], 2, v[10:11]
	s_cvt_u32_f32 s4, s4
	s_sub_co_i32 s5, 0, s30
	scratch_store_b32 off, v0, off offset:4 ; 4-byte Folded Spill
	v_add_co_u32 v0, vcc_lo, s12, v68
	s_wait_alu 0xfffe
	s_cvt_u32_f32 s3, s3
	v_ashrrev_i32_e32 v15, 31, v14
	s_mul_i32 s5, s5, s4
	scratch_store_b32 off, v0, off offset:8 ; 4-byte Folded Spill
	s_wait_alu 0xfffd
	v_add_co_ci_u32_e64 v0, null, s13, v69, vcc_lo
	s_sub_co_i32 s6, 0, s50
	v_ashrrev_i32_e32 v17, 31, v16
	s_wait_alu 0xfffe
	s_mul_hi_u32 s5, s4, s5
	scratch_store_b32 off, v0, off offset:12 ; 4-byte Folded Spill
	v_add_co_u32 v0, vcc_lo, s12, v70
	s_mul_i32 s6, s6, s3
	v_ashrrev_i32_e32 v21, 31, v20
	s_ashr_i32 s41, s40, 31
	scratch_store_b32 off, v0, off offset:16 ; 4-byte Folded Spill
	s_wait_alu 0xfffd
	v_add_co_ci_u32_e64 v0, null, s13, v71, vcc_lo
	v_ashrrev_i32_e32 v25, 31, v24
	s_wait_alu 0xfffe
	s_add_co_i32 s62, s4, s5
	s_mul_hi_u32 s4, s3, s6
	scratch_store_b32 off, v0, off offset:20 ; 4-byte Folded Spill
	v_add_co_u32 v0, vcc_lo, s12, v72
	v_lshlrev_b64_e32 v[90:91], 2, v[14:15]
	s_wait_alu 0xfffe
	s_add_co_i32 s64, s3, s4
	v_lshlrev_b64_e32 v[92:93], 2, v[16:17]
	scratch_store_b32 off, v0, off offset:24 ; 4-byte Folded Spill
	s_wait_alu 0xfffd
	v_add_co_ci_u32_e64 v0, null, s13, v73, vcc_lo
	s_lshl_b64 s[4:5], s[40:41], 1
	v_add_nc_u32_e32 v162, 0, v6
	v_lshlrev_b64_e32 v[94:95], 2, v[20:21]
	scratch_store_b32 off, v0, off offset:28 ; 4-byte Folded Spill
	v_add_co_u32 v0, vcc_lo, s12, v74
	s_wait_alu 0xfffe
	v_writelane_b32 v255, s4, 8
	v_lshlrev_b64_e32 v[97:98], 2, v[24:25]
	v_mad_u32_u24 v190, 0x110, v135, v162
	scratch_store_b32 off, v0, off offset:32 ; 4-byte Folded Spill
	s_wait_alu 0xfffd
	v_add_co_ci_u32_e64 v0, null, s13, v75, vcc_lo
	v_writelane_b32 v255, s5, 9
	v_mad_co_u64_u32 v[107:108], null, v137, s72, v[96:97]
	scratch_store_b32 off, v0, off offset:36 ; 4-byte Folded Spill
	v_add_co_u32 v0, vcc_lo, s12, v76
	v_add_co_u32 v217, s3, s14, v7
	v_cmp_gt_u32_e64 s2, 16, v96
	scratch_store_b32 off, v0, off offset:40 ; 4-byte Folded Spill
	s_wait_alu 0xfffd
	v_add_co_ci_u32_e64 v0, null, s13, v77, vcc_lo
	v_add_nc_u32_e32 v163, v139, v6
	v_lshlrev_b32_e32 v179, 4, v5
	v_lshlrev_b32_e32 v180, 2, v7
	scratch_store_b32 off, v0, off offset:44 ; 4-byte Folded Spill
	v_add_co_u32 v0, vcc_lo, s12, v78
	v_mul_u32_u24_e32 v182, 0x50, v121
	v_add_nc_u32_e32 v183, 4, v121
	v_lshl_add_u32 v184, v122, 1, 0
	scratch_store_b32 off, v0, off offset:48 ; 4-byte Folded Spill
	s_wait_alu 0xfffd
	v_add_co_ci_u32_e64 v0, null, s13, v79, vcc_lo
	v_add_nc_u32_e32 v185, 0x440, v125
	v_add_nc_u32_e32 v186, 0x880, v125
	;; [unrolled: 1-line block ×3, first 2 shown]
	scratch_store_b32 off, v0, off offset:52 ; 4-byte Folded Spill
	v_add_co_u32 v0, vcc_lo, s12, v80
	v_add_nc_u32_e32 v188, 0x1100, v125
	v_add_nc_u32_e32 v189, 0x1540, v125
	;; [unrolled: 1-line block ×3, first 2 shown]
	scratch_store_b32 off, v0, off offset:56 ; 4-byte Folded Spill
	s_wait_alu 0xfffd
	v_add_co_ci_u32_e64 v0, null, s13, v81, vcc_lo
	v_add_nc_u32_e32 v192, 0x1dc0, v125
	v_mul_u32_u24_e32 v193, 0x110, v135
	v_lshrrev_b32_e32 v194, 1, v105
	scratch_store_b32 off, v0, off offset:60 ; 4-byte Folded Spill
	v_add_co_u32 v0, vcc_lo, s10, v82
	v_add_nc_u32_e32 v195, 0x220, v190
	v_lshrrev_b32_e32 v196, 1, v104
	v_add_nc_u32_e32 v197, 0x440, v190
	scratch_store_b32 off, v0, off offset:64 ; 4-byte Folded Spill
	s_wait_alu 0xfffd
	v_add_co_ci_u32_e64 v0, null, s11, v83, vcc_lo
	v_lshrrev_b32_e32 v198, 1, v103
	v_add_nc_u32_e32 v199, 0x660, v190
	v_lshrrev_b32_e32 v200, 1, v102
	scratch_store_b32 off, v0, off offset:68 ; 4-byte Folded Spill
	v_add_co_u32 v0, vcc_lo, s10, v84
	v_add_nc_u32_e32 v201, 0x880, v190
	v_lshrrev_b32_e32 v202, 1, v101
	v_add_nc_u32_e32 v203, 0xaa0, v190
	scratch_store_b32 off, v0, off offset:72 ; 4-byte Folded Spill
	s_wait_alu 0xfffd
	v_add_co_ci_u32_e64 v0, null, s11, v85, vcc_lo
	v_lshrrev_b32_e32 v204, 1, v100
	v_add_nc_u32_e32 v205, 0xcc0, v190
	v_lshrrev_b32_e32 v206, 1, v99
	scratch_store_b32 off, v0, off offset:76 ; 4-byte Folded Spill
	v_add_co_u32 v0, vcc_lo, s10, v86
	v_add_nc_u32_e32 v207, 0xee0, v190
	v_bfe_u32 v208, v106, 2, 8
	v_lshrrev_b32_e32 v209, 1, v39
	scratch_store_b32 off, v0, off offset:80 ; 4-byte Folded Spill
	s_wait_alu 0xfffd
	v_add_co_ci_u32_e64 v0, null, s11, v87, vcc_lo
	v_and_b32_e32 v99, 1, v39
	s_wait_alu 0xf1ff
	v_add_co_ci_u32_e64 v218, null, s15, 0, s3
	scratch_store_b32 off, v0, off offset:84 ; 4-byte Folded Spill
	v_add_co_u32 v0, vcc_lo, s10, v88
	v_mbcnt_lo_u32_b32 v251, -1, 0
	v_writelane_b32 v255, s72, 10
	v_bfe_u32 v108, v135, 1, 1
	scratch_store_b32 off, v0, off offset:88 ; 4-byte Folded Spill
	s_wait_alu 0xfffd
	v_add_co_ci_u32_e64 v0, null, s11, v89, vcc_lo
	s_and_b32 s103, 0xffff, s27
	s_ashr_i32 s27, s26, 31
	s_ashr_i32 s37, s36, 31
	scratch_store_b32 off, v0, off offset:92 ; 4-byte Folded Spill
	v_add_co_u32 v0, vcc_lo, s10, v90
	s_wait_alu 0xfffd
	v_add_co_ci_u32_e64 v244, null, s11, v91, vcc_lo
	v_add_co_u32 v245, vcc_lo, s10, v92
	s_wait_alu 0xfffd
	v_add_co_ci_u32_e64 v246, null, s11, v93, vcc_lo
	;; [unrolled: 3-line block ×4, first 2 shown]
	s_mul_i32 s103, s103, 0x10001
	s_ashr_i32 s49, s99, 31
	s_mov_b32 s59, s57
	s_ashr_i32 s66, s98, 31
	s_mov_b32 s61, s57
	;; [unrolled: 2-line block ×3, first 2 shown]
	s_mov_b32 s65, s57
	s_wait_alu 0xfffe
	s_lshl_b64 s[68:69], s[36:37], 7
	s_lshl_b64 s[70:71], s[26:27], 7
	scratch_store_b32 off, v0, off offset:96 ; 4-byte Folded Spill
	s_branch .LBB24_12
.LBB24_10:                              ;   in Loop: Header=BB24_12 Depth=1
	s_wait_alu 0xfffe
	s_or_b32 exec_lo, exec_lo, s34
	s_wait_loadcnt 0x0
	s_wait_storecnt 0x0
	s_barrier_signal -1
	s_barrier_wait -1
.LBB24_11:                              ;   in Loop: Header=BB24_12 Depth=1
	s_add_co_i32 s3, s48, s100
	s_mov_b32 s96, 0
	s_wait_alu 0xfffe
	s_abs_i32 s56, s3
	s_wait_storecnt 0x0
	global_inv scope:SCOPE_SE
	s_wait_alu 0xfffe
	s_mul_u64 s[4:5], s[56:57], s[52:53]
	s_wait_alu 0xfffe
	s_mul_i32 s4, s5, s55
	s_ashr_i32 s5, s3, 31
	s_wait_alu 0xfffe
	s_sub_co_i32 s4, s56, s4
	s_wait_alu 0xfffe
	s_sub_co_i32 s6, s4, s55
	s_cmp_ge_u32 s4, s55
	s_wait_alu 0xfffe
	s_cselect_b32 s4, s6, s4
	s_wait_alu 0xfffe
	s_sub_co_i32 s6, s4, s55
	s_cmp_ge_u32 s4, s55
	s_wait_alu 0xfffe
	s_cselect_b32 s4, s6, s4
	s_wait_alu 0xfffe
	s_xor_b32 s4, s4, s5
	s_wait_alu 0xfffe
	s_sub_co_i32 s4, s5, s4
	s_wait_alu 0xfffe
	s_add_co_i32 s48, s3, s4
	s_delay_alu instid0(SALU_CYCLE_1)
	s_sub_co_i32 s4, s54, s48
	s_wait_alu 0xfffe
	s_min_i32 s42, s100, s4
	s_cmp_gt_i32 s54, s48
	s_cselect_b32 s3, -1, 0
	s_cmp_le_i32 s100, s4
	s_cselect_b32 s4, -1, 0
	s_wait_alu 0xfffe
	s_and_b32 s4, s4, s3
	s_wait_alu 0xfffe
	s_and_b32 vcc_lo, exec_lo, s4
	s_wait_alu 0xfffe
	s_cbranch_vccz .LBB24_268
.LBB24_12:                              ; =>This Loop Header: Depth=1
                                        ;     Child Loop BB24_179 Depth 2
                                        ;     Child Loop BB24_51 Depth 2
	s_abs_i32 s56, s48
	s_ashr_i32 s3, s48, 31
	s_wait_alu 0xfffe
	s_mul_u64 s[4:5], s[56:57], s[58:59]
	s_xor_b32 s3, s3, s49
	s_wait_alu 0xfffe
	s_mul_i32 s4, s5, s104
	s_add_co_i32 s6, s5, 1
	s_wait_alu 0xfffe
	s_sub_co_i32 s4, s56, s4
	s_wait_alu 0xfffe
	s_sub_co_i32 s34, s4, s104
	s_cmp_ge_u32 s4, s104
	s_cselect_b32 s5, s6, s5
	s_wait_alu 0xfffe
	s_cselect_b32 s4, s34, s4
	s_add_co_i32 s6, s5, 1
	s_wait_alu 0xfffe
	s_cmp_ge_u32 s4, s104
	s_cselect_b32 s4, s6, s5
	s_wait_alu 0xfffe
	s_xor_b32 s4, s4, s3
	s_wait_alu 0xfffe
	s_sub_co_i32 s4, s4, s3
	s_wait_alu 0xfffe
	s_mul_i32 s3, s4, s99
	s_wait_alu 0xfffe
	s_sub_co_i32 s5, s48, s3
	s_wait_alu 0xfffe
	s_abs_i32 s56, s5
	s_ashr_i32 s3, s5, 31
	s_wait_alu 0xfffe
	s_mul_u64 s[72:73], s[56:57], s[60:61]
	s_xor_b32 s3, s3, s66
	s_wait_alu 0xfffe
	s_mul_i32 s6, s73, vcc_hi
	s_add_co_i32 s34, s73, 1
	s_wait_alu 0xfffe
	s_sub_co_i32 s6, s56, s6
	s_wait_alu 0xfffe
	s_sub_co_i32 s41, s6, vcc_hi
	s_cmp_ge_u32 s6, vcc_hi
	s_cselect_b32 s34, s34, s73
	s_wait_alu 0xfffe
	s_cselect_b32 s6, s41, s6
	s_add_co_i32 s41, s34, 1
	s_wait_alu 0xfffe
	s_cmp_ge_u32 s6, vcc_hi
	s_cselect_b32 s6, s41, s34
	s_wait_alu 0xfffe
	s_xor_b32 s6, s6, s3
	s_wait_alu 0xfffe
	s_sub_co_i32 s3, s6, s3
	s_wait_alu 0xfffe
	s_mul_i32 s6, s3, s98
	s_wait_alu 0xfffe
	s_sub_co_i32 s6, s5, s6
	s_wait_alu 0xfffe
	s_abs_i32 s56, s6
	s_ashr_i32 s5, s6, 31
	s_wait_alu 0xfffe
	s_mul_u64 s[72:73], s[56:57], s[62:63]
	s_xor_b32 s5, s5, s67
	s_wait_alu 0xfffe
	s_mul_i32 s34, s73, s30
	s_add_co_i32 s41, s73, 1
	s_wait_alu 0xfffe
	s_sub_co_i32 s34, s56, s34
	s_wait_alu 0xfffe
	s_sub_co_i32 s43, s34, s30
	s_cmp_ge_u32 s34, s30
	s_cselect_b32 s41, s41, s73
	s_wait_alu 0xfffe
	s_cselect_b32 s34, s43, s34
	s_add_co_i32 s43, s41, 1
	s_wait_alu 0xfffe
	s_cmp_ge_u32 s34, s30
	s_cselect_b32 s34, s43, s41
	s_wait_alu 0xfffe
	s_xor_b32 s34, s34, s5
	s_wait_alu 0xfffe
	s_sub_co_i32 s5, s34, s5
	s_wait_alu 0xfffe
	s_mul_i32 s34, s5, s97
	s_wait_alu 0xfffe
	s_sub_co_i32 s6, s6, s34
	s_wait_alu 0xfffe
	s_abs_i32 s56, s6
	s_ashr_i32 s6, s6, 31
	s_wait_alu 0xfffe
	s_mul_u64 s[72:73], s[56:57], s[52:53]
	s_xor_b32 s6, s6, s101
	s_wait_alu 0xfffe
	s_mul_i32 s34, s73, s55
	s_add_co_i32 s41, s73, 1
	s_wait_alu 0xfffe
	s_sub_co_i32 s34, s56, s34
	s_wait_alu 0xfffe
	s_sub_co_i32 s43, s34, s55
	s_cmp_ge_u32 s34, s55
	s_cselect_b32 s41, s41, s73
	s_wait_alu 0xfffe
	s_cselect_b32 s34, s43, s34
	s_add_co_i32 s43, s41, 1
	s_wait_alu 0xfffe
	s_cmp_ge_u32 s34, s55
	s_cselect_b32 s34, s43, s41
	s_and_not1_b32 vcc_lo, exec_lo, s102
	s_wait_alu 0xfffe
	s_xor_b32 s34, s34, s6
	s_wait_alu 0xfffe
	s_sub_co_i32 s34, s34, s6
	s_cbranch_vccnz .LBB24_14
; %bb.13:                               ;   in Loop: Header=BB24_12 Depth=1
	v_readlane_b32 s6, v255, 0
	s_mul_i32 s6, s4, s6
	s_wait_alu 0xfffe
	s_add_co_i32 s72, s34, s6
	s_wait_alu 0xfffe
	s_ashr_i32 s73, s72, 31
	s_wait_alu 0xfffe
	s_lshl_b64 s[72:73], s[72:73], 2
	s_wait_alu 0xfffe
	s_add_nc_u64 s[72:73], s[18:19], s[72:73]
	global_load_b32 v0, v181, s[72:73]
	s_wait_loadcnt 0x0
	v_readfirstlane_b32 s6, v0
	s_ashr_i32 s41, s6, 31
	s_wait_alu 0xfffe
	s_lshr_b32 s41, s41, 27
	s_wait_alu 0xfffe
	s_add_co_i32 s6, s6, s41
	s_wait_alu 0xfffe
	s_ashr_i32 s6, s6, 5
	s_wait_alu 0xfffe
	s_min_i32 s42, s42, s6
.LBB24_14:                              ;   in Loop: Header=BB24_12 Depth=1
	s_abs_i32 s56, s4
	s_mul_i32 s6, s3, s33
	s_lshl_b32 s41, s5, 1
	s_wait_alu 0xfffe
	s_mul_u64 s[76:77], s[56:57], s[64:65]
	s_add_co_i32 s74, s41, s6
	s_mul_i32 s6, s77, s50
	s_mul_i32 s72, s4, s47
	;; [unrolled: 1-line block ×4, first 2 shown]
	s_wait_alu 0xfffe
	s_sub_co_i32 s6, s56, s6
	s_ashr_i32 s73, s72, 31
	s_ashr_i32 s79, s78, 31
	;; [unrolled: 1-line block ×4, first 2 shown]
	s_wait_alu 0xfffe
	s_sub_co_i32 s43, s6, s50
	s_cmp_ge_u32 s6, s50
	s_add_nc_u64 s[72:73], s[8:9], s[72:73]
	s_wait_alu 0xfffe
	s_cselect_b32 s6, s43, s6
	s_mul_u64 s[84:85], s[28:29], s[4:5]
	s_wait_alu 0xfffe
	s_sub_co_i32 s43, s6, s50
	s_cmp_ge_u32 s6, s50
	v_readlane_b32 s76, v255, 1
	s_wait_alu 0xfffe
	s_cselect_b32 s6, s43, s6
	s_mul_i32 s43, s24, s25
	v_readlane_b32 s77, v255, 2
	s_add_nc_u64 s[92:93], s[72:73], s[78:79]
	s_add_nc_u64 s[72:73], s[10:11], s[84:85]
	s_wait_alu 0xfffe
	s_xor_b32 s6, s6, s5
	s_mul_i32 s43, s43, s4
	s_add_nc_u64 s[78:79], s[72:73], s[82:83]
	s_wait_alu 0xfffe
	s_sub_co_i32 s72, s6, s5
	s_add_co_i32 s6, s74, s43
	s_ashr_i32 s75, s74, 31
	s_wait_alu 0xfffe
	s_ashr_i32 s73, s72, 31
	s_lshl_b32 s56, s6, 6
	s_mul_u64 s[86:87], s[76:77], s[4:5]
	s_mul_i32 s88, s3, s31
	s_lshl_b64 s[74:75], s[74:75], 2
	v_or_b32_e32 v252, s41, v137
	s_wait_alu 0xfffe
	s_mul_u64 s[90:91], s[44:45], s[72:73]
	s_lshl_b64 s[72:73], s[56:57], 3
	s_add_nc_u64 s[4:5], s[12:13], s[86:87]
	s_ashr_i32 s89, s88, 31
	s_add_nc_u64 s[74:75], s[16:17], s[74:75]
	s_and_b32 s3, s51, exec_lo
	s_wait_alu 0xfffe
	s_add_nc_u64 s[80:81], s[14:15], s[90:91]
	s_add_nc_u64 s[72:73], s[20:21], s[72:73]
	s_cselect_b32 s75, 0, s75
	s_cselect_b32 s74, 0, s74
	s_cmp_lg_u32 s96, 0
	s_add_nc_u64 s[76:77], s[4:5], s[88:89]
	s_cbranch_scc0 .LBB24_52
; %bb.15:                               ;   in Loop: Header=BB24_12 Depth=1
	s_lshl_b32 s56, s34, 3
	v_cmp_le_i32_e64 s4, s33, v252
	s_wait_alu 0xfffe
	v_add_nc_u32_e32 v0, s56, v124
	v_cmp_gt_i32_e32 vcc_lo, s33, v252
	s_delay_alu instid0(VALU_DEP_2)
	v_cmp_le_i32_e64 s3, s24, v0
	s_or_b32 s3, s3, s4
	s_wait_alu 0xfffe
	s_and_saveexec_b32 s4, s3
	s_wait_alu 0xfffe
	s_xor_b32 s3, exec_lo, s4
; %bb.16:                               ;   in Loop: Header=BB24_12 Depth=1
	v_add_nc_u32_e32 v0, v162, v193
	ds_store_2addr_b32 v0, v181, v181 offset1:32
                                        ; implicit-def: $vgpr0
; %bb.17:                               ;   in Loop: Header=BB24_12 Depth=1
	s_wait_alu 0xfffe
	s_and_not1_saveexec_b32 s4, s3
	s_cbranch_execz .LBB24_19
; %bb.18:                               ;   in Loop: Header=BB24_12 Depth=1
	v_mad_co_u64_u32 v[0:1], null, v0, s35, v[107:108]
	s_delay_alu instid0(VALU_DEP_1) | instskip(NEXT) | instid1(VALU_DEP_1)
	v_ashrrev_i32_e32 v1, 31, v0
	v_lshlrev_b64_e32 v[0:1], 3, v[0:1]
	s_delay_alu instid0(VALU_DEP_1) | instskip(SKIP_1) | instid1(VALU_DEP_2)
	v_add_co_u32 v0, s3, s92, v0
	s_wait_alu 0xf1ff
	v_add_co_ci_u32_e64 v1, null, s93, v1, s3
	s_clause 0x1
	global_load_b64 v[2:3], v[0:1], off
	global_load_b64 v[0:1], v[0:1], off offset:256
	s_wait_loadcnt 0x1
	v_cvt_f16_f32_e32 v2, v2
	v_cvt_f16_f32_e32 v3, v3
	s_wait_loadcnt 0x0
	v_cvt_f16_f32_e32 v0, v0
	v_cvt_f16_f32_e32 v1, v1
	s_delay_alu instid0(VALU_DEP_3) | instskip(NEXT) | instid1(VALU_DEP_2)
	v_pack_b32_f16 v2, v2, v3
	v_pack_b32_f16 v0, v0, v1
	s_delay_alu instid0(VALU_DEP_2) | instskip(NEXT) | instid1(VALU_DEP_2)
	v_pk_mul_f16 v1, v2, s103
	v_pk_mul_f16 v0, v0, s103
	ds_store_2addr_b32 v190, v1, v0 offset1:32
.LBB24_19:                              ;   in Loop: Header=BB24_12 Depth=1
	s_wait_alu 0xfffe
	s_or_b32 exec_lo, exec_lo, s4
	v_add_nc_u32_e32 v0, s56, v194
	s_xor_b32 s4, vcc_lo, -1
	s_delay_alu instid0(VALU_DEP_1)
	v_cmp_le_i32_e64 s3, s24, v0
	s_wait_alu 0xfffe
	s_or_b32 s3, s3, s4
	s_wait_alu 0xfffe
	s_and_saveexec_b32 s5, s3
	s_wait_alu 0xfffe
	s_xor_b32 s3, exec_lo, s5
; %bb.20:                               ;   in Loop: Header=BB24_12 Depth=1
	v_add_nc_u32_e32 v0, v162, v193
	ds_store_2addr_b32 v0, v181, v181 offset0:136 offset1:168
                                        ; implicit-def: $vgpr0
; %bb.21:                               ;   in Loop: Header=BB24_12 Depth=1
	s_wait_alu 0xfffe
	s_and_not1_saveexec_b32 s3, s3
	s_cbranch_execz .LBB24_23
; %bb.22:                               ;   in Loop: Header=BB24_12 Depth=1
	v_mad_co_u64_u32 v[0:1], null, v0, s35, v[107:108]
	s_delay_alu instid0(VALU_DEP_1) | instskip(NEXT) | instid1(VALU_DEP_1)
	v_ashrrev_i32_e32 v1, 31, v0
	v_lshlrev_b64_e32 v[0:1], 3, v[0:1]
	s_delay_alu instid0(VALU_DEP_1) | instskip(SKIP_1) | instid1(VALU_DEP_2)
	v_add_co_u32 v0, vcc_lo, s92, v0
	s_wait_alu 0xfffd
	v_add_co_ci_u32_e64 v1, null, s93, v1, vcc_lo
	s_clause 0x1
	global_load_b64 v[2:3], v[0:1], off
	global_load_b64 v[0:1], v[0:1], off offset:256
	s_wait_loadcnt 0x1
	v_cvt_f16_f32_e32 v2, v2
	v_cvt_f16_f32_e32 v3, v3
	s_wait_loadcnt 0x0
	v_cvt_f16_f32_e32 v0, v0
	v_cvt_f16_f32_e32 v1, v1
	s_delay_alu instid0(VALU_DEP_3) | instskip(NEXT) | instid1(VALU_DEP_2)
	v_pack_b32_f16 v2, v2, v3
	v_pack_b32_f16 v0, v0, v1
	s_delay_alu instid0(VALU_DEP_2) | instskip(NEXT) | instid1(VALU_DEP_2)
	v_pk_mul_f16 v1, v2, s103
	v_pk_mul_f16 v0, v0, s103
	ds_store_2addr_b32 v195, v1, v0 offset1:32
.LBB24_23:                              ;   in Loop: Header=BB24_12 Depth=1
	s_wait_alu 0xfffe
	s_or_b32 exec_lo, exec_lo, s3
	v_add_nc_u32_e32 v0, s56, v196
	s_delay_alu instid0(VALU_DEP_1)
	v_cmp_le_i32_e32 vcc_lo, s24, v0
	s_or_b32 s3, vcc_lo, s4
	s_wait_alu 0xfffe
	s_and_saveexec_b32 s5, s3
	s_wait_alu 0xfffe
	s_xor_b32 s3, exec_lo, s5
; %bb.24:                               ;   in Loop: Header=BB24_12 Depth=1
	v_add_nc_u32_e32 v0, v162, v193
	s_delay_alu instid0(VALU_DEP_1)
	v_add_nc_u32_e32 v0, 0x400, v0
	ds_store_2addr_b32 v0, v181, v181 offset0:16 offset1:48
                                        ; implicit-def: $vgpr0
; %bb.25:                               ;   in Loop: Header=BB24_12 Depth=1
	s_wait_alu 0xfffe
	s_and_not1_saveexec_b32 s3, s3
	s_cbranch_execz .LBB24_27
; %bb.26:                               ;   in Loop: Header=BB24_12 Depth=1
	v_mad_co_u64_u32 v[0:1], null, v0, s35, v[107:108]
	s_delay_alu instid0(VALU_DEP_1) | instskip(NEXT) | instid1(VALU_DEP_1)
	v_ashrrev_i32_e32 v1, 31, v0
	v_lshlrev_b64_e32 v[0:1], 3, v[0:1]
	s_delay_alu instid0(VALU_DEP_1) | instskip(SKIP_1) | instid1(VALU_DEP_2)
	v_add_co_u32 v0, vcc_lo, s92, v0
	s_wait_alu 0xfffd
	v_add_co_ci_u32_e64 v1, null, s93, v1, vcc_lo
	s_clause 0x1
	global_load_b64 v[2:3], v[0:1], off
	global_load_b64 v[0:1], v[0:1], off offset:256
	s_wait_loadcnt 0x1
	v_cvt_f16_f32_e32 v2, v2
	v_cvt_f16_f32_e32 v3, v3
	s_wait_loadcnt 0x0
	v_cvt_f16_f32_e32 v0, v0
	v_cvt_f16_f32_e32 v1, v1
	s_delay_alu instid0(VALU_DEP_3) | instskip(NEXT) | instid1(VALU_DEP_2)
	v_pack_b32_f16 v2, v2, v3
	v_pack_b32_f16 v0, v0, v1
	s_delay_alu instid0(VALU_DEP_2) | instskip(NEXT) | instid1(VALU_DEP_2)
	v_pk_mul_f16 v1, v2, s103
	v_pk_mul_f16 v0, v0, s103
	ds_store_2addr_b32 v197, v1, v0 offset1:32
.LBB24_27:                              ;   in Loop: Header=BB24_12 Depth=1
	s_wait_alu 0xfffe
	s_or_b32 exec_lo, exec_lo, s3
	v_add_nc_u32_e32 v0, s56, v198
	s_delay_alu instid0(VALU_DEP_1)
	v_cmp_le_i32_e32 vcc_lo, s24, v0
	s_or_b32 s3, vcc_lo, s4
	s_wait_alu 0xfffe
	s_and_saveexec_b32 s5, s3
	s_wait_alu 0xfffe
	s_xor_b32 s3, exec_lo, s5
; %bb.28:                               ;   in Loop: Header=BB24_12 Depth=1
	v_add_nc_u32_e32 v0, v162, v193
	s_delay_alu instid0(VALU_DEP_1)
	;; [unrolled: 46-line block ×6, first 2 shown]
	v_add_nc_u32_e32 v0, 0xc00, v0
	ds_store_2addr_b32 v0, v181, v181 offset0:184 offset1:216
                                        ; implicit-def: $vgpr0
; %bb.45:                               ;   in Loop: Header=BB24_12 Depth=1
	s_wait_alu 0xfffe
	s_and_not1_saveexec_b32 s3, s3
	s_cbranch_execz .LBB24_47
; %bb.46:                               ;   in Loop: Header=BB24_12 Depth=1
	v_mad_co_u64_u32 v[0:1], null, v0, s35, v[107:108]
	s_delay_alu instid0(VALU_DEP_1) | instskip(NEXT) | instid1(VALU_DEP_1)
	v_ashrrev_i32_e32 v1, 31, v0
	v_lshlrev_b64_e32 v[0:1], 3, v[0:1]
	s_delay_alu instid0(VALU_DEP_1) | instskip(SKIP_1) | instid1(VALU_DEP_2)
	v_add_co_u32 v0, vcc_lo, s92, v0
	s_wait_alu 0xfffd
	v_add_co_ci_u32_e64 v1, null, s93, v1, vcc_lo
	s_clause 0x1
	global_load_b64 v[2:3], v[0:1], off
	global_load_b64 v[0:1], v[0:1], off offset:256
	s_wait_loadcnt 0x1
	v_cvt_f16_f32_e32 v2, v2
	v_cvt_f16_f32_e32 v3, v3
	s_wait_loadcnt 0x0
	v_cvt_f16_f32_e32 v0, v0
	v_cvt_f16_f32_e32 v1, v1
	s_delay_alu instid0(VALU_DEP_3) | instskip(NEXT) | instid1(VALU_DEP_2)
	v_pack_b32_f16 v2, v2, v3
	v_pack_b32_f16 v0, v0, v1
	s_delay_alu instid0(VALU_DEP_2) | instskip(NEXT) | instid1(VALU_DEP_2)
	v_pk_mul_f16 v1, v2, s103
	v_pk_mul_f16 v0, v0, s103
	ds_store_2addr_b32 v207, v1, v0 offset1:32
.LBB24_47:                              ;   in Loop: Header=BB24_12 Depth=1
	s_wait_alu 0xfffe
	s_or_b32 exec_lo, exec_lo, s3
	s_wait_storecnt_dscnt 0x0
	s_barrier_signal -1
	s_barrier_wait -1
	global_inv scope:SCOPE_SE
	ds_load_b128 v[60:63], v123
	ds_load_b128 v[56:59], v123 offset:32
	ds_load_b128 v[52:55], v123 offset:64
	;; [unrolled: 1-line block ×7, first 2 shown]
	v_add_nc_u32_e32 v5, s56, v121
	v_add_nc_u32_e32 v6, s56, v183
	s_add_co_i32 s6, s42, -1
	s_mov_b32 s3, -1
	s_wait_alu 0xfffe
	s_cmp_lt_i32 s96, s6
	v_mul_hi_u32 v1, s38, v5
	v_mul_hi_u32 v0, s38, v6
	s_wait_loadcnt_dscnt 0x0
	s_barrier_signal -1
	s_barrier_wait -1
	global_inv scope:SCOPE_SE
                                        ; implicit-def: $vgpr254
                                        ; implicit-def: $vgpr178
                                        ; implicit-def: $vgpr111_vgpr112
                                        ; implicit-def: $vgpr109_vgpr110
	s_cbranch_scc1 .LBB24_49
; %bb.48:                               ;   in Loop: Header=BB24_12 Depth=1
	v_add_nc_u32_e32 v2, v5, v1
	v_dual_mov_b32 v178, 32 :: v_dual_add_nc_u32 v3, v6, v0
	v_xor_b32_e32 v254, 16, v251
	s_mov_b32 s3, 0
	s_delay_alu instid0(VALU_DEP_3) | instskip(NEXT) | instid1(VALU_DEP_3)
	v_lshrrev_b32_e32 v2, s39, v2
	v_lshrrev_b32_e32 v3, s39, v3
	s_delay_alu instid0(VALU_DEP_2) | instskip(NEXT) | instid1(VALU_DEP_2)
	v_mul_lo_u32 v2, v2, s24
	v_mul_lo_u32 v3, v3, s24
	s_delay_alu instid0(VALU_DEP_2) | instskip(NEXT) | instid1(VALU_DEP_2)
	v_sub_nc_u32_e32 v2, v5, v2
	v_sub_nc_u32_e32 v3, v6, v3
	s_delay_alu instid0(VALU_DEP_2) | instskip(NEXT) | instid1(VALU_DEP_2)
	v_mad_co_i64_i32 v[111:112], null, v2, s40, 0
	v_mad_co_i64_i32 v[109:110], null, v3, s40, 0
.LBB24_49:                              ;   in Loop: Header=BB24_12 Depth=1
	s_wait_alu 0xfffe
	s_and_not1_b32 vcc_lo, exec_lo, s3
	s_wait_alu 0xfffe
	s_cbranch_vccnz .LBB24_53
; %bb.50:                               ;   in Loop: Header=BB24_12 Depth=1
	v_dual_mov_b32 v4, 0 :: v_dual_add_nc_u32 v1, v5, v1
	v_dual_mov_b32 v253, 0 :: v_dual_add_nc_u32 v0, v6, v0
	v_xor_b32_e32 v254, 16, v251
	s_delay_alu instid0(VALU_DEP_3) | instskip(SKIP_1) | instid1(VALU_DEP_4)
	v_lshrrev_b32_e32 v1, s39, v1
	v_lshlrev_b32_e32 v64, 1, v122
	v_lshrrev_b32_e32 v0, s39, v0
	v_dual_mov_b32 v2, v253 :: v_dual_mov_b32 v3, v253
	s_delay_alu instid0(VALU_DEP_4) | instskip(SKIP_1) | instid1(VALU_DEP_4)
	v_mul_lo_u32 v7, v1, s24
	v_cmp_gt_i32_e32 vcc_lo, 32, v254
	v_mul_lo_u32 v8, v0, s24
	v_mov_b32_e32 v1, v253
	v_add_co_u32 v101, s3, s80, v64
	s_wait_alu 0xfffd
	v_dual_cndmask_b32 v9, v251, v254 :: v_dual_mov_b32 v0, 0
	v_sub_nc_u32_e32 v65, v5, v7
	v_mov_b32_e32 v5, v4
	v_sub_nc_u32_e32 v100, v6, v8
	s_delay_alu instid0(VALU_DEP_4) | instskip(SKIP_2) | instid1(VALU_DEP_4)
	v_lshlrev_b32_e32 v156, 2, v9
	v_dual_mov_b32 v6, v4 :: v_dual_mov_b32 v7, v4
	v_mad_co_i64_i32 v[111:112], null, v65, s40, 0
	v_mad_co_i64_i32 v[109:110], null, v100, s40, 0
	v_dual_mov_b32 v8, 0 :: v_dual_mov_b32 v9, v253
	v_dual_mov_b32 v10, v253 :: v_dual_mov_b32 v11, v253
	;; [unrolled: 1-line block ×13, first 2 shown]
	s_wait_alu 0xf1ff
	v_add_co_ci_u32_e64 v102, null, s81, 0, s3
	s_lshl_b32 s94, s96, 5
.LBB24_51:                              ;   Parent Loop BB24_12 Depth=1
                                        ; =>  This Inner Loop Header: Depth=2
	s_wait_alu 0xfffe
	s_ashr_i32 s95, s94, 31
	v_lshlrev_b64_e32 v[103:104], 1, v[111:112]
	s_wait_alu 0xfffe
	s_lshl_b64 s[4:5], s[94:95], 1
	v_lshlrev_b64_e32 v[105:106], 1, v[109:110]
	s_wait_alu 0xfffe
	v_add_co_u32 v64, vcc_lo, v101, s4
	s_wait_alu 0xfffd
	v_add_co_ci_u32_e64 v65, null, s5, v102, vcc_lo
	s_mul_u64 s[4:5], s[94:95], s[26:27]
	v_add_co_u32 v103, vcc_lo, v64, v103
	s_wait_alu 0xfffd
	v_add_co_ci_u32_e64 v104, null, v65, v104, vcc_lo
	v_add_co_u32 v105, vcc_lo, v64, v105
	s_wait_alu 0xfffd
	v_add_co_ci_u32_e64 v106, null, v65, v106, vcc_lo
	s_clause 0x1
	global_load_b32 v103, v[103:104], off
	global_load_b32 v104, v[105:106], off
	v_add_nc_u32_e32 v64, v184, v182
	s_wait_alu 0xfffe
	s_lshl_b64 s[4:5], s[4:5], 2
	s_add_co_i32 s96, s96, 1
	s_wait_alu 0xfffe
	s_add_nc_u64 s[4:5], s[78:79], s[4:5]
	v_add_nc_u32_e32 v64, 0x2000, v64
	s_wait_loadcnt 0x0
	ds_store_2addr_b32 v64, v103, v104 offset0:128 offset1:208
	s_wait_alu 0xfffe
	v_add_co_u32 v64, vcc_lo, s4, v82
	s_wait_alu 0xfffd
	v_add_co_ci_u32_e64 v65, null, s5, v83, vcc_lo
	s_delay_alu instid0(VALU_DEP_2) | instskip(SKIP_1) | instid1(VALU_DEP_2)
	v_add_co_u32 v103, vcc_lo, v64, v180
	s_wait_alu 0xfffd
	v_add_co_ci_u32_e64 v104, null, 0, v65, vcc_lo
	v_add_co_u32 v64, vcc_lo, s4, v84
	s_wait_alu 0xfffd
	v_add_co_ci_u32_e64 v65, null, s5, v85, vcc_lo
	s_delay_alu instid0(VALU_DEP_2) | instskip(SKIP_1) | instid1(VALU_DEP_2)
	v_add_co_u32 v113, vcc_lo, v64, v180
	s_wait_alu 0xfffd
	v_add_co_ci_u32_e64 v114, null, 0, v65, vcc_lo
	s_clause 0x1
	global_load_b128 v[103:106], v[103:104], off
	global_load_b128 v[113:116], v[113:114], off
	v_add_co_u32 v64, vcc_lo, s4, v86
	s_wait_alu 0xfffd
	v_add_co_ci_u32_e64 v65, null, s5, v87, vcc_lo
	s_wait_loadcnt 0x1
	ds_store_b128 v125, v[103:106]
	s_wait_loadcnt 0x0
	ds_store_b128 v185, v[113:116]
	v_add_co_u32 v103, vcc_lo, v64, v180
	s_wait_alu 0xfffd
	v_add_co_ci_u32_e64 v104, null, 0, v65, vcc_lo
	v_add_co_u32 v64, vcc_lo, s4, v88
	s_wait_alu 0xfffd
	v_add_co_ci_u32_e64 v65, null, s5, v89, vcc_lo
	s_delay_alu instid0(VALU_DEP_2) | instskip(SKIP_1) | instid1(VALU_DEP_2)
	v_add_co_u32 v113, vcc_lo, v64, v180
	s_wait_alu 0xfffd
	v_add_co_ci_u32_e64 v114, null, 0, v65, vcc_lo
	s_clause 0x1
	global_load_b128 v[103:106], v[103:104], off
	global_load_b128 v[113:116], v[113:114], off
	v_add_co_u32 v64, vcc_lo, s4, v90
	s_wait_alu 0xfffd
	v_add_co_ci_u32_e64 v65, null, s5, v91, vcc_lo
	s_wait_loadcnt 0x1
	ds_store_b128 v186, v[103:106]
	s_wait_loadcnt 0x0
	ds_store_b128 v187, v[113:116]
	;; [unrolled: 20-line block ×3, first 2 shown]
	v_add_co_u32 v103, vcc_lo, v64, v180
	s_wait_alu 0xfffd
	v_add_co_ci_u32_e64 v104, null, 0, v65, vcc_lo
	v_add_co_u32 v64, vcc_lo, s4, v97
	s_wait_alu 0xfffd
	v_add_co_ci_u32_e64 v65, null, s5, v98, vcc_lo
	s_mul_u64 s[4:5], s[94:95], s[36:37]
	v_add_co_u32 v113, vcc_lo, v64, v180
	s_wait_alu 0xfffd
	v_add_co_ci_u32_e64 v114, null, 0, v65, vcc_lo
	s_clause 0x1
	global_load_b128 v[103:106], v[103:104], off
	global_load_b128 v[113:116], v[113:114], off
	s_wait_alu 0xfffe
	s_lshl_b64 s[4:5], s[4:5], 2
	s_add_co_i32 s94, s94, 32
	s_wait_alu 0xfffe
	s_add_nc_u64 s[4:5], s[76:77], s[4:5]
	s_cmp_lt_i32 s96, s6
	s_wait_loadcnt 0x1
	ds_store_b128 v191, v[103:106]
	s_wait_loadcnt 0x0
	ds_store_b128 v192, v[113:116]
	s_wait_dscnt 0x0
	s_barrier_signal -1
	s_barrier_wait -1
	global_inv scope:SCOPE_SE
	ds_load_b128 v[103:106], v126
	ds_load_b128 v[141:144], v126 offset:32
	s_wait_dscnt 0x1
	v_wmma_f32_16x16x16_f16 v[113:120], v[103:106], v[60:63], 0
	s_wait_dscnt 0x0
	s_delay_alu instid0(VALU_DEP_1)
	v_wmma_f32_16x16x16_f16 v[113:120], v[141:144], v[56:59], v[113:120]
	ds_load_b128 v[103:106], v126 offset:64
	ds_load_b128 v[141:144], v126 offset:96
	s_wait_dscnt 0x1
	v_wmma_f32_16x16x16_f16 v[113:120], v[103:106], v[52:55], v[113:120]
	s_wait_dscnt 0x0
	s_delay_alu instid0(VALU_DEP_1)
	v_wmma_f32_16x16x16_f16 v[113:120], v[141:144], v[48:51], v[113:120]
	ds_load_b128 v[103:106], v126 offset:128
	ds_load_b128 v[141:144], v126 offset:160
	s_wait_dscnt 0x1
	v_wmma_f32_16x16x16_f16 v[113:120], v[103:106], v[40:43], v[113:120]
	s_wait_dscnt 0x0
	s_delay_alu instid0(VALU_DEP_1)
	v_wmma_f32_16x16x16_f16 v[113:120], v[141:144], v[44:47], v[113:120]
	ds_load_b128 v[103:106], v126 offset:192
	ds_load_b128 v[141:144], v126 offset:224
	s_wait_loadcnt_dscnt 0x0
	s_barrier_signal -1
	s_barrier_wait -1
	global_inv scope:SCOPE_SE
	v_wmma_f32_16x16x16_f16 v[113:120], v[103:106], v[36:39], v[113:120]
	s_delay_alu instid0(VALU_DEP_1)
	v_wmma_f32_16x16x16_f16 v[113:120], v[141:144], v[32:35], v[113:120]
	v_add_nc_u32_e32 v64, 0x2200, v127
	v_add_nc_u32_e32 v65, 0x2208, v127
	ds_load_2addr_b32 v[103:104], v64 offset1:1
	ds_load_2addr_b32 v[105:106], v65 offset1:1
	s_wait_dscnt 0x1
	v_cvt_f32_f16_e32 v64, v103
	v_lshrrev_b32_e32 v65, 16, v103
	v_lshrrev_b32_e32 v103, 16, v104
	v_cvt_f32_f16_e32 v100, v104
	s_wait_dscnt 0x0
	v_cvt_f32_f16_e32 v104, v105
	v_lshrrev_b32_e32 v105, 16, v105
	v_add_f32_e32 v64, v113, v64
	v_cvt_f32_f16_e32 v103, v103
	v_lshrrev_b32_e32 v136, 16, v106
	v_add_f32_e32 v145, v117, v104
	v_cvt_f32_f16_e32 v105, v105
	v_cvt_f32_f16_e32 v106, v106
	v_add_f32_e32 v140, v116, v103
	s_wait_alu 0xfffe
	v_add_co_u32 v103, vcc_lo, s4, v66
	s_wait_alu 0xfffd
	v_add_co_ci_u32_e64 v104, null, s5, v67, vcc_lo
	v_add_f32_e32 v146, v118, v105
	s_delay_alu instid0(VALU_DEP_3) | instskip(SKIP_1) | instid1(VALU_DEP_3)
	v_add_co_u32 v103, vcc_lo, v103, v180
	s_wait_alu 0xfffd
	v_add_co_ci_u32_e64 v104, null, 0, v104, vcc_lo
	v_add_co_u32 v105, vcc_lo, s4, v68
	v_cvt_f32_f16_e32 v65, v65
	v_add_f32_e32 v147, v119, v106
	s_wait_alu 0xfffd
	v_add_co_ci_u32_e64 v106, null, s5, v69, vcc_lo
	v_add_co_u32 v113, vcc_lo, v105, v180
	v_add_f32_e32 v65, v114, v65
	s_wait_alu 0xfffd
	s_delay_alu instid0(VALU_DEP_3)
	v_add_co_ci_u32_e64 v114, null, 0, v106, vcc_lo
	v_add_f32_e32 v100, v115, v100
	s_clause 0x1
	global_load_b128 v[103:106], v[103:104], off
	global_load_b128 v[113:116], v[113:114], off
	v_add_nc_u32_e32 v148, 0x400, v128
	v_cvt_f32_f16_e64 v136, v136
	s_wait_loadcnt 0x1
	ds_store_b128 v125, v[103:106]
	s_wait_loadcnt 0x0
	ds_store_b128 v185, v[113:116]
	v_add_co_u32 v103, vcc_lo, s4, v70
	s_wait_alu 0xfffd
	v_add_co_ci_u32_e64 v104, null, s5, v71, vcc_lo
	v_add_f32_e32 v136, v120, v136
	s_delay_alu instid0(VALU_DEP_3) | instskip(SKIP_1) | instid1(VALU_DEP_3)
	v_add_co_u32 v103, vcc_lo, v103, v180
	s_wait_alu 0xfffd
	v_add_co_ci_u32_e64 v104, null, 0, v104, vcc_lo
	v_add_co_u32 v105, vcc_lo, s4, v72
	s_wait_alu 0xfffd
	v_add_co_ci_u32_e64 v106, null, s5, v73, vcc_lo
	s_delay_alu instid0(VALU_DEP_2) | instskip(SKIP_1) | instid1(VALU_DEP_2)
	v_add_co_u32 v113, vcc_lo, v105, v180
	s_wait_alu 0xfffd
	v_add_co_ci_u32_e64 v114, null, 0, v106, vcc_lo
	s_clause 0x1
	global_load_b128 v[103:106], v[103:104], off
	global_load_b128 v[113:116], v[113:114], off
	s_wait_loadcnt 0x1
	ds_store_b128 v186, v[103:106]
	s_wait_loadcnt 0x0
	ds_store_b128 v187, v[113:116]
	v_add_co_u32 v103, vcc_lo, s4, v74
	s_wait_alu 0xfffd
	v_add_co_ci_u32_e64 v104, null, s5, v75, vcc_lo
	s_delay_alu instid0(VALU_DEP_2) | instskip(SKIP_1) | instid1(VALU_DEP_2)
	v_add_co_u32 v103, vcc_lo, v103, v180
	s_wait_alu 0xfffd
	v_add_co_ci_u32_e64 v104, null, 0, v104, vcc_lo
	v_add_co_u32 v105, vcc_lo, s4, v76
	s_wait_alu 0xfffd
	v_add_co_ci_u32_e64 v106, null, s5, v77, vcc_lo
	s_delay_alu instid0(VALU_DEP_2) | instskip(SKIP_1) | instid1(VALU_DEP_2)
	v_add_co_u32 v113, vcc_lo, v105, v180
	s_wait_alu 0xfffd
	v_add_co_ci_u32_e64 v114, null, 0, v106, vcc_lo
	s_clause 0x1
	global_load_b128 v[103:106], v[103:104], off
	global_load_b128 v[113:116], v[113:114], off
	s_wait_loadcnt 0x1
	ds_store_b128 v188, v[103:106]
	s_wait_loadcnt 0x0
	ds_store_b128 v189, v[113:116]
	v_add_co_u32 v103, vcc_lo, s4, v78
	s_wait_alu 0xfffd
	v_add_co_ci_u32_e64 v104, null, s5, v79, vcc_lo
	s_delay_alu instid0(VALU_DEP_2) | instskip(SKIP_1) | instid1(VALU_DEP_2)
	v_add_co_u32 v103, vcc_lo, v103, v180
	s_wait_alu 0xfffd
	v_add_co_ci_u32_e64 v104, null, 0, v104, vcc_lo
	v_add_co_u32 v105, vcc_lo, s4, v80
	s_wait_alu 0xfffd
	v_add_co_ci_u32_e64 v106, null, s5, v81, vcc_lo
	s_delay_alu instid0(VALU_DEP_2) | instskip(SKIP_1) | instid1(VALU_DEP_2)
	v_add_co_u32 v113, vcc_lo, v105, v180
	s_wait_alu 0xfffd
	v_add_co_ci_u32_e64 v114, null, 0, v106, vcc_lo
	s_clause 0x1
	global_load_b128 v[103:106], v[103:104], off
	global_load_b128 v[113:116], v[113:114], off
	s_wait_loadcnt 0x1
	ds_store_b128 v191, v[103:106]
	s_wait_loadcnt 0x0
	ds_store_b128 v192, v[113:116]
	s_wait_dscnt 0x0
	s_barrier_signal -1
	s_barrier_wait -1
	global_inv scope:SCOPE_SE
	ds_load_2addr_b32 v[103:104], v148 offset0:16 offset1:32
	ds_load_2addr_b32 v[113:114], v148 offset0:84 offset1:100
	ds_load_2addr_b32 v[116:117], v129 offset1:16
	ds_load_2addr_b32 v[141:142], v130 offset1:16
	s_wait_dscnt 0x2
	v_perm_b32 v119, v114, v104, 0x7060302
	v_perm_b32 v143, v114, v104, 0x5040100
	s_wait_dscnt 0x0
	v_perm_b32 v106, v141, v116, 0x7060302
	v_perm_b32 v116, v141, v116, 0x5040100
	;; [unrolled: 1-line block ×4, first 2 shown]
	ds_load_2addr_b32 v[141:142], v128 offset0:136 offset1:152
	ds_load_2addr_b32 v[149:150], v128 offset0:204 offset1:220
	v_perm_b32 v105, v113, v103, 0x7060302
	v_perm_b32 v115, v113, v103, 0x5040100
	s_wait_dscnt 0x0
	v_perm_b32 v104, v149, v141, 0x7060302
	v_perm_b32 v114, v149, v141, 0x5040100
	;; [unrolled: 1-line block ×4, first 2 shown]
	ds_load_2addr_b32 v[149:150], v128 offset1:16
	ds_load_2addr_b32 v[151:152], v128 offset0:68 offset1:84
	s_wait_dscnt 0x0
	v_perm_b32 v103, v151, v149, 0x7060302
	v_perm_b32 v113, v151, v149, 0x5040100
	;; [unrolled: 1-line block ×4, first 2 shown]
	ds_load_2addr_b32 v[149:150], v148 offset0:48 offset1:64
	ds_load_2addr_b32 v[153:154], v148 offset0:116 offset1:132
	ds_load_2addr_b32 v[157:158], v129 offset0:32 offset1:48
	ds_load_2addr_b32 v[160:161], v130 offset0:32 offset1:48
	v_mov_b32_e32 v148, v159
	s_wait_dscnt 0x2
	v_perm_b32 v151, v153, v149, 0x7060302
	v_perm_b32 v170, v153, v149, 0x5040100
	s_wait_dscnt 0x0
	v_perm_b32 v152, v160, v157, 0x7060302
	v_perm_b32 v171, v160, v157, 0x5040100
	;; [unrolled: 1-line block ×6, first 2 shown]
	ds_load_2addr_b32 v[153:154], v128 offset0:168 offset1:184
	ds_load_2addr_b32 v[157:158], v128 offset0:236 offset1:252
	s_wait_dscnt 0x0
	v_perm_b32 v150, v157, v153, 0x7060302
	v_perm_b32 v169, v157, v153, 0x5040100
	;; [unrolled: 1-line block ×4, first 2 shown]
	ds_load_2addr_b32 v[153:154], v128 offset0:32 offset1:48
	ds_load_2addr_b32 v[157:158], v128 offset0:100 offset1:116
	s_wait_loadcnt_dscnt 0x0
	s_barrier_signal -1
	s_barrier_wait -1
	global_inv scope:SCOPE_SE
	v_perm_b32 v149, v157, v153, 0x7060302
	v_perm_b32 v168, v157, v153, 0x5040100
	;; [unrolled: 1-line block ×4, first 2 shown]
	v_dual_add_f32 v153, 0x40051340, v64 :: v_dual_add_f32 v154, 0x40051340, v65
	v_add_f32_e32 v155, 0x40051340, v140
	s_delay_alu instid0(VALU_DEP_2) | instskip(SKIP_1) | instid1(VALU_DEP_1)
	v_max3_num_f32 v153, v148, v153, v154
	v_add_f32_e32 v154, 0x40051340, v100
	v_max3_num_f32 v153, v153, v154, v155
	v_dual_add_f32 v154, 0x40051340, v145 :: v_dual_add_f32 v155, 0x40051340, v146
	s_delay_alu instid0(VALU_DEP_1) | instskip(SKIP_1) | instid1(VALU_DEP_1)
	v_max3_num_f32 v153, v153, v154, v155
	v_dual_add_f32 v154, 0x40051340, v147 :: v_dual_add_f32 v155, 0x40051340, v136
	v_max3_num_f32 v153, v153, v154, v155
	ds_bpermute_b32 v154, v156, v153
	s_wait_dscnt 0x0
	v_max_num_f32_e32 v154, v154, v154
	s_delay_alu instid0(VALU_DEP_1) | instskip(NEXT) | instid1(VALU_DEP_1)
	v_max_num_f32_e32 v159, v153, v154
	v_sub_f32_e32 v145, v145, v159
	v_sub_f32_e32 v136, v136, v159
	;; [unrolled: 1-line block ×4, first 2 shown]
	s_delay_alu instid0(VALU_DEP_4) | instskip(SKIP_2) | instid1(VALU_DEP_4)
	v_dual_sub_f32 v140, v140, v159 :: v_dual_mul_f32 v153, 0x3fb8aa3b, v145
	v_sub_f32_e32 v100, v100, v159
	v_sub_f32_e32 v65, v65, v159
	v_cmp_ngt_f32_e64 s3, 0xc2ce8ed0, v147
	v_cmp_ngt_f32_e64 s4, 0xc2ce8ed0, v136
	v_fma_f32 v154, 0x3fb8aa3b, v145, -v153
	v_rndne_f32_e32 v155, v153
	v_cmp_ngt_f32_e64 s5, 0xc2ce8ed0, v145
	v_sub_f32_e32 v64, v64, v159
	v_sub_f32_e32 v148, v148, v159
	s_delay_alu instid0(VALU_DEP_4) | instskip(SKIP_1) | instid1(VALU_DEP_2)
	v_dual_fmac_f32 v154, 0x32a5705f, v145 :: v_dual_sub_f32 v153, v153, v155
	v_cvt_i32_f32_e32 v155, v155
	v_add_f32_e32 v153, v153, v154
	v_mul_f32_e32 v154, 0x3fb8aa3b, v146
	s_delay_alu instid0(VALU_DEP_1) | instskip(SKIP_1) | instid1(VALU_DEP_2)
	v_fma_f32 v157, 0x3fb8aa3b, v146, -v154
	v_rndne_f32_e32 v158, v154
	v_fmac_f32_e32 v157, 0x32a5705f, v146
	s_delay_alu instid0(VALU_DEP_2) | instskip(NEXT) | instid1(VALU_DEP_1)
	v_sub_f32_e32 v154, v154, v158
	v_dual_add_f32 v154, v154, v157 :: v_dual_mul_f32 v157, 0x3fb8aa3b, v147
	v_exp_f32_e32 v153, v153
	s_delay_alu instid0(VALU_DEP_1) | instskip(NEXT) | instid1(VALU_DEP_1)
	v_exp_f32_e32 v154, v154
	v_fma_f32 v160, 0x3fb8aa3b, v147, -v157
	v_rndne_f32_e32 v161, v157
	s_delay_alu instid0(VALU_DEP_1) | instskip(NEXT) | instid1(TRANS32_DEP_2)
	v_dual_fmac_f32 v160, 0x32a5705f, v147 :: v_dual_sub_f32 v157, v157, v161
	v_ldexp_f32 v153, v153, v155
	v_cvt_i32_f32_e32 v155, v161
	s_delay_alu instid0(VALU_DEP_3) | instskip(SKIP_1) | instid1(VALU_DEP_2)
	v_add_f32_e32 v157, v157, v160
	v_mul_f32_e32 v160, 0x3fb8aa3b, v136
	v_exp_f32_e32 v157, v157
	s_delay_alu instid0(VALU_DEP_1) | instskip(SKIP_1) | instid1(VALU_DEP_1)
	v_fma_f32 v165, 0x3fb8aa3b, v136, -v160
	v_rndne_f32_e32 v166, v160
	v_dual_fmac_f32 v165, 0x32a5705f, v136 :: v_dual_sub_f32 v160, v160, v166
	v_cmp_ngt_f32_e32 vcc_lo, 0xc2ce8ed0, v146
	s_delay_alu instid0(TRANS32_DEP_1) | instskip(SKIP_1) | instid1(VALU_DEP_4)
	v_ldexp_f32 v155, v157, v155
	v_cvt_i32_f32_e32 v157, v158
	v_add_f32_e32 v160, v160, v165
	s_delay_alu instid0(VALU_DEP_2) | instskip(NEXT) | instid1(VALU_DEP_2)
	v_ldexp_f32 v154, v154, v157
	v_exp_f32_e32 v158, v160
	v_cvt_i32_f32_e32 v157, v166
	s_wait_alu 0xfffd
	s_delay_alu instid0(VALU_DEP_2) | instskip(SKIP_4) | instid1(TRANS32_DEP_1)
	v_cndmask_b32_e32 v154, 0, v154, vcc_lo
	v_cmp_nlt_f32_e32 vcc_lo, 0x42b17218, v146
	s_wait_alu 0xf1ff
	v_cndmask_b32_e64 v146, 0, v155, s3
	v_cmp_nlt_f32_e64 s3, 0x42b17218, v147
	v_ldexp_f32 v157, v158, v157
	s_delay_alu instid0(VALU_DEP_1)
	v_cndmask_b32_e64 v147, 0, v157, s4
	v_cmp_nlt_f32_e64 s4, 0x42b17218, v136
	v_cndmask_b32_e64 v136, 0, v153, s5
	v_cmp_nlt_f32_e64 s5, 0x42b17218, v145
	s_wait_alu 0xf1ff
	v_cndmask_b32_e64 v145, 0x7f800000, v146, s3
	v_cmp_ngt_f32_e64 s3, 0xc2ce8ed0, v100
	v_cndmask_b32_e64 v146, 0x7f800000, v147, s4
	s_wait_alu 0xfffd
	v_cndmask_b32_e32 v147, 0x7f800000, v154, vcc_lo
	v_cndmask_b32_e64 v136, 0x7f800000, v136, s5
	v_cvt_f16_f32_e64 v154, v145
	v_cmp_ngt_f32_e32 vcc_lo, 0xc2ce8ed0, v140
	v_cvt_f16_f32_e64 v155, v146
	v_cvt_f16_f32_e64 v157, v147
	;; [unrolled: 1-line block ×3, first 2 shown]
	s_delay_alu instid0(VALU_DEP_3) | instskip(NEXT) | instid1(VALU_DEP_2)
	v_perm_b32 v222, v155, v154, 0x5040100
	v_perm_b32 v221, v157, v153, 0x5040100
	v_mul_f32_e32 v153, 0x3fb8aa3b, v140
	s_delay_alu instid0(VALU_DEP_1) | instskip(SKIP_1) | instid1(VALU_DEP_1)
	v_fma_f32 v154, 0x3fb8aa3b, v140, -v153
	v_rndne_f32_e32 v155, v153
	v_dual_fmac_f32 v154, 0x32a5705f, v140 :: v_dual_sub_f32 v153, v153, v155
	v_cvt_i32_f32_e32 v155, v155
	s_delay_alu instid0(VALU_DEP_2) | instskip(NEXT) | instid1(VALU_DEP_1)
	v_dual_add_f32 v153, v153, v154 :: v_dual_mul_f32 v154, 0x3fb8aa3b, v100
	v_exp_f32_e32 v153, v153
	s_delay_alu instid0(VALU_DEP_1) | instskip(SKIP_1) | instid1(VALU_DEP_1)
	v_fma_f32 v157, 0x3fb8aa3b, v100, -v154
	v_rndne_f32_e32 v158, v154
	v_dual_fmac_f32 v157, 0x32a5705f, v100 :: v_dual_sub_f32 v154, v154, v158
	s_delay_alu instid0(TRANS32_DEP_1) | instskip(SKIP_1) | instid1(VALU_DEP_3)
	v_ldexp_f32 v153, v153, v155
	v_cvt_i32_f32_e32 v155, v158
	v_add_f32_e32 v154, v154, v157
	s_wait_alu 0xfffd
	s_delay_alu instid0(VALU_DEP_3) | instskip(SKIP_1) | instid1(VALU_DEP_3)
	v_cndmask_b32_e32 v153, 0, v153, vcc_lo
	v_cmp_nlt_f32_e32 vcc_lo, 0x42b17218, v140
	v_exp_f32_e32 v154, v154
	s_delay_alu instid0(TRANS32_DEP_1) | instskip(SKIP_1) | instid1(VALU_DEP_1)
	v_ldexp_f32 v154, v154, v155
	s_wait_alu 0xf1ff
	v_cndmask_b32_e64 v140, 0, v154, s3
	v_cmp_nlt_f32_e64 s3, 0x42b17218, v100
	s_wait_alu 0xf1ff
	s_delay_alu instid0(VALU_DEP_1)
	v_cndmask_b32_e64 v100, 0x7f800000, v140, s3
	s_wait_alu 0xfffd
	v_cndmask_b32_e32 v140, 0x7f800000, v153, vcc_lo
	v_cmp_ngt_f32_e32 vcc_lo, 0xc2ce8ed0, v65
	v_cmp_ngt_f32_e64 s3, 0xc2ce8ed0, v64
	v_cvt_f16_f32_e64 v153, v100
	s_delay_alu instid0(VALU_DEP_4) | instskip(NEXT) | instid1(VALU_DEP_1)
	v_cvt_f16_f32_e64 v154, v140
	v_perm_b32 v220, v154, v153, 0x5040100
	v_mul_f32_e32 v153, 0x3fb8aa3b, v65
	s_delay_alu instid0(VALU_DEP_1) | instskip(SKIP_1) | instid1(VALU_DEP_1)
	v_fma_f32 v154, 0x3fb8aa3b, v65, -v153
	v_rndne_f32_e32 v155, v153
	v_dual_fmac_f32 v154, 0x32a5705f, v65 :: v_dual_sub_f32 v153, v153, v155
	v_cvt_i32_f32_e32 v155, v155
	s_delay_alu instid0(VALU_DEP_2) | instskip(NEXT) | instid1(VALU_DEP_1)
	v_dual_add_f32 v153, v153, v154 :: v_dual_mul_f32 v154, 0x3fb8aa3b, v64
	v_exp_f32_e32 v153, v153
	s_delay_alu instid0(VALU_DEP_1) | instskip(SKIP_1) | instid1(VALU_DEP_1)
	v_fma_f32 v157, 0x3fb8aa3b, v64, -v154
	v_rndne_f32_e32 v158, v154
	v_dual_fmac_f32 v157, 0x32a5705f, v64 :: v_dual_sub_f32 v154, v154, v158
	s_delay_alu instid0(TRANS32_DEP_1) | instskip(SKIP_1) | instid1(VALU_DEP_3)
	v_ldexp_f32 v153, v153, v155
	v_cvt_i32_f32_e32 v155, v158
	v_add_f32_e32 v154, v154, v157
	s_wait_alu 0xfffd
	s_delay_alu instid0(VALU_DEP_3) | instskip(SKIP_1) | instid1(VALU_DEP_3)
	v_cndmask_b32_e32 v153, 0, v153, vcc_lo
	v_cmp_nlt_f32_e32 vcc_lo, 0x42b17218, v65
	v_exp_f32_e32 v154, v154
	s_delay_alu instid0(TRANS32_DEP_1) | instskip(SKIP_1) | instid1(VALU_DEP_1)
	v_ldexp_f32 v154, v154, v155
	s_wait_alu 0xf1ff
	v_cndmask_b32_e64 v65, 0, v154, s3
	v_cmp_nlt_f32_e64 s3, 0x42b17218, v64
	s_wait_alu 0xf1ff
	s_delay_alu instid0(VALU_DEP_1) | instskip(SKIP_2) | instid1(VALU_DEP_2)
	v_cndmask_b32_e64 v64, 0x7f800000, v65, s3
	s_wait_alu 0xfffd
	v_cndmask_b32_e32 v65, 0x7f800000, v153, vcc_lo
	v_cvt_f16_f32_e64 v153, v64
	s_delay_alu instid0(VALU_DEP_2) | instskip(SKIP_1) | instid1(VALU_DEP_2)
	v_cvt_f16_f32_e64 v154, v65
	v_dual_add_f32 v64, v64, v65 :: v_dual_mov_b32 v65, v253
	v_perm_b32 v219, v154, v153, 0x5040100
	v_mul_f32_e32 v153, 0x3fb8aa3b, v148
	s_delay_alu instid0(VALU_DEP_3) | instskip(NEXT) | instid1(VALU_DEP_2)
	v_add_f32_e32 v64, v100, v64
	v_fma_f32 v154, 0x3fb8aa3b, v148, -v153
	v_rndne_f32_e32 v155, v153
	s_delay_alu instid0(VALU_DEP_1) | instskip(NEXT) | instid1(VALU_DEP_1)
	v_dual_fmac_f32 v154, 0x32a5705f, v148 :: v_dual_sub_f32 v153, v153, v155
	v_dual_add_f32 v64, v140, v64 :: v_dual_add_f32 v153, v153, v154
	v_cvt_i32_f32_e32 v154, v155
	v_cmp_ngt_f32_e32 vcc_lo, 0xc2ce8ed0, v148
	s_delay_alu instid0(VALU_DEP_3) | instskip(NEXT) | instid1(VALU_DEP_4)
	v_add_f32_e32 v64, v136, v64
	v_exp_f32_e32 v153, v153
	s_delay_alu instid0(VALU_DEP_1) | instskip(NEXT) | instid1(VALU_DEP_1)
	v_add_f32_e32 v64, v147, v64
	v_add_f32_e32 v64, v145, v64
	s_delay_alu instid0(TRANS32_DEP_1) | instskip(NEXT) | instid1(VALU_DEP_2)
	v_ldexp_f32 v153, v153, v154
	v_add_f32_e32 v253, v146, v64
	s_wait_alu 0xfffd
	s_delay_alu instid0(VALU_DEP_2) | instskip(SKIP_2) | instid1(VALU_DEP_2)
	v_cndmask_b32_e32 v153, 0, v153, vcc_lo
	v_cmp_nlt_f32_e32 vcc_lo, 0x42b17218, v148
	s_wait_alu 0xfffd
	v_cndmask_b32_e32 v153, 0x7f800000, v153, vcc_lo
	v_cmp_le_f32_e32 vcc_lo, 0xc1a00000, v148
	s_wait_alu 0xfffd
	s_delay_alu instid0(VALU_DEP_2) | instskip(NEXT) | instid1(VALU_DEP_1)
	v_cndmask_b32_e32 v148, 0, v153, vcc_lo
	v_cvt_f16_f32_e64 v153, v148
	v_fmac_f32_e32 v253, v65, v148
	s_delay_alu instid0(VALU_DEP_2) | instskip(NEXT) | instid1(VALU_DEP_1)
	v_and_b32_e32 v153, 0xffff, v153
	v_mul_u32_u24_e32 v153, 0x10001, v153
	s_delay_alu instid0(VALU_DEP_1)
	v_pk_mul_f16 v28, v28, v153
	v_pk_mul_f16 v29, v29, v153
	;; [unrolled: 1-line block ×32, first 2 shown]
	v_wmma_f16_16x16x16_f16 v[28:31], v[113:116], v[219:222], v[28:31]
	v_wmma_f16_16x16x16_f16 v[20:23], v[103:106], v[219:222], v[20:23]
	;; [unrolled: 1-line block ×8, first 2 shown]
	s_cbranch_scc1 .LBB24_51
	s_branch .LBB24_54
.LBB24_52:                              ;   in Loop: Header=BB24_12 Depth=1
	s_cbranch_execz .LBB24_11
	s_branch .LBB24_143
.LBB24_53:                              ;   in Loop: Header=BB24_12 Depth=1
	v_mov_b32_e32 v23, 0
	s_delay_alu instid0(VALU_DEP_1) | instskip(NEXT) | instid1(VALU_DEP_1)
	v_dual_mov_b32 v31, 0 :: v_dual_mov_b32 v22, v23
	v_dual_mov_b32 v159, 0xfeffffff :: v_dual_mov_b32 v30, v31
	;; [unrolled: 1-line block ×16, first 2 shown]
	v_mov_b32_e32 v1, v23
.LBB24_54:                              ;   in Loop: Header=BB24_12 Depth=1
	s_lshl_b32 s4, s96, 5
	v_lshlrev_b32_e32 v64, 1, v122
	s_wait_alu 0xfffe
	s_ashr_i32 s5, s4, 31
	v_lshlrev_b64_e32 v[101:102], 1, v[111:112]
	s_wait_alu 0xfffe
	s_lshl_b64 s[94:95], s[4:5], 1
	v_lshlrev_b64_e32 v[103:104], 1, v[109:110]
	s_wait_alu 0xfffe
	s_add_nc_u64 s[94:95], s[80:81], s[94:95]
	v_add_nc_u32_e32 v100, v184, v182
	s_wait_alu 0xfffe
	v_add_co_u32 v64, s3, s94, v64
	s_wait_alu 0xf1ff
	v_add_co_ci_u32_e64 v65, null, s95, 0, s3
	s_mul_u64 s[94:95], s[26:27], s[4:5]
	v_add_co_u32 v101, vcc_lo, v64, v101
	s_wait_alu 0xfffd
	v_add_co_ci_u32_e64 v102, null, v65, v102, vcc_lo
	v_add_co_u32 v103, vcc_lo, v64, v103
	s_wait_alu 0xfffd
	v_add_co_ci_u32_e64 v104, null, v65, v104, vcc_lo
	s_clause 0x1
	global_load_b32 v64, v[101:102], off
	global_load_b32 v65, v[103:104], off
	v_add_nc_u32_e32 v100, 0x2000, v100
	s_wait_alu 0xfffe
	s_lshl_b64 s[94:95], s[94:95], 2
	s_mul_u64 s[4:5], s[36:37], s[4:5]
	s_wait_alu 0xfffe
	s_add_nc_u64 s[94:95], s[78:79], s[94:95]
	s_lshl_b64 s[4:5], s[4:5], 2
	s_cmp_eq_u64 s[74:75], 0
	s_wait_alu 0xfffe
	s_add_nc_u64 s[4:5], s[76:77], s[4:5]
	s_wait_loadcnt 0x0
	ds_store_2addr_b32 v100, v64, v65 offset0:128 offset1:208
	v_add_co_u32 v64, vcc_lo, s94, v82
	s_wait_alu 0xfffd
	v_add_co_ci_u32_e64 v65, null, s95, v83, vcc_lo
	s_delay_alu instid0(VALU_DEP_2) | instskip(SKIP_1) | instid1(VALU_DEP_2)
	v_add_co_u32 v101, vcc_lo, v64, v180
	s_wait_alu 0xfffd
	v_add_co_ci_u32_e64 v102, null, 0, v65, vcc_lo
	v_add_co_u32 v64, vcc_lo, s94, v84
	s_wait_alu 0xfffd
	v_add_co_ci_u32_e64 v65, null, s95, v85, vcc_lo
	s_delay_alu instid0(VALU_DEP_2) | instskip(SKIP_1) | instid1(VALU_DEP_2)
	v_add_co_u32 v105, vcc_lo, v64, v180
	s_wait_alu 0xfffd
	v_add_co_ci_u32_e64 v106, null, 0, v65, vcc_lo
	s_clause 0x1
	global_load_b128 v[101:104], v[101:102], off
	global_load_b128 v[109:112], v[105:106], off
	v_add_co_u32 v64, vcc_lo, s94, v86
	s_wait_alu 0xfffd
	v_add_co_ci_u32_e64 v65, null, s95, v87, vcc_lo
	s_wait_loadcnt 0x1
	ds_store_b128 v125, v[101:104]
	s_wait_loadcnt 0x0
	ds_store_b128 v185, v[109:112]
	v_add_co_u32 v101, vcc_lo, v64, v180
	s_wait_alu 0xfffd
	v_add_co_ci_u32_e64 v102, null, 0, v65, vcc_lo
	v_add_co_u32 v64, vcc_lo, s94, v88
	s_wait_alu 0xfffd
	v_add_co_ci_u32_e64 v65, null, s95, v89, vcc_lo
	s_delay_alu instid0(VALU_DEP_2) | instskip(SKIP_1) | instid1(VALU_DEP_2)
	v_add_co_u32 v105, vcc_lo, v64, v180
	s_wait_alu 0xfffd
	v_add_co_ci_u32_e64 v106, null, 0, v65, vcc_lo
	s_clause 0x1
	global_load_b128 v[101:104], v[101:102], off
	global_load_b128 v[109:112], v[105:106], off
	v_add_co_u32 v64, vcc_lo, s94, v90
	s_wait_alu 0xfffd
	v_add_co_ci_u32_e64 v65, null, s95, v91, vcc_lo
	s_wait_loadcnt 0x1
	ds_store_b128 v186, v[101:104]
	s_wait_loadcnt 0x0
	ds_store_b128 v187, v[109:112]
	;; [unrolled: 20-line block ×3, first 2 shown]
	v_add_co_u32 v101, vcc_lo, v64, v180
	s_wait_alu 0xfffd
	v_add_co_ci_u32_e64 v102, null, 0, v65, vcc_lo
	v_add_co_u32 v64, vcc_lo, s94, v97
	s_wait_alu 0xfffd
	v_add_co_ci_u32_e64 v65, null, s95, v98, vcc_lo
	s_delay_alu instid0(VALU_DEP_2) | instskip(SKIP_1) | instid1(VALU_DEP_2)
	v_add_co_u32 v105, vcc_lo, v64, v180
	s_wait_alu 0xfffd
	v_add_co_ci_u32_e64 v106, null, 0, v65, vcc_lo
	s_clause 0x1
	global_load_b128 v[101:104], v[101:102], off
	global_load_b128 v[109:112], v[105:106], off
	v_cmp_lt_i32_e32 vcc_lo, v254, v178
	s_wait_loadcnt 0x1
	ds_store_b128 v191, v[101:104]
	s_wait_loadcnt 0x0
	ds_store_b128 v192, v[109:112]
	s_wait_dscnt 0x0
	s_barrier_signal -1
	s_barrier_wait -1
	global_inv scope:SCOPE_SE
	ds_load_b128 v[101:104], v126
	ds_load_b128 v[117:120], v126 offset:32
	s_wait_dscnt 0x1
	v_wmma_f32_16x16x16_f16 v[109:116], v[101:104], v[60:63], 0
	s_wait_dscnt 0x0
	s_delay_alu instid0(VALU_DEP_1)
	v_wmma_f32_16x16x16_f16 v[109:116], v[117:120], v[56:59], v[109:116]
	ds_load_b128 v[56:59], v126 offset:64
	ds_load_b128 v[60:63], v126 offset:96
	s_wait_dscnt 0x1
	v_wmma_f32_16x16x16_f16 v[109:116], v[56:59], v[52:55], v[109:116]
	v_add_nc_u32_e32 v59, 0x400, v128
	s_wait_dscnt 0x0
	s_delay_alu instid0(VALU_DEP_2)
	v_wmma_f32_16x16x16_f16 v[109:116], v[60:63], v[48:51], v[109:116]
	ds_load_b128 v[48:51], v126 offset:128
	ds_load_b128 v[52:55], v126 offset:160
	s_wait_dscnt 0x1
	v_wmma_f32_16x16x16_f16 v[109:116], v[48:51], v[40:43], v[109:116]
	s_wait_dscnt 0x0
	s_delay_alu instid0(VALU_DEP_1)
	v_wmma_f32_16x16x16_f16 v[109:116], v[52:55], v[44:47], v[109:116]
	ds_load_b128 v[40:43], v126 offset:192
	ds_load_b128 v[44:47], v126 offset:224
	s_wait_loadcnt_dscnt 0x0
	s_barrier_signal -1
	s_barrier_wait -1
	global_inv scope:SCOPE_SE
	v_wmma_f32_16x16x16_f16 v[109:116], v[40:43], v[36:39], v[109:116]
	s_delay_alu instid0(VALU_DEP_1)
	v_wmma_f32_16x16x16_f16 v[109:116], v[44:47], v[32:35], v[109:116]
	v_add_nc_u32_e32 v32, 0x2200, v127
	v_add_nc_u32_e32 v34, 0x2208, v127
	ds_load_2addr_b32 v[32:33], v32 offset1:1
	ds_load_2addr_b32 v[34:35], v34 offset1:1
	s_wait_dscnt 0x1
	v_cvt_f32_f16_e32 v36, v32
	v_lshrrev_b32_e32 v32, 16, v32
	v_cvt_f32_f16_e32 v37, v33
	v_lshrrev_b32_e32 v33, 16, v33
	s_wait_dscnt 0x0
	v_lshrrev_b32_e32 v38, 16, v35
	v_cvt_f32_f16_e32 v42, v34
	v_cvt_f32_f16_e32 v32, v32
	v_lshrrev_b32_e32 v34, 16, v34
	v_cvt_f32_f16_e32 v33, v33
	v_cvt_f32_f16_e32 v43, v38
	v_add_f32_e32 v38, v109, v36
	v_add_f32_e32 v39, v110, v32
	v_cvt_f32_f16_e32 v34, v34
	v_dual_add_f32 v41, v112, v33 :: v_dual_add_f32 v64, v113, v42
	v_add_f32_e32 v40, v111, v37
	s_delay_alu instid0(VALU_DEP_4) | instskip(SKIP_1) | instid1(VALU_DEP_4)
	v_dual_add_f32 v32, 0x40051340, v38 :: v_dual_add_f32 v33, 0x40051340, v39
	v_cvt_f32_f16_e32 v35, v35
	v_dual_add_f32 v65, v114, v34 :: v_dual_add_f32 v34, 0x40051340, v41
	s_delay_alu instid0(VALU_DEP_3) | instskip(NEXT) | instid1(VALU_DEP_3)
	v_max3_num_f32 v32, v159, v32, v33
	v_dual_add_f32 v33, 0x40051340, v40 :: v_dual_add_f32 v100, v115, v35
	v_add_f32_e32 v42, v116, v43
	s_delay_alu instid0(VALU_DEP_2) | instskip(SKIP_1) | instid1(VALU_DEP_1)
	v_max3_num_f32 v32, v32, v33, v34
	v_dual_add_f32 v33, 0x40051340, v64 :: v_dual_add_f32 v34, 0x40051340, v65
	v_max3_num_f32 v32, v32, v33, v34
	s_delay_alu instid0(VALU_DEP_4) | instskip(NEXT) | instid1(VALU_DEP_1)
	v_dual_add_f32 v33, 0x40051340, v100 :: v_dual_add_f32 v34, 0x40051340, v42
	v_max3_num_f32 v32, v32, v33, v34
	s_wait_alu 0xfffd
	v_cndmask_b32_e32 v33, v251, v254, vcc_lo
	s_delay_alu instid0(VALU_DEP_1) | instskip(SKIP_3) | instid1(VALU_DEP_1)
	v_lshlrev_b32_e32 v36, 2, v33
	ds_bpermute_b32 v33, v36, v32
	s_wait_dscnt 0x0
	v_max_num_f32_e32 v33, v33, v33
	v_max_num_f32_e32 v37, v32, v33
	s_delay_alu instid0(VALU_DEP_1)
	v_sub_f32_e32 v32, v159, v37
	v_sub_f32_e32 v42, v42, v37
	;; [unrolled: 1-line block ×5, first 2 shown]
	v_dual_mul_f32 v33, 0x3fb8aa3b, v32 :: v_dual_sub_f32 v100, v100, v37
	v_sub_f32_e32 v40, v40, v37
	v_sub_f32_e32 v38, v38, v37
	s_delay_alu instid0(VALU_DEP_3) | instskip(SKIP_2) | instid1(VALU_DEP_2)
	v_fma_f32 v34, 0x3fb8aa3b, v32, -v33
	v_rndne_f32_e32 v35, v33
	v_cmp_ngt_f32_e64 s3, 0xc2ce8ed0, v100
	v_dual_fmac_f32 v34, 0x32a5705f, v32 :: v_dual_sub_f32 v33, v33, v35
	s_delay_alu instid0(VALU_DEP_1) | instskip(SKIP_2) | instid1(VALU_DEP_3)
	v_add_f32_e32 v33, v33, v34
	v_cvt_i32_f32_e32 v34, v35
	v_cmp_ngt_f32_e32 vcc_lo, 0xc2ce8ed0, v32
	v_exp_f32_e32 v33, v33
	s_delay_alu instid0(TRANS32_DEP_1) | instskip(SKIP_1) | instid1(VALU_DEP_1)
	v_ldexp_f32 v33, v33, v34
	s_wait_alu 0xfffd
	v_cndmask_b32_e32 v33, 0, v33, vcc_lo
	v_cmp_nlt_f32_e32 vcc_lo, 0x42b17218, v32
	s_wait_alu 0xfffd
	s_delay_alu instid0(VALU_DEP_2) | instskip(SKIP_2) | instid1(VALU_DEP_2)
	v_cndmask_b32_e32 v33, 0x7f800000, v33, vcc_lo
	v_cmp_le_f32_e32 vcc_lo, 0xc1a00000, v32
	s_wait_alu 0xfffd
	v_cndmask_b32_e32 v117, 0, v33, vcc_lo
	s_delay_alu instid0(VALU_DEP_1) | instskip(NEXT) | instid1(VALU_DEP_1)
	v_cvt_f16_f32_e32 v32, v117
	v_and_b32_e32 v32, 0xffff, v32
	s_delay_alu instid0(VALU_DEP_1) | instskip(NEXT) | instid1(VALU_DEP_1)
	v_mul_u32_u24_e32 v43, 0x10001, v32
	v_pk_mul_f16 v32, v20, v43
	v_pk_mul_f16 v20, v24, v43
	s_wait_alu 0xfffe
	v_add_co_u32 v24, vcc_lo, s4, v66
	v_pk_mul_f16 v33, v21, v43
	v_pk_mul_f16 v21, v25, v43
	s_wait_alu 0xfffd
	v_add_co_ci_u32_e64 v25, null, s5, v67, vcc_lo
	v_add_co_u32 v24, vcc_lo, v24, v180
	v_pk_mul_f16 v34, v22, v43
	v_pk_mul_f16 v22, v26, v43
	s_wait_alu 0xfffd
	v_add_co_ci_u32_e64 v25, null, 0, v25, vcc_lo
	;; [unrolled: 5-line block ×3, first 2 shown]
	v_pk_mul_f16 v28, v28, v43
	v_pk_mul_f16 v29, v29, v43
	;; [unrolled: 1-line block ×24, first 2 shown]
	v_add_co_u32 v43, vcc_lo, v26, v180
	s_wait_alu 0xfffd
	v_add_co_ci_u32_e64 v44, null, 0, v27, vcc_lo
	s_clause 0x1
	global_load_b128 v[24:27], v[24:25], off
	global_load_b128 v[43:46], v[43:44], off
	s_wait_loadcnt 0x1
	ds_store_b128 v125, v[24:27]
	s_wait_loadcnt 0x0
	ds_store_b128 v185, v[43:46]
	v_add_co_u32 v24, vcc_lo, s4, v70
	s_wait_alu 0xfffd
	v_add_co_ci_u32_e64 v25, null, s5, v71, vcc_lo
	s_delay_alu instid0(VALU_DEP_2) | instskip(SKIP_1) | instid1(VALU_DEP_2)
	v_add_co_u32 v24, vcc_lo, v24, v180
	s_wait_alu 0xfffd
	v_add_co_ci_u32_e64 v25, null, 0, v25, vcc_lo
	v_add_co_u32 v26, vcc_lo, s4, v72
	s_wait_alu 0xfffd
	v_add_co_ci_u32_e64 v27, null, s5, v73, vcc_lo
	s_delay_alu instid0(VALU_DEP_2) | instskip(SKIP_1) | instid1(VALU_DEP_2)
	v_add_co_u32 v43, vcc_lo, v26, v180
	s_wait_alu 0xfffd
	v_add_co_ci_u32_e64 v44, null, 0, v27, vcc_lo
	s_clause 0x1
	global_load_b128 v[24:27], v[24:25], off
	global_load_b128 v[43:46], v[43:44], off
	s_wait_loadcnt 0x1
	ds_store_b128 v186, v[24:27]
	s_wait_loadcnt 0x0
	ds_store_b128 v187, v[43:46]
	v_add_co_u32 v24, vcc_lo, s4, v74
	s_wait_alu 0xfffd
	v_add_co_ci_u32_e64 v25, null, s5, v75, vcc_lo
	s_delay_alu instid0(VALU_DEP_2) | instskip(SKIP_1) | instid1(VALU_DEP_2)
	v_add_co_u32 v24, vcc_lo, v24, v180
	s_wait_alu 0xfffd
	v_add_co_ci_u32_e64 v25, null, 0, v25, vcc_lo
	v_add_co_u32 v26, vcc_lo, s4, v76
	s_wait_alu 0xfffd
	v_add_co_ci_u32_e64 v27, null, s5, v77, vcc_lo
	s_delay_alu instid0(VALU_DEP_2) | instskip(SKIP_1) | instid1(VALU_DEP_2)
	;; [unrolled: 21-line block ×3, first 2 shown]
	v_add_co_u32 v43, vcc_lo, v26, v180
	s_wait_alu 0xfffd
	v_add_co_ci_u32_e64 v44, null, 0, v27, vcc_lo
	s_clause 0x1
	global_load_b128 v[24:27], v[24:25], off
	global_load_b128 v[43:46], v[43:44], off
	s_wait_loadcnt 0x1
	ds_store_b128 v191, v[24:27]
	s_wait_loadcnt 0x0
	ds_store_b128 v192, v[43:46]
	s_wait_dscnt 0x0
	s_barrier_signal -1
	s_barrier_wait -1
	global_inv scope:SCOPE_SE
	ds_load_2addr_b32 v[24:25], v59 offset0:16 offset1:32
	ds_load_2addr_b32 v[43:44], v59 offset0:84 offset1:100
	ds_load_2addr_b32 v[46:47], v129 offset1:16
	ds_load_2addr_b32 v[50:51], v130 offset1:16
	v_cmp_ngt_f32_e32 vcc_lo, 0xc2ce8ed0, v65
	s_wait_dscnt 0x2
	v_perm_b32 v49, v44, v25, 0x7060302
	v_perm_b32 v53, v44, v25, 0x5040100
	s_wait_dscnt 0x0
	v_perm_b32 v27, v50, v46, 0x7060302
	v_perm_b32 v46, v50, v46, 0x5040100
	;; [unrolled: 1-line block ×4, first 2 shown]
	ds_load_2addr_b32 v[51:52], v128 offset0:136 offset1:152
	ds_load_2addr_b32 v[55:56], v128 offset0:204 offset1:220
	v_perm_b32 v26, v43, v24, 0x7060302
	v_perm_b32 v45, v43, v24, 0x5040100
	s_wait_dscnt 0x0
	v_perm_b32 v25, v55, v51, 0x7060302
	v_perm_b32 v44, v55, v51, 0x5040100
	;; [unrolled: 1-line block ×4, first 2 shown]
	ds_load_2addr_b32 v[55:56], v128 offset1:16
	ds_load_2addr_b32 v[57:58], v128 offset0:68 offset1:84
	s_wait_dscnt 0x0
	v_perm_b32 v24, v57, v55, 0x7060302
	v_perm_b32 v43, v57, v55, 0x5040100
	;; [unrolled: 1-line block ×4, first 2 shown]
	ds_load_2addr_b32 v[55:56], v59 offset0:48 offset1:64
	ds_load_2addr_b32 v[59:60], v59 offset0:116 offset1:132
	;; [unrolled: 1-line block ×6, first 2 shown]
	s_wait_dscnt 0x4
	v_perm_b32 v103, v60, v56, 0x7060302
	v_perm_b32 v111, v60, v56, 0x5040100
	s_wait_dscnt 0x2
	v_perm_b32 v104, v102, v63, 0x7060302
	v_perm_b32 v112, v102, v63, 0x5040100
	;; [unrolled: 3-line block ×3, first 2 shown]
	v_perm_b32 v102, v110, v106, 0x7060302
	v_perm_b32 v110, v110, v106, 0x5040100
	ds_load_2addr_b32 v[105:106], v128 offset0:32 offset1:48
	ds_load_2addr_b32 v[113:114], v128 offset0:100 offset1:116
	v_sub_f32_e32 v63, v64, v37
	v_perm_b32 v57, v59, v55, 0x7060302
	v_perm_b32 v58, v101, v62, 0x7060302
	;; [unrolled: 1-line block ×4, first 2 shown]
	v_mul_f32_e32 v64, 0x3fb8aa3b, v63
	v_cmp_ngt_f32_e64 s5, 0xc2ce8ed0, v63
	s_wait_loadcnt_dscnt 0x0
	s_barrier_signal -1
	s_barrier_wait -1
	global_inv scope:SCOPE_SE
	v_perm_b32 v55, v113, v105, 0x7060302
	v_perm_b32 v59, v113, v105, 0x5040100
	;; [unrolled: 1-line block ×4, first 2 shown]
	v_fma_f32 v105, 0x3fb8aa3b, v63, -v64
	v_rndne_f32_e32 v106, v64
	s_delay_alu instid0(VALU_DEP_1) | instskip(SKIP_1) | instid1(VALU_DEP_2)
	v_dual_fmac_f32 v105, 0x32a5705f, v63 :: v_dual_sub_f32 v64, v64, v106
	v_cvt_i32_f32_e32 v106, v106
	v_add_f32_e32 v64, v64, v105
	v_mul_f32_e32 v105, 0x3fb8aa3b, v65
	s_delay_alu instid0(VALU_DEP_2) | instskip(NEXT) | instid1(VALU_DEP_1)
	v_exp_f32_e32 v64, v64
	v_fma_f32 v113, 0x3fb8aa3b, v65, -v105
	v_rndne_f32_e32 v114, v105
	s_delay_alu instid0(VALU_DEP_2) | instskip(NEXT) | instid1(VALU_DEP_2)
	v_fmac_f32_e32 v113, 0x32a5705f, v65
	v_sub_f32_e32 v105, v105, v114
	s_delay_alu instid0(TRANS32_DEP_1) | instskip(SKIP_1) | instid1(VALU_DEP_3)
	v_ldexp_f32 v64, v64, v106
	v_cvt_i32_f32_e32 v106, v114
	v_add_f32_e32 v105, v105, v113
	v_mul_f32_e32 v113, 0x3fb8aa3b, v100
	s_delay_alu instid0(VALU_DEP_2) | instskip(NEXT) | instid1(VALU_DEP_1)
	v_exp_f32_e32 v105, v105
	v_fma_f32 v115, 0x3fb8aa3b, v100, -v113
	v_rndne_f32_e32 v116, v113
	s_delay_alu instid0(VALU_DEP_2) | instskip(NEXT) | instid1(VALU_DEP_2)
	v_fmac_f32_e32 v115, 0x32a5705f, v100
	v_sub_f32_e32 v113, v113, v116
	s_delay_alu instid0(TRANS32_DEP_1) | instskip(NEXT) | instid1(VALU_DEP_2)
	v_ldexp_f32 v105, v105, v106
	v_add_f32_e32 v113, v113, v115
	v_mul_f32_e32 v115, 0x3fb8aa3b, v42
	s_wait_alu 0xfffd
	s_delay_alu instid0(VALU_DEP_3)
	v_cndmask_b32_e32 v105, 0, v105, vcc_lo
	v_cmp_nlt_f32_e32 vcc_lo, 0x42b17218, v65
	v_exp_f32_e32 v106, v113
	v_fma_f32 v118, 0x3fb8aa3b, v42, -v115
	v_rndne_f32_e32 v119, v115
	v_cvt_i32_f32_e32 v113, v116
	s_delay_alu instid0(VALU_DEP_2)
	v_dual_sub_f32 v115, v115, v119 :: v_dual_fmac_f32 v118, 0x32a5705f, v42
	v_cvt_i32_f32_e32 v114, v119
	s_delay_alu instid0(TRANS32_DEP_1) | instid1(VALU_DEP_3)
	v_ldexp_f32 v106, v106, v113
	v_cmp_ngt_f32_e64 s4, 0xc2ce8ed0, v42
	s_delay_alu instid0(VALU_DEP_4) | instskip(SKIP_1) | instid1(VALU_DEP_3)
	v_add_f32_e32 v115, v115, v118
	s_wait_alu 0xf1ff
	v_cndmask_b32_e64 v65, 0, v106, s3
	v_cmp_nlt_f32_e64 s3, 0x42b17218, v100
	s_delay_alu instid0(VALU_DEP_3) | instskip(NEXT) | instid1(TRANS32_DEP_1)
	v_exp_f32_e32 v113, v115
	v_ldexp_f32 v113, v113, v114
	s_delay_alu instid0(VALU_DEP_1)
	v_cndmask_b32_e64 v100, 0, v113, s4
	v_cmp_nlt_f32_e64 s4, 0x42b17218, v42
	v_cndmask_b32_e64 v42, 0, v64, s5
	v_cmp_nlt_f32_e64 s5, 0x42b17218, v63
	s_wait_alu 0xf1ff
	v_cndmask_b32_e64 v63, 0x7f800000, v65, s3
	s_wait_alu 0xfffd
	v_cndmask_b32_e32 v65, 0x7f800000, v105, vcc_lo
	v_cndmask_b32_e64 v64, 0x7f800000, v100, s4
	v_cmp_ngt_f32_e32 vcc_lo, 0xc2ce8ed0, v41
	v_cndmask_b32_e64 v42, 0x7f800000, v42, s5
	v_cvt_f16_f32_e32 v105, v63
	v_cvt_f16_f32_e32 v113, v65
	;; [unrolled: 1-line block ×3, first 2 shown]
	v_cmp_ngt_f32_e64 s3, 0xc2ce8ed0, v40
	v_cvt_f16_f32_e32 v100, v42
	s_delay_alu instid0(VALU_DEP_3) | instskip(NEXT) | instid1(VALU_DEP_2)
	v_perm_b32 v116, v106, v105, 0x5040100
	v_perm_b32 v115, v113, v100, 0x5040100
	v_mul_f32_e32 v100, 0x3fb8aa3b, v41
	s_delay_alu instid0(VALU_DEP_1) | instskip(SKIP_1) | instid1(VALU_DEP_1)
	v_fma_f32 v105, 0x3fb8aa3b, v41, -v100
	v_rndne_f32_e32 v106, v100
	v_dual_fmac_f32 v105, 0x32a5705f, v41 :: v_dual_sub_f32 v100, v100, v106
	v_cvt_i32_f32_e32 v106, v106
	s_delay_alu instid0(VALU_DEP_2) | instskip(NEXT) | instid1(VALU_DEP_1)
	v_dual_add_f32 v100, v100, v105 :: v_dual_mul_f32 v105, 0x3fb8aa3b, v40
	v_exp_f32_e32 v100, v100
	s_delay_alu instid0(VALU_DEP_1) | instskip(SKIP_1) | instid1(VALU_DEP_2)
	v_fma_f32 v113, 0x3fb8aa3b, v40, -v105
	v_rndne_f32_e32 v114, v105
	v_fmac_f32_e32 v113, 0x32a5705f, v40
	s_delay_alu instid0(VALU_DEP_2) | instskip(NEXT) | instid1(TRANS32_DEP_1)
	v_sub_f32_e32 v105, v105, v114
	v_ldexp_f32 v100, v100, v106
	v_cvt_i32_f32_e32 v106, v114
	s_wait_alu 0xfffd
	s_delay_alu instid0(VALU_DEP_2) | instskip(SKIP_1) | instid1(VALU_DEP_2)
	v_dual_add_f32 v105, v105, v113 :: v_dual_cndmask_b32 v100, 0, v100
	v_cmp_nlt_f32_e32 vcc_lo, 0x42b17218, v41
	v_exp_f32_e32 v105, v105
	s_delay_alu instid0(TRANS32_DEP_1) | instskip(SKIP_1) | instid1(VALU_DEP_1)
	v_ldexp_f32 v105, v105, v106
	s_wait_alu 0xf1ff
	v_cndmask_b32_e64 v41, 0, v105, s3
	v_cmp_nlt_f32_e64 s3, 0x42b17218, v40
	s_wait_alu 0xf1ff
	s_delay_alu instid0(VALU_DEP_1)
	v_cndmask_b32_e64 v40, 0x7f800000, v41, s3
	s_wait_alu 0xfffd
	v_cndmask_b32_e32 v41, 0x7f800000, v100, vcc_lo
	v_cmp_ngt_f32_e32 vcc_lo, 0xc2ce8ed0, v39
	v_cmp_ngt_f32_e64 s3, 0xc2ce8ed0, v38
	v_cvt_f16_f32_e32 v100, v40
	s_delay_alu instid0(VALU_DEP_4) | instskip(NEXT) | instid1(VALU_DEP_1)
	v_cvt_f16_f32_e32 v105, v41
	v_perm_b32 v114, v105, v100, 0x5040100
	v_mul_f32_e32 v100, 0x3fb8aa3b, v39
	s_delay_alu instid0(VALU_DEP_1) | instskip(SKIP_1) | instid1(VALU_DEP_1)
	v_fma_f32 v105, 0x3fb8aa3b, v39, -v100
	v_rndne_f32_e32 v106, v100
	v_dual_fmac_f32 v105, 0x32a5705f, v39 :: v_dual_sub_f32 v100, v100, v106
	v_cvt_i32_f32_e32 v106, v106
	s_delay_alu instid0(VALU_DEP_2) | instskip(NEXT) | instid1(VALU_DEP_1)
	v_dual_add_f32 v100, v100, v105 :: v_dual_mul_f32 v105, 0x3fb8aa3b, v38
	v_exp_f32_e32 v100, v100
	s_delay_alu instid0(VALU_DEP_1) | instskip(SKIP_1) | instid1(VALU_DEP_2)
	v_fma_f32 v113, 0x3fb8aa3b, v38, -v105
	v_rndne_f32_e32 v118, v105
	v_fmac_f32_e32 v113, 0x32a5705f, v38
	s_delay_alu instid0(VALU_DEP_2) | instskip(NEXT) | instid1(TRANS32_DEP_1)
	v_sub_f32_e32 v105, v105, v118
	v_ldexp_f32 v100, v100, v106
	v_cvt_i32_f32_e32 v106, v118
	s_wait_alu 0xfffd
	s_delay_alu instid0(VALU_DEP_2) | instskip(SKIP_1) | instid1(VALU_DEP_2)
	v_dual_add_f32 v105, v105, v113 :: v_dual_cndmask_b32 v100, 0, v100
	v_cmp_nlt_f32_e32 vcc_lo, 0x42b17218, v39
	v_exp_f32_e32 v105, v105
	s_delay_alu instid0(TRANS32_DEP_1) | instskip(SKIP_1) | instid1(VALU_DEP_1)
	v_ldexp_f32 v105, v105, v106
	s_wait_alu 0xf1ff
	v_cndmask_b32_e64 v39, 0, v105, s3
	v_cmp_nlt_f32_e64 s3, 0x42b17218, v38
	s_wait_alu 0xf1ff
	s_delay_alu instid0(VALU_DEP_1)
	v_cndmask_b32_e64 v38, 0x7f800000, v39, s3
	s_wait_alu 0xfffd
	v_cndmask_b32_e32 v39, 0x7f800000, v100, vcc_lo
	s_cselect_b32 s3, -1, 0
	s_xor_b32 s4, s0, -1
	v_cvt_f16_f32_e32 v100, v38
	s_delay_alu instid0(VALU_DEP_2) | instskip(SKIP_2) | instid1(VALU_DEP_1)
	v_cvt_f16_f32_e32 v105, v39
	s_wait_alu 0xfffe
	s_or_b32 s3, s4, s3
	v_perm_b32 v113, v105, v100, 0x5040100
	s_delay_alu instid0(VALU_DEP_1)
	v_wmma_f16_16x16x16_f16 v[32:35], v[24:27], v[113:116], v[32:35]
	v_add_f32_e32 v24, v38, v39
	v_wmma_f16_16x16x16_f16 v[28:31], v[43:46], v[113:116], v[28:31]
	v_wmma_f16_16x16x16_f16 v[20:23], v[51:54], v[113:116], v[20:23]
	;; [unrolled: 1-line block ×4, first 2 shown]
	v_add_f32_e32 v24, v40, v24
	v_wmma_f16_16x16x16_f16 v[8:11], v[55:58], v[113:116], v[8:11]
	v_wmma_f16_16x16x16_f16 v[4:7], v[109:112], v[113:116], v[4:7]
	;; [unrolled: 1-line block ×3, first 2 shown]
	s_delay_alu instid0(VALU_DEP_4) | instskip(NEXT) | instid1(VALU_DEP_1)
	v_add_f32_e32 v24, v41, v24
	v_add_f32_e32 v24, v42, v24
	s_delay_alu instid0(VALU_DEP_1) | instskip(NEXT) | instid1(VALU_DEP_1)
	v_add_f32_e32 v24, v65, v24
	v_add_f32_e32 v24, v63, v24
	s_delay_alu instid0(VALU_DEP_1) | instskip(NEXT) | instid1(VALU_DEP_1)
	v_add_f32_e32 v24, v64, v24
	v_fmac_f32_e32 v24, v253, v117
	ds_bpermute_b32 v25, v36, v24
	s_wait_alu 0xfffe
	s_and_saveexec_b32 s4, s3
	s_wait_alu 0xfffe
	s_xor_b32 s3, exec_lo, s4
	s_wait_alu 0xfffe
	s_or_saveexec_b32 s3, s3
	s_wait_dscnt 0x0
	v_add_f32_e32 v24, v24, v25
	s_wait_alu 0xfffe
	s_xor_b32 exec_lo, exec_lo, s3
	s_cbranch_execz .LBB24_56
; %bb.55:                               ;   in Loop: Header=BB24_12 Depth=1
	v_dual_max_num_f32 v26, v37, v37 :: v_dual_lshlrev_b32 v25, 2, v131
	global_load_b32 v25, v25, s[74:75]
	s_wait_loadcnt 0x0
	v_max_num_f32_e32 v27, v25, v25
	s_delay_alu instid0(VALU_DEP_1) | instskip(NEXT) | instid1(VALU_DEP_1)
	v_max_num_f32_e32 v26, v26, v27
	v_sub_f32_e32 v27, v37, v26
	s_delay_alu instid0(VALU_DEP_1) | instskip(NEXT) | instid1(VALU_DEP_1)
	v_mul_f32_e32 v37, 0x3fb8aa3b, v27
	v_fma_f32 v38, 0x3fb8aa3b, v27, -v37
	v_rndne_f32_e32 v39, v37
	s_delay_alu instid0(VALU_DEP_2) | instskip(NEXT) | instid1(VALU_DEP_2)
	v_fmac_f32_e32 v38, 0x32a5705f, v27
	v_sub_f32_e32 v37, v37, v39
	v_cvt_i32_f32_e32 v39, v39
	s_delay_alu instid0(VALU_DEP_2) | instskip(SKIP_1) | instid1(VALU_DEP_2)
	v_add_f32_e32 v37, v37, v38
	v_sub_f32_e32 v25, v25, v26
	v_exp_f32_e32 v37, v37
	s_delay_alu instid0(VALU_DEP_1) | instskip(SKIP_1) | instid1(VALU_DEP_2)
	v_mul_f32_e32 v38, 0x3fb8aa3b, v25
	v_cmp_ngt_f32_e32 vcc_lo, 0xc2ce8ed0, v27
	v_fma_f32 v40, 0x3fb8aa3b, v25, -v38
	v_rndne_f32_e32 v41, v38
	s_delay_alu instid0(TRANS32_DEP_1) | instskip(NEXT) | instid1(VALU_DEP_3)
	v_ldexp_f32 v37, v37, v39
	v_fmac_f32_e32 v40, 0x32a5705f, v25
	s_delay_alu instid0(VALU_DEP_3)
	v_sub_f32_e32 v38, v38, v41
	v_cvt_i32_f32_e32 v39, v41
	s_wait_alu 0xfffd
	v_cndmask_b32_e32 v37, 0, v37, vcc_lo
	v_cmp_nlt_f32_e32 vcc_lo, 0x42b17218, v27
	s_wait_alu 0xfffd
	s_delay_alu instid0(VALU_DEP_2) | instskip(NEXT) | instid1(VALU_DEP_1)
	v_dual_add_f32 v38, v38, v40 :: v_dual_cndmask_b32 v37, 0x7f800000, v37
	v_exp_f32_e32 v38, v38
	v_cmp_le_f32_e32 vcc_lo, 0xc1a00000, v27
	s_wait_alu 0xfffd
	s_delay_alu instid0(VALU_DEP_2) | instskip(SKIP_1) | instid1(TRANS32_DEP_1)
	v_cndmask_b32_e32 v27, 0, v37, vcc_lo
	v_cmp_ngt_f32_e32 vcc_lo, 0xc2ce8ed0, v25
	v_ldexp_f32 v37, v38, v39
	s_delay_alu instid0(VALU_DEP_3) | instskip(SKIP_1) | instid1(VALU_DEP_2)
	v_cvt_f16_f32_e32 v38, v27
	s_wait_alu 0xfffd
	v_cndmask_b32_e32 v37, 0, v37, vcc_lo
	v_cmp_nlt_f32_e32 vcc_lo, 0x42b17218, v25
	s_delay_alu instid0(VALU_DEP_3) | instskip(SKIP_1) | instid1(VALU_DEP_3)
	v_and_b32_e32 v38, 0xffff, v38
	s_wait_alu 0xfffd
	v_cndmask_b32_e32 v25, 0x7f800000, v37, vcc_lo
	s_delay_alu instid0(VALU_DEP_2) | instskip(SKIP_1) | instid1(VALU_DEP_3)
	v_mul_u32_u24_e32 v38, 0x10001, v38
	v_mov_b32_e32 v37, v26
	v_fmac_f32_e32 v25, v24, v27
	s_delay_alu instid0(VALU_DEP_3)
	v_pk_mul_f16 v28, v28, v38
	v_pk_mul_f16 v29, v29, v38
	;; [unrolled: 1-line block ×32, first 2 shown]
	v_mov_b32_e32 v24, v25
.LBB24_56:                              ;   in Loop: Header=BB24_12 Depth=1
	s_or_b32 exec_lo, exec_lo, s3
	s_and_saveexec_b32 s3, s2
; %bb.57:                               ;   in Loop: Header=BB24_12 Depth=1
	v_add_nc_u32_e32 v25, 0, v132
	ds_store_2addr_b32 v25, v37, v24 offset0:64 offset1:65
; %bb.58:                               ;   in Loop: Header=BB24_12 Depth=1
	s_wait_alu 0xfffe
	s_or_b32 exec_lo, exec_lo, s3
	s_wait_loadcnt_dscnt 0x0
	s_barrier_signal -1
	s_barrier_wait -1
	global_inv scope:SCOPE_SE
	s_and_saveexec_b32 s3, s1
	s_wait_alu 0xfffe
	s_xor_b32 s3, exec_lo, s3
	s_cbranch_execz .LBB24_60
; %bb.59:                               ;   in Loop: Header=BB24_12 Depth=1
	s_wait_loadcnt 0x0
	s_barrier_signal -1
	s_barrier_wait -1
	global_inv scope:SCOPE_SE
                                        ; implicit-def: $vgpr36
.LBB24_60:                              ;   in Loop: Header=BB24_12 Depth=1
	s_wait_alu 0xfffe
	s_and_not1_saveexec_b32 s3, s3
	s_cbranch_execz .LBB24_64
; %bb.61:                               ;   in Loop: Header=BB24_12 Depth=1
	v_add_nc_u32_e32 v37, 0, v133
	ds_load_b64 v[26:27], v37 offset:256
	s_wait_loadcnt_dscnt 0x0
	s_barrier_signal -1
	s_barrier_wait -1
	global_inv scope:SCOPE_SE
	ds_bpermute_b32 v24, v36, v26
	s_wait_dscnt 0x0
	v_dual_max_num_f32 v25, v26, v26 :: v_dual_max_num_f32 v24, v24, v24
	s_delay_alu instid0(VALU_DEP_1) | instskip(NEXT) | instid1(VALU_DEP_1)
	v_max_num_f32_e32 v24, v25, v24
	v_sub_f32_e32 v25, v26, v24
	s_delay_alu instid0(VALU_DEP_1) | instskip(SKIP_1) | instid1(VALU_DEP_2)
	v_mul_f32_e32 v26, 0x3fb8aa3b, v25
	v_cmp_ngt_f32_e32 vcc_lo, 0xc2ce8ed0, v25
	v_fma_f32 v38, 0x3fb8aa3b, v25, -v26
	v_rndne_f32_e32 v39, v26
	s_delay_alu instid0(VALU_DEP_2) | instskip(NEXT) | instid1(VALU_DEP_2)
	v_fmac_f32_e32 v38, 0x32a5705f, v25
	v_sub_f32_e32 v26, v26, v39
	s_delay_alu instid0(VALU_DEP_1) | instskip(SKIP_1) | instid1(VALU_DEP_2)
	v_add_f32_e32 v26, v26, v38
	v_cvt_i32_f32_e32 v38, v39
	v_exp_f32_e32 v26, v26
	s_delay_alu instid0(TRANS32_DEP_1) | instskip(SKIP_1) | instid1(VALU_DEP_1)
	v_ldexp_f32 v26, v26, v38
	s_wait_alu 0xfffd
	v_cndmask_b32_e32 v26, 0, v26, vcc_lo
	v_cmp_nlt_f32_e32 vcc_lo, 0x42b17218, v25
	s_wait_alu 0xfffd
	s_delay_alu instid0(VALU_DEP_2) | instskip(NEXT) | instid1(VALU_DEP_1)
	v_cndmask_b32_e32 v25, 0x7f800000, v26, vcc_lo
	v_mul_f32_e32 v26, v27, v25
	ds_bpermute_b32 v26, v36, v26
	s_wait_dscnt 0x0
	v_fmac_f32_e32 v26, v27, v25
	ds_store_b64 v37, v[25:26] offset:256
	s_and_saveexec_b32 s4, s2
	s_cbranch_execz .LBB24_63
; %bb.62:                               ;   in Loop: Header=BB24_12 Depth=1
	v_mov_b32_e32 v25, v26
	scratch_load_b64 v[26:27], off, off offset:100 ; 8-byte Folded Reload
	s_wait_loadcnt 0x0
	global_store_b64 v[26:27], v[24:25], off
.LBB24_63:                              ;   in Loop: Header=BB24_12 Depth=1
	s_wait_alu 0xfffe
	s_or_b32 exec_lo, exec_lo, s4
.LBB24_64:                              ;   in Loop: Header=BB24_12 Depth=1
	s_wait_alu 0xfffe
	s_or_b32 exec_lo, exec_lo, s3
	v_perm_b32 v24, v32, v28, 0x5040100
	v_perm_b32 v25, v32, v28, 0x7060302
	v_add_nc_u32_e32 v32, v134, v138
	v_perm_b32 v26, v33, v29, 0x5040100
	v_perm_b32 v27, v33, v29, 0x7060302
	v_perm_b32 v28, v34, v30, 0x5040100
	v_perm_b32 v29, v34, v30, 0x7060302
	v_perm_b32 v30, v35, v31, 0x5040100
	v_perm_b32 v31, v35, v31, 0x7060302
	v_perm_b32 v33, v16, v20, 0x5040100
	v_perm_b32 v16, v16, v20, 0x7060302
	v_perm_b32 v20, v17, v21, 0x5040100
	v_perm_b32 v17, v17, v21, 0x7060302
	v_perm_b32 v21, v18, v22, 0x5040100
	v_perm_b32 v18, v18, v22, 0x7060302
	v_perm_b32 v22, v19, v23, 0x5040100
	v_perm_b32 v19, v19, v23, 0x7060302
	ds_store_2addr_b32 v32, v24, v25 offset1:1
	ds_store_2addr_b32 v32, v26, v27 offset0:2 offset1:3
	ds_store_2addr_b32 v32, v28, v29 offset0:4 offset1:5
	;; [unrolled: 1-line block ×7, first 2 shown]
	v_perm_b32 v16, v8, v12, 0x5040100
	v_perm_b32 v8, v8, v12, 0x7060302
	;; [unrolled: 1-line block ×16, first 2 shown]
	ds_store_2addr_b32 v32, v16, v8 offset0:32 offset1:33
	ds_store_2addr_b32 v32, v12, v9 offset0:34 offset1:35
	;; [unrolled: 1-line block ×8, first 2 shown]
	s_wait_storecnt 0x0
	s_wait_loadcnt_dscnt 0x0
	s_barrier_signal -1
	s_barrier_wait -1
	global_inv scope:SCOPE_SE
	s_and_saveexec_b32 s5, s0
	s_cbranch_execz .LBB24_142
; %bb.65:                               ;   in Loop: Header=BB24_12 Depth=1
	v_add_nc_u32_e32 v1, s56, v208
	v_or_b32_e32 v0, s41, v108
	s_delay_alu instid0(VALU_DEP_1) | instskip(SKIP_1) | instid1(VALU_DEP_4)
	v_cmp_gt_i32_e32 vcc_lo, s33, v0
	v_mov_b32_e32 v0, 0x47
	v_cmp_gt_i32_e64 s3, s24, v1
	s_and_b32 s3, s3, vcc_lo
	s_wait_alu 0xfffe
	s_and_saveexec_b32 s4, s3
	s_cbranch_execz .LBB24_67
; %bb.66:                               ;   in Loop: Header=BB24_12 Depth=1
	v_mad_co_u64_u32 v[0:1], null, v1, s25, v[108:109]
	ds_load_2addr_stride64_b32 v[2:3], v139 offset0:1 offset1:18
	ds_load_2addr_b32 v[4:5], v163 offset1:32
	v_add_nc_u32_e32 v1, 0x1000, v163
	ds_load_2addr_b32 v[6:7], v1 offset0:64 offset1:96
	v_lshl_add_u32 v0, v0, 6, v96
	s_delay_alu instid0(VALU_DEP_1) | instskip(NEXT) | instid1(VALU_DEP_1)
	v_ashrrev_i32_e32 v1, 31, v0
	v_lshlrev_b64_e32 v[0:1], 3, v[0:1]
	s_wait_dscnt 0x1
	v_fma_mix_f32 v8, v2, v4, 0 op_sel_hi:[0,1,0]
	v_fma_mix_f32 v9, v2, v4, 0 op_sel:[0,1,0] op_sel_hi:[0,1,0]
	v_fma_mix_f32 v10, v2, v5, 0 op_sel_hi:[0,1,0]
	v_fma_mix_f32 v11, v2, v5, 0 op_sel:[0,1,0] op_sel_hi:[0,1,0]
	v_add_co_u32 v4, s3, s72, v0
	s_wait_alu 0xf1ff
	v_add_co_ci_u32_e64 v5, null, s73, v1, s3
	s_wait_dscnt 0x0
	v_fma_mix_f32 v1, v3, v6, v8 op_sel_hi:[0,1,0]
	v_fma_mix_f32 v2, v3, v6, v9 op_sel:[0,1,0] op_sel_hi:[0,1,0]
	v_mov_b32_e32 v0, 0
	v_fma_mix_f32 v6, v3, v7, v10 op_sel_hi:[0,1,0]
	v_fma_mix_f32 v7, v3, v7, v11 op_sel:[0,1,0] op_sel_hi:[0,1,0]
	s_clause 0x1
	global_store_b64 v[4:5], v[1:2], off
	global_store_b64 v[4:5], v[6:7], off offset:256
.LBB24_67:                              ;   in Loop: Header=BB24_12 Depth=1
	s_wait_alu 0xfffe
	s_or_b32 exec_lo, exec_lo, s4
	s_mov_b32 s4, -1
	s_mov_b32 s6, exec_lo
	v_cmpx_gt_i32_e32 0x47, v0
; %bb.68:                               ;   in Loop: Header=BB24_12 Depth=1
	v_cmp_eq_u32_e64 s3, 0, v0
	s_or_not1_b32 s4, s3, exec_lo
; %bb.69:                               ;   in Loop: Header=BB24_12 Depth=1
	s_wait_alu 0xfffe
	s_or_b32 exec_lo, exec_lo, s6
	s_delay_alu instid0(SALU_CYCLE_1)
	s_and_b32 exec_lo, exec_lo, s4
	s_cbranch_execz .LBB24_142
; %bb.70:                               ;   in Loop: Header=BB24_12 Depth=1
	v_add_nc_u32_e32 v1, s56, v209
	v_or_b32_e32 v0, s41, v99
	s_delay_alu instid0(VALU_DEP_1) | instskip(SKIP_1) | instid1(VALU_DEP_4)
	v_cmp_gt_i32_e64 s4, s33, v0
	v_mov_b32_e32 v0, 0x47
	v_cmp_gt_i32_e64 s3, s24, v1
	s_and_b32 s3, s3, s4
	s_wait_alu 0xfffe
	s_and_saveexec_b32 s4, s3
	s_cbranch_execz .LBB24_72
; %bb.71:                               ;   in Loop: Header=BB24_12 Depth=1
	scratch_load_b32 v0, off, off offset:108 ; 4-byte Folded Reload
	s_wait_loadcnt 0x0
	ds_load_2addr_stride64_b32 v[2:3], v0 offset0:1 offset1:18
	ds_load_2addr_b32 v[4:5], v164 offset1:32
	v_mad_co_u64_u32 v[0:1], null, v1, s25, v[99:100]
	v_add_nc_u32_e32 v1, 0x1000, v164
	ds_load_2addr_b32 v[6:7], v1 offset0:64 offset1:96
	v_lshl_add_u32 v0, v0, 6, v96
	s_delay_alu instid0(VALU_DEP_1) | instskip(NEXT) | instid1(VALU_DEP_1)
	v_ashrrev_i32_e32 v1, 31, v0
	v_lshlrev_b64_e32 v[0:1], 3, v[0:1]
	s_wait_dscnt 0x1
	v_fma_mix_f32 v8, v2, v4, 0 op_sel_hi:[0,1,0]
	v_fma_mix_f32 v9, v2, v4, 0 op_sel:[0,1,0] op_sel_hi:[0,1,0]
	v_fma_mix_f32 v10, v2, v5, 0 op_sel_hi:[0,1,0]
	v_fma_mix_f32 v11, v2, v5, 0 op_sel:[0,1,0] op_sel_hi:[0,1,0]
	v_add_co_u32 v4, s3, s72, v0
	s_wait_alu 0xf1ff
	v_add_co_ci_u32_e64 v5, null, s73, v1, s3
	s_wait_dscnt 0x0
	v_fma_mix_f32 v1, v3, v6, v8 op_sel_hi:[0,1,0]
	v_fma_mix_f32 v2, v3, v6, v9 op_sel:[0,1,0] op_sel_hi:[0,1,0]
	v_mov_b32_e32 v0, 0
	v_fma_mix_f32 v6, v3, v7, v10 op_sel_hi:[0,1,0]
	v_fma_mix_f32 v7, v3, v7, v11 op_sel:[0,1,0] op_sel_hi:[0,1,0]
	s_clause 0x1
	global_store_b64 v[4:5], v[1:2], off
	global_store_b64 v[4:5], v[6:7], off offset:256
.LBB24_72:                              ;   in Loop: Header=BB24_12 Depth=1
	s_wait_alu 0xfffe
	s_or_b32 exec_lo, exec_lo, s4
	s_mov_b32 s4, -1
	s_mov_b32 s6, exec_lo
	v_cmpx_gt_i32_e32 0x47, v0
; %bb.73:                               ;   in Loop: Header=BB24_12 Depth=1
	v_cmp_eq_u32_e64 s3, 0, v0
	s_or_not1_b32 s4, s3, exec_lo
; %bb.74:                               ;   in Loop: Header=BB24_12 Depth=1
	s_wait_alu 0xfffe
	s_or_b32 exec_lo, exec_lo, s6
	s_delay_alu instid0(SALU_CYCLE_1)
	s_and_b32 exec_lo, exec_lo, s4
	s_cbranch_execz .LBB24_142
; %bb.75:                               ;   in Loop: Header=BB24_12 Depth=1
	scratch_load_b32 v0, off, off offset:112 ; 4-byte Folded Reload
	s_wait_loadcnt 0x0
	v_dual_mov_b32 v0, 0x47 :: v_dual_add_nc_u32 v1, s56, v0
	s_delay_alu instid0(VALU_DEP_1)
	v_cmp_gt_i32_e64 s3, s24, v1
	s_and_b32 s3, s3, vcc_lo
	s_wait_alu 0xfffe
	s_and_saveexec_b32 s4, s3
	s_cbranch_execz .LBB24_77
; %bb.76:                               ;   in Loop: Header=BB24_12 Depth=1
	s_clause 0x1
	scratch_load_b32 v0, off, off offset:124
	scratch_load_b32 v6, off, off offset:128
	s_wait_loadcnt 0x1
	ds_load_2addr_stride64_b32 v[2:3], v0 offset0:1 offset1:18
	v_mad_co_u64_u32 v[0:1], null, v1, s25, v[108:109]
	s_wait_loadcnt 0x0
	ds_load_2addr_b32 v[4:5], v6 offset1:32
	v_add_nc_u32_e32 v1, 0x1000, v6
	ds_load_2addr_b32 v[6:7], v1 offset0:64 offset1:96
	v_lshl_add_u32 v0, v0, 6, v96
	s_delay_alu instid0(VALU_DEP_1) | instskip(NEXT) | instid1(VALU_DEP_1)
	v_ashrrev_i32_e32 v1, 31, v0
	v_lshlrev_b64_e32 v[0:1], 3, v[0:1]
	s_wait_dscnt 0x1
	v_fma_mix_f32 v8, v2, v4, 0 op_sel_hi:[0,1,0]
	v_fma_mix_f32 v9, v2, v4, 0 op_sel:[0,1,0] op_sel_hi:[0,1,0]
	v_fma_mix_f32 v10, v2, v5, 0 op_sel_hi:[0,1,0]
	v_fma_mix_f32 v11, v2, v5, 0 op_sel:[0,1,0] op_sel_hi:[0,1,0]
	v_add_co_u32 v4, s3, s72, v0
	s_wait_alu 0xf1ff
	v_add_co_ci_u32_e64 v5, null, s73, v1, s3
	s_wait_dscnt 0x0
	v_fma_mix_f32 v1, v3, v6, v8 op_sel_hi:[0,1,0]
	v_fma_mix_f32 v2, v3, v6, v9 op_sel:[0,1,0] op_sel_hi:[0,1,0]
	v_mov_b32_e32 v0, 0
	v_fma_mix_f32 v6, v3, v7, v10 op_sel_hi:[0,1,0]
	v_fma_mix_f32 v7, v3, v7, v11 op_sel:[0,1,0] op_sel_hi:[0,1,0]
	s_clause 0x1
	global_store_b64 v[4:5], v[1:2], off
	global_store_b64 v[4:5], v[6:7], off offset:256
.LBB24_77:                              ;   in Loop: Header=BB24_12 Depth=1
	s_wait_alu 0xfffe
	s_or_b32 exec_lo, exec_lo, s4
	s_mov_b32 s4, -1
	s_mov_b32 s6, exec_lo
	v_cmpx_gt_i32_e32 0x47, v0
; %bb.78:                               ;   in Loop: Header=BB24_12 Depth=1
	v_cmp_eq_u32_e64 s3, 0, v0
	s_or_not1_b32 s4, s3, exec_lo
; %bb.79:                               ;   in Loop: Header=BB24_12 Depth=1
	s_wait_alu 0xfffe
	s_or_b32 exec_lo, exec_lo, s6
	s_delay_alu instid0(SALU_CYCLE_1)
	s_and_b32 exec_lo, exec_lo, s4
	s_cbranch_execz .LBB24_142
; %bb.80:                               ;   in Loop: Header=BB24_12 Depth=1
	s_clause 0x1
	scratch_load_b32 v0, off, off offset:132
	scratch_load_b64 v[2:3], off, off offset:116
	s_wait_loadcnt 0x1
	v_add_nc_u32_e32 v1, s56, v0
	s_wait_loadcnt 0x0
	v_or_b32_e32 v0, s41, v2
	s_delay_alu instid0(VALU_DEP_1)
	v_cmp_gt_i32_e64 s4, s33, v0
	v_mov_b32_e32 v0, 0x47
	v_cmp_gt_i32_e64 s3, s24, v1
	s_and_b32 s3, s3, s4
	s_wait_alu 0xfffe
	s_and_saveexec_b32 s4, s3
	s_cbranch_execz .LBB24_82
; %bb.81:                               ;   in Loop: Header=BB24_12 Depth=1
	s_clause 0x2
	scratch_load_b32 v0, off, off offset:136
	scratch_load_b32 v6, off, off offset:144
	scratch_load_b64 v[7:8], off, off offset:116
	s_wait_loadcnt 0x2
	ds_load_2addr_stride64_b32 v[2:3], v0 offset0:1 offset1:18
	s_wait_loadcnt 0x1
	ds_load_2addr_b32 v[4:5], v6 offset1:32
	s_wait_loadcnt 0x0
	v_mad_co_u64_u32 v[0:1], null, v1, s25, v[7:8]
	v_add_nc_u32_e32 v1, 0x1000, v6
	ds_load_2addr_b32 v[6:7], v1 offset0:64 offset1:96
	v_lshl_add_u32 v0, v0, 6, v96
	s_delay_alu instid0(VALU_DEP_1) | instskip(NEXT) | instid1(VALU_DEP_1)
	v_ashrrev_i32_e32 v1, 31, v0
	v_lshlrev_b64_e32 v[0:1], 3, v[0:1]
	s_wait_dscnt 0x1
	v_fma_mix_f32 v8, v2, v4, 0 op_sel_hi:[0,1,0]
	v_fma_mix_f32 v9, v2, v4, 0 op_sel:[0,1,0] op_sel_hi:[0,1,0]
	v_fma_mix_f32 v10, v2, v5, 0 op_sel_hi:[0,1,0]
	v_fma_mix_f32 v11, v2, v5, 0 op_sel:[0,1,0] op_sel_hi:[0,1,0]
	v_add_co_u32 v4, s3, s72, v0
	s_wait_alu 0xf1ff
	v_add_co_ci_u32_e64 v5, null, s73, v1, s3
	s_wait_dscnt 0x0
	v_fma_mix_f32 v1, v3, v6, v8 op_sel_hi:[0,1,0]
	v_fma_mix_f32 v2, v3, v6, v9 op_sel:[0,1,0] op_sel_hi:[0,1,0]
	v_mov_b32_e32 v0, 0
	v_fma_mix_f32 v6, v3, v7, v10 op_sel_hi:[0,1,0]
	v_fma_mix_f32 v7, v3, v7, v11 op_sel:[0,1,0] op_sel_hi:[0,1,0]
	s_clause 0x1
	global_store_b64 v[4:5], v[1:2], off
	global_store_b64 v[4:5], v[6:7], off offset:256
.LBB24_82:                              ;   in Loop: Header=BB24_12 Depth=1
	s_wait_alu 0xfffe
	s_or_b32 exec_lo, exec_lo, s4
	s_mov_b32 s4, -1
	s_mov_b32 s6, exec_lo
	v_cmpx_gt_i32_e32 0x47, v0
; %bb.83:                               ;   in Loop: Header=BB24_12 Depth=1
	v_cmp_eq_u32_e64 s3, 0, v0
	s_or_not1_b32 s4, s3, exec_lo
; %bb.84:                               ;   in Loop: Header=BB24_12 Depth=1
	s_wait_alu 0xfffe
	s_or_b32 exec_lo, exec_lo, s6
	s_delay_alu instid0(SALU_CYCLE_1)
	s_and_b32 exec_lo, exec_lo, s4
	s_cbranch_execz .LBB24_142
; %bb.85:                               ;   in Loop: Header=BB24_12 Depth=1
	scratch_load_b32 v0, off, off offset:140 ; 4-byte Folded Reload
	s_wait_loadcnt 0x0
	v_dual_mov_b32 v0, 0x47 :: v_dual_add_nc_u32 v1, s56, v0
	s_delay_alu instid0(VALU_DEP_1)
	v_cmp_gt_i32_e64 s3, s24, v1
	s_and_b32 s3, s3, vcc_lo
	s_wait_alu 0xfffe
	s_and_saveexec_b32 s4, s3
	s_cbranch_execz .LBB24_87
; %bb.86:                               ;   in Loop: Header=BB24_12 Depth=1
	s_clause 0x1
	scratch_load_b32 v0, off, off offset:160
	scratch_load_b32 v6, off, off offset:164
	s_wait_loadcnt 0x1
	ds_load_2addr_stride64_b32 v[2:3], v0 offset0:1 offset1:18
	v_mad_co_u64_u32 v[0:1], null, v1, s25, v[108:109]
	s_wait_loadcnt 0x0
	ds_load_2addr_b32 v[4:5], v6 offset1:32
	v_add_nc_u32_e32 v1, 0x1000, v6
	ds_load_2addr_b32 v[6:7], v1 offset0:64 offset1:96
	v_lshl_add_u32 v0, v0, 6, v96
	s_delay_alu instid0(VALU_DEP_1) | instskip(NEXT) | instid1(VALU_DEP_1)
	v_ashrrev_i32_e32 v1, 31, v0
	v_lshlrev_b64_e32 v[0:1], 3, v[0:1]
	s_wait_dscnt 0x1
	v_fma_mix_f32 v8, v2, v4, 0 op_sel_hi:[0,1,0]
	v_fma_mix_f32 v9, v2, v4, 0 op_sel:[0,1,0] op_sel_hi:[0,1,0]
	v_fma_mix_f32 v10, v2, v5, 0 op_sel_hi:[0,1,0]
	v_fma_mix_f32 v11, v2, v5, 0 op_sel:[0,1,0] op_sel_hi:[0,1,0]
	v_add_co_u32 v4, s3, s72, v0
	s_wait_alu 0xf1ff
	v_add_co_ci_u32_e64 v5, null, s73, v1, s3
	s_wait_dscnt 0x0
	v_fma_mix_f32 v1, v3, v6, v8 op_sel_hi:[0,1,0]
	v_fma_mix_f32 v2, v3, v6, v9 op_sel:[0,1,0] op_sel_hi:[0,1,0]
	v_mov_b32_e32 v0, 0
	v_fma_mix_f32 v6, v3, v7, v10 op_sel_hi:[0,1,0]
	v_fma_mix_f32 v7, v3, v7, v11 op_sel:[0,1,0] op_sel_hi:[0,1,0]
	s_clause 0x1
	global_store_b64 v[4:5], v[1:2], off
	global_store_b64 v[4:5], v[6:7], off offset:256
.LBB24_87:                              ;   in Loop: Header=BB24_12 Depth=1
	s_wait_alu 0xfffe
	s_or_b32 exec_lo, exec_lo, s4
	s_mov_b32 s4, -1
	s_mov_b32 s6, exec_lo
	v_cmpx_gt_i32_e32 0x47, v0
; %bb.88:                               ;   in Loop: Header=BB24_12 Depth=1
	v_cmp_eq_u32_e64 s3, 0, v0
	s_or_not1_b32 s4, s3, exec_lo
; %bb.89:                               ;   in Loop: Header=BB24_12 Depth=1
	s_wait_alu 0xfffe
	s_or_b32 exec_lo, exec_lo, s6
	s_delay_alu instid0(SALU_CYCLE_1)
	s_and_b32 exec_lo, exec_lo, s4
	s_cbranch_execz .LBB24_142
; %bb.90:                               ;   in Loop: Header=BB24_12 Depth=1
	s_clause 0x1
	scratch_load_b32 v0, off, off offset:168
	scratch_load_b64 v[2:3], off, off offset:152
	s_wait_loadcnt 0x1
	v_add_nc_u32_e32 v1, s56, v0
	s_wait_loadcnt 0x0
	v_or_b32_e32 v0, s41, v2
	s_delay_alu instid0(VALU_DEP_1)
	v_cmp_gt_i32_e64 s4, s33, v0
	v_mov_b32_e32 v0, 0x47
	v_cmp_gt_i32_e64 s3, s24, v1
	s_and_b32 s3, s3, s4
	s_wait_alu 0xfffe
	s_and_saveexec_b32 s4, s3
	s_cbranch_execz .LBB24_92
; %bb.91:                               ;   in Loop: Header=BB24_12 Depth=1
	s_clause 0x2
	scratch_load_b32 v0, off, off offset:172
	scratch_load_b32 v6, off, off offset:180
	scratch_load_b64 v[7:8], off, off offset:152
	s_wait_loadcnt 0x2
	ds_load_2addr_stride64_b32 v[2:3], v0 offset0:1 offset1:18
	s_wait_loadcnt 0x1
	ds_load_2addr_b32 v[4:5], v6 offset1:32
	s_wait_loadcnt 0x0
	v_mad_co_u64_u32 v[0:1], null, v1, s25, v[7:8]
	v_add_nc_u32_e32 v1, 0x1000, v6
	ds_load_2addr_b32 v[6:7], v1 offset0:64 offset1:96
	v_lshl_add_u32 v0, v0, 6, v96
	s_delay_alu instid0(VALU_DEP_1) | instskip(NEXT) | instid1(VALU_DEP_1)
	v_ashrrev_i32_e32 v1, 31, v0
	v_lshlrev_b64_e32 v[0:1], 3, v[0:1]
	s_wait_dscnt 0x1
	v_fma_mix_f32 v8, v2, v4, 0 op_sel_hi:[0,1,0]
	v_fma_mix_f32 v9, v2, v4, 0 op_sel:[0,1,0] op_sel_hi:[0,1,0]
	v_fma_mix_f32 v10, v2, v5, 0 op_sel_hi:[0,1,0]
	v_fma_mix_f32 v11, v2, v5, 0 op_sel:[0,1,0] op_sel_hi:[0,1,0]
	v_add_co_u32 v4, s3, s72, v0
	s_wait_alu 0xf1ff
	v_add_co_ci_u32_e64 v5, null, s73, v1, s3
	s_wait_dscnt 0x0
	v_fma_mix_f32 v1, v3, v6, v8 op_sel_hi:[0,1,0]
	v_fma_mix_f32 v2, v3, v6, v9 op_sel:[0,1,0] op_sel_hi:[0,1,0]
	v_mov_b32_e32 v0, 0
	v_fma_mix_f32 v6, v3, v7, v10 op_sel_hi:[0,1,0]
	v_fma_mix_f32 v7, v3, v7, v11 op_sel:[0,1,0] op_sel_hi:[0,1,0]
	s_clause 0x1
	global_store_b64 v[4:5], v[1:2], off
	global_store_b64 v[4:5], v[6:7], off offset:256
.LBB24_92:                              ;   in Loop: Header=BB24_12 Depth=1
	s_wait_alu 0xfffe
	s_or_b32 exec_lo, exec_lo, s4
	s_mov_b32 s4, -1
	s_mov_b32 s6, exec_lo
	v_cmpx_gt_i32_e32 0x47, v0
; %bb.93:                               ;   in Loop: Header=BB24_12 Depth=1
	v_cmp_eq_u32_e64 s3, 0, v0
	s_or_not1_b32 s4, s3, exec_lo
; %bb.94:                               ;   in Loop: Header=BB24_12 Depth=1
	s_wait_alu 0xfffe
	s_or_b32 exec_lo, exec_lo, s6
	s_delay_alu instid0(SALU_CYCLE_1)
	s_and_b32 exec_lo, exec_lo, s4
	s_cbranch_execz .LBB24_142
; %bb.95:                               ;   in Loop: Header=BB24_12 Depth=1
	scratch_load_b32 v0, off, off offset:176 ; 4-byte Folded Reload
	s_wait_loadcnt 0x0
	v_dual_mov_b32 v0, 0x47 :: v_dual_add_nc_u32 v1, s56, v0
	s_delay_alu instid0(VALU_DEP_1)
	v_cmp_gt_i32_e64 s3, s24, v1
	s_and_b32 s3, s3, vcc_lo
	s_wait_alu 0xfffe
	s_and_saveexec_b32 s4, s3
	s_cbranch_execz .LBB24_97
; %bb.96:                               ;   in Loop: Header=BB24_12 Depth=1
	s_clause 0x1
	scratch_load_b32 v0, off, off offset:192
	scratch_load_b32 v6, off, off offset:196
	s_wait_loadcnt 0x1
	ds_load_2addr_stride64_b32 v[2:3], v0 offset0:1 offset1:18
	v_mad_co_u64_u32 v[0:1], null, v1, s25, v[108:109]
	s_wait_loadcnt 0x0
	ds_load_2addr_b32 v[4:5], v6 offset1:32
	v_add_nc_u32_e32 v1, 0x1000, v6
	ds_load_2addr_b32 v[6:7], v1 offset0:64 offset1:96
	v_lshl_add_u32 v0, v0, 6, v96
	s_delay_alu instid0(VALU_DEP_1) | instskip(NEXT) | instid1(VALU_DEP_1)
	v_ashrrev_i32_e32 v1, 31, v0
	v_lshlrev_b64_e32 v[0:1], 3, v[0:1]
	s_wait_dscnt 0x1
	v_fma_mix_f32 v8, v2, v4, 0 op_sel_hi:[0,1,0]
	v_fma_mix_f32 v9, v2, v4, 0 op_sel:[0,1,0] op_sel_hi:[0,1,0]
	v_fma_mix_f32 v10, v2, v5, 0 op_sel_hi:[0,1,0]
	v_fma_mix_f32 v11, v2, v5, 0 op_sel:[0,1,0] op_sel_hi:[0,1,0]
	v_add_co_u32 v4, s3, s72, v0
	s_wait_alu 0xf1ff
	v_add_co_ci_u32_e64 v5, null, s73, v1, s3
	s_wait_dscnt 0x0
	v_fma_mix_f32 v1, v3, v6, v8 op_sel_hi:[0,1,0]
	v_fma_mix_f32 v2, v3, v6, v9 op_sel:[0,1,0] op_sel_hi:[0,1,0]
	v_mov_b32_e32 v0, 0
	v_fma_mix_f32 v6, v3, v7, v10 op_sel_hi:[0,1,0]
	v_fma_mix_f32 v7, v3, v7, v11 op_sel:[0,1,0] op_sel_hi:[0,1,0]
	s_clause 0x1
	global_store_b64 v[4:5], v[1:2], off
	global_store_b64 v[4:5], v[6:7], off offset:256
.LBB24_97:                              ;   in Loop: Header=BB24_12 Depth=1
	s_wait_alu 0xfffe
	s_or_b32 exec_lo, exec_lo, s4
	s_mov_b32 s4, -1
	s_mov_b32 s6, exec_lo
	v_cmpx_gt_i32_e32 0x47, v0
; %bb.98:                               ;   in Loop: Header=BB24_12 Depth=1
	v_cmp_eq_u32_e64 s3, 0, v0
	s_or_not1_b32 s4, s3, exec_lo
; %bb.99:                               ;   in Loop: Header=BB24_12 Depth=1
	s_wait_alu 0xfffe
	s_or_b32 exec_lo, exec_lo, s6
	s_delay_alu instid0(SALU_CYCLE_1)
	s_and_b32 exec_lo, exec_lo, s4
	s_cbranch_execz .LBB24_142
; %bb.100:                              ;   in Loop: Header=BB24_12 Depth=1
	s_clause 0x1
	scratch_load_b32 v0, off, off offset:200
	scratch_load_b64 v[2:3], off, off offset:184
	s_wait_loadcnt 0x1
	v_add_nc_u32_e32 v1, s56, v0
	s_wait_loadcnt 0x0
	v_or_b32_e32 v0, s41, v2
	s_delay_alu instid0(VALU_DEP_1)
	v_cmp_gt_i32_e64 s4, s33, v0
	v_mov_b32_e32 v0, 0x47
	v_cmp_gt_i32_e64 s3, s24, v1
	s_and_b32 s3, s3, s4
	s_wait_alu 0xfffe
	s_and_saveexec_b32 s4, s3
	s_cbranch_execz .LBB24_102
; %bb.101:                              ;   in Loop: Header=BB24_12 Depth=1
	s_clause 0x2
	scratch_load_b32 v0, off, off offset:204
	scratch_load_b32 v6, off, off offset:212
	scratch_load_b64 v[7:8], off, off offset:184
	s_wait_loadcnt 0x2
	ds_load_2addr_stride64_b32 v[2:3], v0 offset0:1 offset1:18
	s_wait_loadcnt 0x1
	ds_load_2addr_b32 v[4:5], v6 offset1:32
	s_wait_loadcnt 0x0
	v_mad_co_u64_u32 v[0:1], null, v1, s25, v[7:8]
	v_add_nc_u32_e32 v1, 0x1000, v6
	ds_load_2addr_b32 v[6:7], v1 offset0:64 offset1:96
	v_lshl_add_u32 v0, v0, 6, v96
	s_delay_alu instid0(VALU_DEP_1) | instskip(NEXT) | instid1(VALU_DEP_1)
	v_ashrrev_i32_e32 v1, 31, v0
	v_lshlrev_b64_e32 v[0:1], 3, v[0:1]
	s_wait_dscnt 0x1
	v_fma_mix_f32 v8, v2, v4, 0 op_sel_hi:[0,1,0]
	v_fma_mix_f32 v9, v2, v4, 0 op_sel:[0,1,0] op_sel_hi:[0,1,0]
	v_fma_mix_f32 v10, v2, v5, 0 op_sel_hi:[0,1,0]
	v_fma_mix_f32 v11, v2, v5, 0 op_sel:[0,1,0] op_sel_hi:[0,1,0]
	v_add_co_u32 v4, s3, s72, v0
	s_wait_alu 0xf1ff
	v_add_co_ci_u32_e64 v5, null, s73, v1, s3
	s_wait_dscnt 0x0
	v_fma_mix_f32 v1, v3, v6, v8 op_sel_hi:[0,1,0]
	v_fma_mix_f32 v2, v3, v6, v9 op_sel:[0,1,0] op_sel_hi:[0,1,0]
	v_mov_b32_e32 v0, 0
	v_fma_mix_f32 v6, v3, v7, v10 op_sel_hi:[0,1,0]
	v_fma_mix_f32 v7, v3, v7, v11 op_sel:[0,1,0] op_sel_hi:[0,1,0]
	s_clause 0x1
	global_store_b64 v[4:5], v[1:2], off
	global_store_b64 v[4:5], v[6:7], off offset:256
.LBB24_102:                             ;   in Loop: Header=BB24_12 Depth=1
	s_wait_alu 0xfffe
	s_or_b32 exec_lo, exec_lo, s4
	s_mov_b32 s4, -1
	s_mov_b32 s6, exec_lo
	v_cmpx_gt_i32_e32 0x47, v0
; %bb.103:                              ;   in Loop: Header=BB24_12 Depth=1
	v_cmp_eq_u32_e64 s3, 0, v0
	s_or_not1_b32 s4, s3, exec_lo
; %bb.104:                              ;   in Loop: Header=BB24_12 Depth=1
	s_wait_alu 0xfffe
	s_or_b32 exec_lo, exec_lo, s6
	s_delay_alu instid0(SALU_CYCLE_1)
	s_and_b32 exec_lo, exec_lo, s4
	s_cbranch_execz .LBB24_142
; %bb.105:                              ;   in Loop: Header=BB24_12 Depth=1
	scratch_load_b32 v0, off, off offset:208 ; 4-byte Folded Reload
	s_wait_loadcnt 0x0
	v_dual_mov_b32 v0, 0x47 :: v_dual_add_nc_u32 v1, s56, v0
	s_delay_alu instid0(VALU_DEP_1)
	v_cmp_gt_i32_e64 s3, s24, v1
	s_and_b32 s3, s3, vcc_lo
	s_wait_alu 0xfffe
	s_and_saveexec_b32 s4, s3
	s_cbranch_execz .LBB24_107
; %bb.106:                              ;   in Loop: Header=BB24_12 Depth=1
	s_clause 0x1
	scratch_load_b32 v0, off, off offset:224
	scratch_load_b32 v6, off, off offset:228
	s_wait_loadcnt 0x1
	ds_load_2addr_stride64_b32 v[2:3], v0 offset0:1 offset1:18
	v_mad_co_u64_u32 v[0:1], null, v1, s25, v[108:109]
	s_wait_loadcnt 0x0
	ds_load_2addr_b32 v[4:5], v6 offset1:32
	v_add_nc_u32_e32 v1, 0x1000, v6
	ds_load_2addr_b32 v[6:7], v1 offset0:64 offset1:96
	v_lshl_add_u32 v0, v0, 6, v96
	s_delay_alu instid0(VALU_DEP_1) | instskip(NEXT) | instid1(VALU_DEP_1)
	v_ashrrev_i32_e32 v1, 31, v0
	v_lshlrev_b64_e32 v[0:1], 3, v[0:1]
	s_wait_dscnt 0x1
	v_fma_mix_f32 v8, v2, v4, 0 op_sel_hi:[0,1,0]
	v_fma_mix_f32 v9, v2, v4, 0 op_sel:[0,1,0] op_sel_hi:[0,1,0]
	v_fma_mix_f32 v10, v2, v5, 0 op_sel_hi:[0,1,0]
	v_fma_mix_f32 v11, v2, v5, 0 op_sel:[0,1,0] op_sel_hi:[0,1,0]
	v_add_co_u32 v4, s3, s72, v0
	s_wait_alu 0xf1ff
	v_add_co_ci_u32_e64 v5, null, s73, v1, s3
	s_wait_dscnt 0x0
	v_fma_mix_f32 v1, v3, v6, v8 op_sel_hi:[0,1,0]
	v_fma_mix_f32 v2, v3, v6, v9 op_sel:[0,1,0] op_sel_hi:[0,1,0]
	v_mov_b32_e32 v0, 0
	v_fma_mix_f32 v6, v3, v7, v10 op_sel_hi:[0,1,0]
	v_fma_mix_f32 v7, v3, v7, v11 op_sel:[0,1,0] op_sel_hi:[0,1,0]
	s_clause 0x1
	global_store_b64 v[4:5], v[1:2], off
	global_store_b64 v[4:5], v[6:7], off offset:256
.LBB24_107:                             ;   in Loop: Header=BB24_12 Depth=1
	s_wait_alu 0xfffe
	s_or_b32 exec_lo, exec_lo, s4
	s_mov_b32 s4, -1
	s_mov_b32 s6, exec_lo
	v_cmpx_gt_i32_e32 0x47, v0
; %bb.108:                              ;   in Loop: Header=BB24_12 Depth=1
	v_cmp_eq_u32_e64 s3, 0, v0
	s_or_not1_b32 s4, s3, exec_lo
; %bb.109:                              ;   in Loop: Header=BB24_12 Depth=1
	s_wait_alu 0xfffe
	s_or_b32 exec_lo, exec_lo, s6
	s_delay_alu instid0(SALU_CYCLE_1)
	s_and_b32 exec_lo, exec_lo, s4
	s_cbranch_execz .LBB24_142
; %bb.110:                              ;   in Loop: Header=BB24_12 Depth=1
	s_clause 0x1
	scratch_load_b32 v0, off, off offset:232
	scratch_load_b64 v[2:3], off, off offset:216
	s_wait_loadcnt 0x1
	v_add_nc_u32_e32 v1, s56, v0
	s_wait_loadcnt 0x0
	v_or_b32_e32 v0, s41, v2
	s_delay_alu instid0(VALU_DEP_1)
	v_cmp_gt_i32_e64 s4, s33, v0
	v_mov_b32_e32 v0, 0x47
	v_cmp_gt_i32_e64 s3, s24, v1
	s_and_b32 s3, s3, s4
	s_wait_alu 0xfffe
	s_and_saveexec_b32 s4, s3
	s_cbranch_execz .LBB24_112
; %bb.111:                              ;   in Loop: Header=BB24_12 Depth=1
	s_clause 0x2
	scratch_load_b32 v0, off, off offset:236
	scratch_load_b32 v6, off, off offset:244
	scratch_load_b64 v[7:8], off, off offset:216
	s_wait_loadcnt 0x2
	ds_load_2addr_stride64_b32 v[2:3], v0 offset0:1 offset1:18
	s_wait_loadcnt 0x1
	ds_load_2addr_b32 v[4:5], v6 offset1:32
	s_wait_loadcnt 0x0
	v_mad_co_u64_u32 v[0:1], null, v1, s25, v[7:8]
	v_add_nc_u32_e32 v1, 0x1000, v6
	ds_load_2addr_b32 v[6:7], v1 offset0:64 offset1:96
	v_lshl_add_u32 v0, v0, 6, v96
	s_delay_alu instid0(VALU_DEP_1) | instskip(NEXT) | instid1(VALU_DEP_1)
	v_ashrrev_i32_e32 v1, 31, v0
	v_lshlrev_b64_e32 v[0:1], 3, v[0:1]
	s_wait_dscnt 0x1
	v_fma_mix_f32 v8, v2, v4, 0 op_sel_hi:[0,1,0]
	v_fma_mix_f32 v9, v2, v4, 0 op_sel:[0,1,0] op_sel_hi:[0,1,0]
	v_fma_mix_f32 v10, v2, v5, 0 op_sel_hi:[0,1,0]
	v_fma_mix_f32 v11, v2, v5, 0 op_sel:[0,1,0] op_sel_hi:[0,1,0]
	v_add_co_u32 v4, s3, s72, v0
	s_wait_alu 0xf1ff
	v_add_co_ci_u32_e64 v5, null, s73, v1, s3
	s_wait_dscnt 0x0
	v_fma_mix_f32 v1, v3, v6, v8 op_sel_hi:[0,1,0]
	v_fma_mix_f32 v2, v3, v6, v9 op_sel:[0,1,0] op_sel_hi:[0,1,0]
	v_mov_b32_e32 v0, 0
	v_fma_mix_f32 v6, v3, v7, v10 op_sel_hi:[0,1,0]
	v_fma_mix_f32 v7, v3, v7, v11 op_sel:[0,1,0] op_sel_hi:[0,1,0]
	s_clause 0x1
	global_store_b64 v[4:5], v[1:2], off
	global_store_b64 v[4:5], v[6:7], off offset:256
.LBB24_112:                             ;   in Loop: Header=BB24_12 Depth=1
	s_wait_alu 0xfffe
	s_or_b32 exec_lo, exec_lo, s4
	s_mov_b32 s4, -1
	s_mov_b32 s6, exec_lo
	v_cmpx_gt_i32_e32 0x47, v0
; %bb.113:                              ;   in Loop: Header=BB24_12 Depth=1
	v_cmp_eq_u32_e64 s3, 0, v0
	s_or_not1_b32 s4, s3, exec_lo
; %bb.114:                              ;   in Loop: Header=BB24_12 Depth=1
	s_wait_alu 0xfffe
	s_or_b32 exec_lo, exec_lo, s6
	s_delay_alu instid0(SALU_CYCLE_1)
	s_and_b32 exec_lo, exec_lo, s4
	s_cbranch_execz .LBB24_142
; %bb.115:                              ;   in Loop: Header=BB24_12 Depth=1
	scratch_load_b32 v0, off, off offset:240 ; 4-byte Folded Reload
	s_wait_loadcnt 0x0
	v_dual_mov_b32 v0, 0x47 :: v_dual_add_nc_u32 v1, s56, v0
	s_delay_alu instid0(VALU_DEP_1)
	v_cmp_gt_i32_e64 s3, s24, v1
	s_and_b32 s3, s3, vcc_lo
	s_wait_alu 0xfffe
	s_and_saveexec_b32 s4, s3
	s_cbranch_execz .LBB24_117
; %bb.116:                              ;   in Loop: Header=BB24_12 Depth=1
	s_clause 0x1
	scratch_load_b32 v0, off, off offset:256
	scratch_load_b32 v6, off, off offset:260
	s_wait_loadcnt 0x1
	ds_load_2addr_stride64_b32 v[2:3], v0 offset0:1 offset1:18
	v_mad_co_u64_u32 v[0:1], null, v1, s25, v[108:109]
	s_wait_loadcnt 0x0
	ds_load_2addr_b32 v[4:5], v6 offset1:32
	v_add_nc_u32_e32 v1, 0x1000, v6
	ds_load_2addr_b32 v[6:7], v1 offset0:64 offset1:96
	v_lshl_add_u32 v0, v0, 6, v96
	s_delay_alu instid0(VALU_DEP_1) | instskip(NEXT) | instid1(VALU_DEP_1)
	v_ashrrev_i32_e32 v1, 31, v0
	v_lshlrev_b64_e32 v[0:1], 3, v[0:1]
	s_wait_dscnt 0x1
	v_fma_mix_f32 v8, v2, v4, 0 op_sel_hi:[0,1,0]
	v_fma_mix_f32 v9, v2, v4, 0 op_sel:[0,1,0] op_sel_hi:[0,1,0]
	v_fma_mix_f32 v10, v2, v5, 0 op_sel_hi:[0,1,0]
	v_fma_mix_f32 v11, v2, v5, 0 op_sel:[0,1,0] op_sel_hi:[0,1,0]
	v_add_co_u32 v4, s3, s72, v0
	s_wait_alu 0xf1ff
	v_add_co_ci_u32_e64 v5, null, s73, v1, s3
	s_wait_dscnt 0x0
	v_fma_mix_f32 v1, v3, v6, v8 op_sel_hi:[0,1,0]
	v_fma_mix_f32 v2, v3, v6, v9 op_sel:[0,1,0] op_sel_hi:[0,1,0]
	v_mov_b32_e32 v0, 0
	v_fma_mix_f32 v6, v3, v7, v10 op_sel_hi:[0,1,0]
	v_fma_mix_f32 v7, v3, v7, v11 op_sel:[0,1,0] op_sel_hi:[0,1,0]
	s_clause 0x1
	global_store_b64 v[4:5], v[1:2], off
	global_store_b64 v[4:5], v[6:7], off offset:256
.LBB24_117:                             ;   in Loop: Header=BB24_12 Depth=1
	s_wait_alu 0xfffe
	s_or_b32 exec_lo, exec_lo, s4
	s_mov_b32 s4, -1
	s_mov_b32 s6, exec_lo
	v_cmpx_gt_i32_e32 0x47, v0
; %bb.118:                              ;   in Loop: Header=BB24_12 Depth=1
	v_cmp_eq_u32_e64 s3, 0, v0
	s_or_not1_b32 s4, s3, exec_lo
; %bb.119:                              ;   in Loop: Header=BB24_12 Depth=1
	s_wait_alu 0xfffe
	s_or_b32 exec_lo, exec_lo, s6
	s_delay_alu instid0(SALU_CYCLE_1)
	s_and_b32 exec_lo, exec_lo, s4
	s_cbranch_execz .LBB24_142
; %bb.120:                              ;   in Loop: Header=BB24_12 Depth=1
	s_clause 0x1
	scratch_load_b32 v0, off, off offset:264
	scratch_load_b64 v[2:3], off, off offset:248
	s_wait_loadcnt 0x1
	v_add_nc_u32_e32 v1, s56, v0
	s_wait_loadcnt 0x0
	v_or_b32_e32 v0, s41, v2
	s_delay_alu instid0(VALU_DEP_1)
	v_cmp_gt_i32_e64 s4, s33, v0
	v_mov_b32_e32 v0, 0x47
	v_cmp_gt_i32_e64 s3, s24, v1
	s_and_b32 s3, s3, s4
	s_wait_alu 0xfffe
	s_and_saveexec_b32 s4, s3
	s_cbranch_execz .LBB24_122
; %bb.121:                              ;   in Loop: Header=BB24_12 Depth=1
	s_clause 0x2
	scratch_load_b32 v0, off, off offset:268
	scratch_load_b32 v6, off, off offset:276
	scratch_load_b64 v[7:8], off, off offset:248
	s_wait_loadcnt 0x2
	ds_load_2addr_stride64_b32 v[2:3], v0 offset0:1 offset1:18
	s_wait_loadcnt 0x1
	ds_load_2addr_b32 v[4:5], v6 offset1:32
	s_wait_loadcnt 0x0
	v_mad_co_u64_u32 v[0:1], null, v1, s25, v[7:8]
	v_add_nc_u32_e32 v1, 0x1000, v6
	ds_load_2addr_b32 v[6:7], v1 offset0:64 offset1:96
	v_lshl_add_u32 v0, v0, 6, v96
	s_delay_alu instid0(VALU_DEP_1) | instskip(NEXT) | instid1(VALU_DEP_1)
	v_ashrrev_i32_e32 v1, 31, v0
	v_lshlrev_b64_e32 v[0:1], 3, v[0:1]
	s_wait_dscnt 0x1
	v_fma_mix_f32 v8, v2, v4, 0 op_sel_hi:[0,1,0]
	v_fma_mix_f32 v9, v2, v4, 0 op_sel:[0,1,0] op_sel_hi:[0,1,0]
	v_fma_mix_f32 v10, v2, v5, 0 op_sel_hi:[0,1,0]
	v_fma_mix_f32 v11, v2, v5, 0 op_sel:[0,1,0] op_sel_hi:[0,1,0]
	v_add_co_u32 v4, s3, s72, v0
	s_wait_alu 0xf1ff
	v_add_co_ci_u32_e64 v5, null, s73, v1, s3
	s_wait_dscnt 0x0
	v_fma_mix_f32 v1, v3, v6, v8 op_sel_hi:[0,1,0]
	v_fma_mix_f32 v2, v3, v6, v9 op_sel:[0,1,0] op_sel_hi:[0,1,0]
	v_mov_b32_e32 v0, 0
	v_fma_mix_f32 v6, v3, v7, v10 op_sel_hi:[0,1,0]
	v_fma_mix_f32 v7, v3, v7, v11 op_sel:[0,1,0] op_sel_hi:[0,1,0]
	s_clause 0x1
	global_store_b64 v[4:5], v[1:2], off
	global_store_b64 v[4:5], v[6:7], off offset:256
.LBB24_122:                             ;   in Loop: Header=BB24_12 Depth=1
	s_wait_alu 0xfffe
	s_or_b32 exec_lo, exec_lo, s4
	s_mov_b32 s4, -1
	s_mov_b32 s6, exec_lo
	v_cmpx_gt_i32_e32 0x47, v0
; %bb.123:                              ;   in Loop: Header=BB24_12 Depth=1
	v_cmp_eq_u32_e64 s3, 0, v0
	s_or_not1_b32 s4, s3, exec_lo
; %bb.124:                              ;   in Loop: Header=BB24_12 Depth=1
	s_wait_alu 0xfffe
	s_or_b32 exec_lo, exec_lo, s6
	s_delay_alu instid0(SALU_CYCLE_1)
	s_and_b32 exec_lo, exec_lo, s4
	s_cbranch_execz .LBB24_142
; %bb.125:                              ;   in Loop: Header=BB24_12 Depth=1
	scratch_load_b32 v0, off, off offset:272 ; 4-byte Folded Reload
	s_wait_loadcnt 0x0
	v_dual_mov_b32 v0, 0x47 :: v_dual_add_nc_u32 v1, s56, v0
	s_delay_alu instid0(VALU_DEP_1)
	v_cmp_gt_i32_e64 s3, s24, v1
	s_and_b32 s3, s3, vcc_lo
	s_wait_alu 0xfffe
	s_and_saveexec_b32 s4, s3
	s_cbranch_execz .LBB24_127
; %bb.126:                              ;   in Loop: Header=BB24_12 Depth=1
	s_clause 0x1
	scratch_load_b32 v0, off, off offset:288
	scratch_load_b32 v6, off, off offset:292
	s_wait_loadcnt 0x1
	ds_load_2addr_stride64_b32 v[2:3], v0 offset0:1 offset1:18
	v_mad_co_u64_u32 v[0:1], null, v1, s25, v[108:109]
	s_wait_loadcnt 0x0
	ds_load_2addr_b32 v[4:5], v6 offset1:32
	v_add_nc_u32_e32 v1, 0x1000, v6
	ds_load_2addr_b32 v[6:7], v1 offset0:64 offset1:96
	v_lshl_add_u32 v0, v0, 6, v96
	s_delay_alu instid0(VALU_DEP_1) | instskip(NEXT) | instid1(VALU_DEP_1)
	v_ashrrev_i32_e32 v1, 31, v0
	v_lshlrev_b64_e32 v[0:1], 3, v[0:1]
	s_wait_dscnt 0x1
	v_fma_mix_f32 v8, v2, v4, 0 op_sel_hi:[0,1,0]
	v_fma_mix_f32 v9, v2, v4, 0 op_sel:[0,1,0] op_sel_hi:[0,1,0]
	v_fma_mix_f32 v10, v2, v5, 0 op_sel_hi:[0,1,0]
	v_fma_mix_f32 v11, v2, v5, 0 op_sel:[0,1,0] op_sel_hi:[0,1,0]
	v_add_co_u32 v4, s3, s72, v0
	s_wait_alu 0xf1ff
	v_add_co_ci_u32_e64 v5, null, s73, v1, s3
	s_wait_dscnt 0x0
	v_fma_mix_f32 v1, v3, v6, v8 op_sel_hi:[0,1,0]
	v_fma_mix_f32 v2, v3, v6, v9 op_sel:[0,1,0] op_sel_hi:[0,1,0]
	v_mov_b32_e32 v0, 0
	v_fma_mix_f32 v6, v3, v7, v10 op_sel_hi:[0,1,0]
	v_fma_mix_f32 v7, v3, v7, v11 op_sel:[0,1,0] op_sel_hi:[0,1,0]
	s_clause 0x1
	global_store_b64 v[4:5], v[1:2], off
	global_store_b64 v[4:5], v[6:7], off offset:256
.LBB24_127:                             ;   in Loop: Header=BB24_12 Depth=1
	s_wait_alu 0xfffe
	s_or_b32 exec_lo, exec_lo, s4
	s_mov_b32 s4, -1
	s_mov_b32 s6, exec_lo
	v_cmpx_gt_i32_e32 0x47, v0
; %bb.128:                              ;   in Loop: Header=BB24_12 Depth=1
	v_cmp_eq_u32_e64 s3, 0, v0
	s_or_not1_b32 s4, s3, exec_lo
; %bb.129:                              ;   in Loop: Header=BB24_12 Depth=1
	s_wait_alu 0xfffe
	s_or_b32 exec_lo, exec_lo, s6
	s_delay_alu instid0(SALU_CYCLE_1)
	s_and_b32 exec_lo, exec_lo, s4
	s_cbranch_execz .LBB24_142
; %bb.130:                              ;   in Loop: Header=BB24_12 Depth=1
	s_clause 0x1
	scratch_load_b32 v0, off, off offset:296
	scratch_load_b64 v[2:3], off, off offset:280
	s_wait_loadcnt 0x1
	v_add_nc_u32_e32 v1, s56, v0
	s_wait_loadcnt 0x0
	v_or_b32_e32 v0, s41, v2
	s_delay_alu instid0(VALU_DEP_1)
	v_cmp_gt_i32_e64 s4, s33, v0
	v_mov_b32_e32 v0, 0x47
	v_cmp_gt_i32_e64 s3, s24, v1
	s_and_b32 s3, s3, s4
	s_wait_alu 0xfffe
	s_and_saveexec_b32 s4, s3
	s_cbranch_execz .LBB24_132
; %bb.131:                              ;   in Loop: Header=BB24_12 Depth=1
	s_clause 0x2
	scratch_load_b32 v0, off, off offset:300
	scratch_load_b32 v6, off, off offset:308
	scratch_load_b64 v[7:8], off, off offset:280
	s_wait_loadcnt 0x2
	ds_load_2addr_stride64_b32 v[2:3], v0 offset0:1 offset1:18
	s_wait_loadcnt 0x1
	ds_load_2addr_b32 v[4:5], v6 offset1:32
	s_wait_loadcnt 0x0
	v_mad_co_u64_u32 v[0:1], null, v1, s25, v[7:8]
	v_add_nc_u32_e32 v1, 0x1000, v6
	ds_load_2addr_b32 v[6:7], v1 offset0:64 offset1:96
	v_lshl_add_u32 v0, v0, 6, v96
	s_delay_alu instid0(VALU_DEP_1) | instskip(NEXT) | instid1(VALU_DEP_1)
	v_ashrrev_i32_e32 v1, 31, v0
	v_lshlrev_b64_e32 v[0:1], 3, v[0:1]
	s_wait_dscnt 0x1
	v_fma_mix_f32 v8, v2, v4, 0 op_sel_hi:[0,1,0]
	v_fma_mix_f32 v9, v2, v4, 0 op_sel:[0,1,0] op_sel_hi:[0,1,0]
	v_fma_mix_f32 v10, v2, v5, 0 op_sel_hi:[0,1,0]
	v_fma_mix_f32 v11, v2, v5, 0 op_sel:[0,1,0] op_sel_hi:[0,1,0]
	v_add_co_u32 v4, s3, s72, v0
	s_wait_alu 0xf1ff
	v_add_co_ci_u32_e64 v5, null, s73, v1, s3
	s_wait_dscnt 0x0
	v_fma_mix_f32 v1, v3, v6, v8 op_sel_hi:[0,1,0]
	v_fma_mix_f32 v2, v3, v6, v9 op_sel:[0,1,0] op_sel_hi:[0,1,0]
	v_mov_b32_e32 v0, 0
	v_fma_mix_f32 v6, v3, v7, v10 op_sel_hi:[0,1,0]
	v_fma_mix_f32 v7, v3, v7, v11 op_sel:[0,1,0] op_sel_hi:[0,1,0]
	s_clause 0x1
	global_store_b64 v[4:5], v[1:2], off
	global_store_b64 v[4:5], v[6:7], off offset:256
.LBB24_132:                             ;   in Loop: Header=BB24_12 Depth=1
	s_wait_alu 0xfffe
	s_or_b32 exec_lo, exec_lo, s4
	s_mov_b32 s4, -1
	s_mov_b32 s6, exec_lo
	v_cmpx_gt_i32_e32 0x47, v0
; %bb.133:                              ;   in Loop: Header=BB24_12 Depth=1
	v_cmp_eq_u32_e64 s3, 0, v0
	s_or_not1_b32 s4, s3, exec_lo
; %bb.134:                              ;   in Loop: Header=BB24_12 Depth=1
	s_wait_alu 0xfffe
	s_or_b32 exec_lo, exec_lo, s6
	s_delay_alu instid0(SALU_CYCLE_1)
	s_and_b32 exec_lo, exec_lo, s4
	s_cbranch_execz .LBB24_142
; %bb.135:                              ;   in Loop: Header=BB24_12 Depth=1
	scratch_load_b32 v0, off, off offset:304 ; 4-byte Folded Reload
	s_wait_loadcnt 0x0
	v_dual_mov_b32 v0, 0x47 :: v_dual_add_nc_u32 v1, s56, v0
	s_delay_alu instid0(VALU_DEP_1)
	v_cmp_gt_i32_e64 s3, s24, v1
	s_and_b32 s4, s3, vcc_lo
	s_wait_alu 0xfffe
	s_and_saveexec_b32 s3, s4
	s_cbranch_execz .LBB24_137
; %bb.136:                              ;   in Loop: Header=BB24_12 Depth=1
	s_clause 0x1
	scratch_load_b32 v0, off, off offset:320
	scratch_load_b32 v6, off, off offset:324
	s_wait_loadcnt 0x1
	ds_load_2addr_stride64_b32 v[2:3], v0 offset0:1 offset1:18
	v_mad_co_u64_u32 v[0:1], null, v1, s25, v[108:109]
	s_wait_loadcnt 0x0
	ds_load_2addr_b32 v[4:5], v6 offset1:32
	v_add_nc_u32_e32 v1, 0x1000, v6
	ds_load_2addr_b32 v[6:7], v1 offset0:64 offset1:96
	v_lshl_add_u32 v0, v0, 6, v96
	s_delay_alu instid0(VALU_DEP_1) | instskip(NEXT) | instid1(VALU_DEP_1)
	v_ashrrev_i32_e32 v1, 31, v0
	v_lshlrev_b64_e32 v[0:1], 3, v[0:1]
	s_wait_dscnt 0x1
	v_fma_mix_f32 v8, v2, v4, 0 op_sel_hi:[0,1,0]
	v_fma_mix_f32 v9, v2, v4, 0 op_sel:[0,1,0] op_sel_hi:[0,1,0]
	v_fma_mix_f32 v10, v2, v5, 0 op_sel_hi:[0,1,0]
	v_fma_mix_f32 v11, v2, v5, 0 op_sel:[0,1,0] op_sel_hi:[0,1,0]
	v_add_co_u32 v4, vcc_lo, s72, v0
	s_wait_alu 0xfffd
	v_add_co_ci_u32_e64 v5, null, s73, v1, vcc_lo
	s_wait_dscnt 0x0
	v_fma_mix_f32 v1, v3, v6, v8 op_sel_hi:[0,1,0]
	v_fma_mix_f32 v2, v3, v6, v9 op_sel:[0,1,0] op_sel_hi:[0,1,0]
	v_mov_b32_e32 v0, 0
	v_fma_mix_f32 v6, v3, v7, v10 op_sel_hi:[0,1,0]
	v_fma_mix_f32 v7, v3, v7, v11 op_sel:[0,1,0] op_sel_hi:[0,1,0]
	s_clause 0x1
	global_store_b64 v[4:5], v[1:2], off
	global_store_b64 v[4:5], v[6:7], off offset:256
.LBB24_137:                             ;   in Loop: Header=BB24_12 Depth=1
	s_wait_alu 0xfffe
	s_or_b32 exec_lo, exec_lo, s3
	s_mov_b32 s3, -1
	s_mov_b32 s4, exec_lo
	v_cmpx_gt_i32_e32 0x47, v0
; %bb.138:                              ;   in Loop: Header=BB24_12 Depth=1
	v_cmp_eq_u32_e32 vcc_lo, 0, v0
	s_or_not1_b32 s3, vcc_lo, exec_lo
; %bb.139:                              ;   in Loop: Header=BB24_12 Depth=1
	s_wait_alu 0xfffe
	s_or_b32 exec_lo, exec_lo, s4
	s_delay_alu instid0(SALU_CYCLE_1)
	s_and_b32 exec_lo, exec_lo, s3
	s_cbranch_execz .LBB24_142
; %bb.140:                              ;   in Loop: Header=BB24_12 Depth=1
	s_clause 0x1
	scratch_load_b32 v0, off, off offset:328
	scratch_load_b64 v[1:2], off, off offset:312
	s_wait_loadcnt 0x1
	v_add_nc_u32_e32 v0, s56, v0
	s_wait_loadcnt 0x0
	v_or_b32_e32 v1, s41, v1
	s_delay_alu instid0(VALU_DEP_2) | instskip(NEXT) | instid1(VALU_DEP_2)
	v_cmp_gt_i32_e32 vcc_lo, s24, v0
	v_cmp_gt_i32_e64 s3, s33, v1
	s_and_b32 s3, vcc_lo, s3
	s_wait_alu 0xfffe
	s_and_b32 exec_lo, exec_lo, s3
	s_cbranch_execz .LBB24_142
; %bb.141:                              ;   in Loop: Header=BB24_12 Depth=1
	s_clause 0x2
	scratch_load_b32 v1, off, off offset:332
	scratch_load_b32 v7, off, off offset:336
	scratch_load_b64 v[5:6], off, off offset:312
	s_wait_loadcnt 0x2
	ds_load_2addr_stride64_b32 v[1:2], v1 offset0:1 offset1:18
	s_wait_loadcnt 0x1
	ds_load_2addr_b32 v[3:4], v7 offset1:32
	s_wait_loadcnt 0x0
	v_mad_co_u64_u32 v[5:6], null, v0, s25, v[5:6]
	v_add_nc_u32_e32 v0, 0x1000, v7
	ds_load_2addr_b32 v[6:7], v0 offset0:64 offset1:96
	v_lshl_add_u32 v8, v5, 6, v96
	s_delay_alu instid0(VALU_DEP_1) | instskip(NEXT) | instid1(VALU_DEP_1)
	v_ashrrev_i32_e32 v9, 31, v8
	v_lshlrev_b64_e32 v[8:9], 3, v[8:9]
	s_wait_dscnt 0x1
	v_fma_mix_f32 v5, v1, v3, 0 op_sel_hi:[0,1,0]
	v_fma_mix_f32 v10, v1, v3, 0 op_sel:[0,1,0] op_sel_hi:[0,1,0]
	v_fma_mix_f32 v11, v1, v4, 0 op_sel_hi:[0,1,0]
	v_fma_mix_f32 v12, v1, v4, 0 op_sel:[0,1,0] op_sel_hi:[0,1,0]
	v_add_co_u32 v0, vcc_lo, s72, v8
	s_wait_alu 0xfffd
	v_add_co_ci_u32_e64 v1, null, s73, v9, vcc_lo
	s_wait_dscnt 0x0
	v_fma_mix_f32 v3, v2, v6, v5 op_sel_hi:[0,1,0]
	v_fma_mix_f32 v4, v2, v6, v10 op_sel:[0,1,0] op_sel_hi:[0,1,0]
	v_fma_mix_f32 v5, v2, v7, v11 op_sel_hi:[0,1,0]
	v_fma_mix_f32 v6, v2, v7, v12 op_sel:[0,1,0] op_sel_hi:[0,1,0]
	s_clause 0x1
	global_store_b64 v[0:1], v[3:4], off
	global_store_b64 v[0:1], v[5:6], off offset:256
.LBB24_142:                             ;   in Loop: Header=BB24_12 Depth=1
	s_wait_alu 0xfffe
	s_or_b32 exec_lo, exec_lo, s5
	s_wait_loadcnt 0x0
	s_wait_storecnt 0x0
	s_barrier_signal -1
	s_barrier_wait -1
	s_branch .LBB24_11
.LBB24_143:                             ;   in Loop: Header=BB24_12 Depth=1
	s_lshl_b32 s94, s34, 3
	v_cmp_le_i32_e64 s4, s33, v252
	s_wait_alu 0xfffe
	v_add_nc_u32_e32 v0, s94, v124
	v_cmp_gt_i32_e32 vcc_lo, s33, v252
	s_delay_alu instid0(VALU_DEP_2)
	v_cmp_le_i32_e64 s3, s24, v0
	s_or_b32 s3, s3, s4
	s_wait_alu 0xfffe
	s_and_saveexec_b32 s4, s3
	s_wait_alu 0xfffe
	s_xor_b32 s3, exec_lo, s4
; %bb.144:                              ;   in Loop: Header=BB24_12 Depth=1
	v_add_nc_u32_e32 v0, v162, v193
	ds_store_2addr_b32 v0, v181, v181 offset1:32
                                        ; implicit-def: $vgpr0
; %bb.145:                              ;   in Loop: Header=BB24_12 Depth=1
	s_wait_alu 0xfffe
	s_and_not1_saveexec_b32 s4, s3
	s_cbranch_execz .LBB24_147
; %bb.146:                              ;   in Loop: Header=BB24_12 Depth=1
	v_mad_co_u64_u32 v[0:1], null, v0, s35, v[107:108]
	s_delay_alu instid0(VALU_DEP_1) | instskip(NEXT) | instid1(VALU_DEP_1)
	v_ashrrev_i32_e32 v1, 31, v0
	v_lshlrev_b64_e32 v[0:1], 3, v[0:1]
	s_delay_alu instid0(VALU_DEP_1) | instskip(SKIP_1) | instid1(VALU_DEP_2)
	v_add_co_u32 v0, s3, s92, v0
	s_wait_alu 0xf1ff
	v_add_co_ci_u32_e64 v1, null, s93, v1, s3
	s_clause 0x1
	global_load_b64 v[2:3], v[0:1], off
	global_load_b64 v[0:1], v[0:1], off offset:256
	s_wait_loadcnt 0x1
	v_cvt_f16_f32_e32 v2, v2
	v_cvt_f16_f32_e32 v3, v3
	s_wait_loadcnt 0x0
	v_cvt_f16_f32_e32 v0, v0
	v_cvt_f16_f32_e32 v1, v1
	s_delay_alu instid0(VALU_DEP_3) | instskip(NEXT) | instid1(VALU_DEP_2)
	v_pack_b32_f16 v2, v2, v3
	v_pack_b32_f16 v0, v0, v1
	s_delay_alu instid0(VALU_DEP_2) | instskip(NEXT) | instid1(VALU_DEP_2)
	v_pk_mul_f16 v1, v2, s103
	v_pk_mul_f16 v0, v0, s103
	ds_store_2addr_b32 v190, v1, v0 offset1:32
.LBB24_147:                             ;   in Loop: Header=BB24_12 Depth=1
	s_wait_alu 0xfffe
	s_or_b32 exec_lo, exec_lo, s4
	v_add_nc_u32_e32 v0, s94, v194
	s_xor_b32 s4, vcc_lo, -1
	s_delay_alu instid0(VALU_DEP_1)
	v_cmp_le_i32_e64 s3, s24, v0
	s_wait_alu 0xfffe
	s_or_b32 s3, s3, s4
	s_wait_alu 0xfffe
	s_and_saveexec_b32 s5, s3
	s_wait_alu 0xfffe
	s_xor_b32 s3, exec_lo, s5
; %bb.148:                              ;   in Loop: Header=BB24_12 Depth=1
	v_add_nc_u32_e32 v0, v162, v193
	ds_store_2addr_b32 v0, v181, v181 offset0:136 offset1:168
                                        ; implicit-def: $vgpr0
; %bb.149:                              ;   in Loop: Header=BB24_12 Depth=1
	s_wait_alu 0xfffe
	s_and_not1_saveexec_b32 s3, s3
	s_cbranch_execz .LBB24_151
; %bb.150:                              ;   in Loop: Header=BB24_12 Depth=1
	v_mad_co_u64_u32 v[0:1], null, v0, s35, v[107:108]
	s_delay_alu instid0(VALU_DEP_1) | instskip(NEXT) | instid1(VALU_DEP_1)
	v_ashrrev_i32_e32 v1, 31, v0
	v_lshlrev_b64_e32 v[0:1], 3, v[0:1]
	s_delay_alu instid0(VALU_DEP_1) | instskip(SKIP_1) | instid1(VALU_DEP_2)
	v_add_co_u32 v0, vcc_lo, s92, v0
	s_wait_alu 0xfffd
	v_add_co_ci_u32_e64 v1, null, s93, v1, vcc_lo
	s_clause 0x1
	global_load_b64 v[2:3], v[0:1], off
	global_load_b64 v[0:1], v[0:1], off offset:256
	s_wait_loadcnt 0x1
	v_cvt_f16_f32_e32 v2, v2
	v_cvt_f16_f32_e32 v3, v3
	s_wait_loadcnt 0x0
	v_cvt_f16_f32_e32 v0, v0
	v_cvt_f16_f32_e32 v1, v1
	s_delay_alu instid0(VALU_DEP_3) | instskip(NEXT) | instid1(VALU_DEP_2)
	v_pack_b32_f16 v2, v2, v3
	v_pack_b32_f16 v0, v0, v1
	s_delay_alu instid0(VALU_DEP_2) | instskip(NEXT) | instid1(VALU_DEP_2)
	v_pk_mul_f16 v1, v2, s103
	v_pk_mul_f16 v0, v0, s103
	ds_store_2addr_b32 v195, v1, v0 offset1:32
.LBB24_151:                             ;   in Loop: Header=BB24_12 Depth=1
	s_wait_alu 0xfffe
	s_or_b32 exec_lo, exec_lo, s3
	v_add_nc_u32_e32 v0, s94, v196
	s_delay_alu instid0(VALU_DEP_1)
	v_cmp_le_i32_e32 vcc_lo, s24, v0
	s_or_b32 s3, vcc_lo, s4
	s_wait_alu 0xfffe
	s_and_saveexec_b32 s5, s3
	s_wait_alu 0xfffe
	s_xor_b32 s3, exec_lo, s5
; %bb.152:                              ;   in Loop: Header=BB24_12 Depth=1
	v_add_nc_u32_e32 v0, v162, v193
	s_delay_alu instid0(VALU_DEP_1)
	v_add_nc_u32_e32 v0, 0x400, v0
	ds_store_2addr_b32 v0, v181, v181 offset0:16 offset1:48
                                        ; implicit-def: $vgpr0
; %bb.153:                              ;   in Loop: Header=BB24_12 Depth=1
	s_wait_alu 0xfffe
	s_and_not1_saveexec_b32 s3, s3
	s_cbranch_execz .LBB24_155
; %bb.154:                              ;   in Loop: Header=BB24_12 Depth=1
	v_mad_co_u64_u32 v[0:1], null, v0, s35, v[107:108]
	s_delay_alu instid0(VALU_DEP_1) | instskip(NEXT) | instid1(VALU_DEP_1)
	v_ashrrev_i32_e32 v1, 31, v0
	v_lshlrev_b64_e32 v[0:1], 3, v[0:1]
	s_delay_alu instid0(VALU_DEP_1) | instskip(SKIP_1) | instid1(VALU_DEP_2)
	v_add_co_u32 v0, vcc_lo, s92, v0
	s_wait_alu 0xfffd
	v_add_co_ci_u32_e64 v1, null, s93, v1, vcc_lo
	s_clause 0x1
	global_load_b64 v[2:3], v[0:1], off
	global_load_b64 v[0:1], v[0:1], off offset:256
	s_wait_loadcnt 0x1
	v_cvt_f16_f32_e32 v2, v2
	v_cvt_f16_f32_e32 v3, v3
	s_wait_loadcnt 0x0
	v_cvt_f16_f32_e32 v0, v0
	v_cvt_f16_f32_e32 v1, v1
	s_delay_alu instid0(VALU_DEP_3) | instskip(NEXT) | instid1(VALU_DEP_2)
	v_pack_b32_f16 v2, v2, v3
	v_pack_b32_f16 v0, v0, v1
	s_delay_alu instid0(VALU_DEP_2) | instskip(NEXT) | instid1(VALU_DEP_2)
	v_pk_mul_f16 v1, v2, s103
	v_pk_mul_f16 v0, v0, s103
	ds_store_2addr_b32 v197, v1, v0 offset1:32
.LBB24_155:                             ;   in Loop: Header=BB24_12 Depth=1
	s_wait_alu 0xfffe
	s_or_b32 exec_lo, exec_lo, s3
	v_add_nc_u32_e32 v0, s94, v198
	s_delay_alu instid0(VALU_DEP_1)
	v_cmp_le_i32_e32 vcc_lo, s24, v0
	s_or_b32 s3, vcc_lo, s4
	s_wait_alu 0xfffe
	s_and_saveexec_b32 s5, s3
	s_wait_alu 0xfffe
	s_xor_b32 s3, exec_lo, s5
; %bb.156:                              ;   in Loop: Header=BB24_12 Depth=1
	v_add_nc_u32_e32 v0, v162, v193
	s_delay_alu instid0(VALU_DEP_1)
	;; [unrolled: 46-line block ×6, first 2 shown]
	v_add_nc_u32_e32 v0, 0xc00, v0
	ds_store_2addr_b32 v0, v181, v181 offset0:184 offset1:216
                                        ; implicit-def: $vgpr0
; %bb.173:                              ;   in Loop: Header=BB24_12 Depth=1
	s_wait_alu 0xfffe
	s_and_not1_saveexec_b32 s3, s3
	s_cbranch_execz .LBB24_175
; %bb.174:                              ;   in Loop: Header=BB24_12 Depth=1
	v_mad_co_u64_u32 v[0:1], null, v0, s35, v[107:108]
	s_delay_alu instid0(VALU_DEP_1) | instskip(NEXT) | instid1(VALU_DEP_1)
	v_ashrrev_i32_e32 v1, 31, v0
	v_lshlrev_b64_e32 v[0:1], 3, v[0:1]
	s_delay_alu instid0(VALU_DEP_1) | instskip(SKIP_1) | instid1(VALU_DEP_2)
	v_add_co_u32 v0, vcc_lo, s92, v0
	s_wait_alu 0xfffd
	v_add_co_ci_u32_e64 v1, null, s93, v1, vcc_lo
	s_clause 0x1
	global_load_b64 v[2:3], v[0:1], off
	global_load_b64 v[0:1], v[0:1], off offset:256
	s_wait_loadcnt 0x1
	v_cvt_f16_f32_e32 v2, v2
	v_cvt_f16_f32_e32 v3, v3
	s_wait_loadcnt 0x0
	v_cvt_f16_f32_e32 v0, v0
	v_cvt_f16_f32_e32 v1, v1
	s_delay_alu instid0(VALU_DEP_3) | instskip(NEXT) | instid1(VALU_DEP_2)
	v_pack_b32_f16 v2, v2, v3
	v_pack_b32_f16 v0, v0, v1
	s_delay_alu instid0(VALU_DEP_2) | instskip(NEXT) | instid1(VALU_DEP_2)
	v_pk_mul_f16 v1, v2, s103
	v_pk_mul_f16 v0, v0, s103
	ds_store_2addr_b32 v207, v1, v0 offset1:32
.LBB24_175:                             ;   in Loop: Header=BB24_12 Depth=1
	s_wait_alu 0xfffe
	s_or_b32 exec_lo, exec_lo, s3
	s_wait_storecnt_dscnt 0x0
	s_barrier_signal -1
	s_barrier_wait -1
	global_inv scope:SCOPE_SE
	ds_load_b128 v[60:63], v123
	ds_load_b128 v[56:59], v123 offset:32
	ds_load_b128 v[52:55], v123 offset:64
	;; [unrolled: 1-line block ×7, first 2 shown]
	s_cmp_gt_i32 s42, 1
	s_mov_b32 s3, -1
	s_wait_loadcnt_dscnt 0x0
	s_barrier_signal -1
	s_barrier_wait -1
	global_inv scope:SCOPE_SE
                                        ; implicit-def: $vgpr111_vgpr112
                                        ; implicit-def: $vgpr109_vgpr110
                                        ; implicit-def: $vgpr254
                                        ; implicit-def: $vgpr159
	s_cbranch_scc1 .LBB24_177
; %bb.176:                              ;   in Loop: Header=BB24_12 Depth=1
	v_dual_mov_b32 v159, 32 :: v_dual_add_nc_u32 v0, s94, v121
	v_add_nc_u32_e32 v1, s94, v183
	v_xor_b32_e32 v254, 16, v251
	s_mov_b32 s3, 0
	s_delay_alu instid0(VALU_DEP_3) | instskip(NEXT) | instid1(VALU_DEP_3)
	v_mul_hi_u32 v2, s38, v0
	v_mul_hi_u32 v3, s38, v1
	s_delay_alu instid0(VALU_DEP_2) | instskip(NEXT) | instid1(VALU_DEP_2)
	v_add_nc_u32_e32 v2, v0, v2
	v_add_nc_u32_e32 v3, v1, v3
	s_delay_alu instid0(VALU_DEP_2) | instskip(NEXT) | instid1(VALU_DEP_2)
	v_lshrrev_b32_e32 v2, s39, v2
	v_lshrrev_b32_e32 v3, s39, v3
	s_delay_alu instid0(VALU_DEP_2) | instskip(NEXT) | instid1(VALU_DEP_2)
	v_mul_lo_u32 v2, v2, s24
	v_mul_lo_u32 v3, v3, s24
	s_delay_alu instid0(VALU_DEP_2) | instskip(NEXT) | instid1(VALU_DEP_2)
	v_sub_nc_u32_e32 v0, v0, v2
	v_sub_nc_u32_e32 v1, v1, v3
	s_delay_alu instid0(VALU_DEP_2) | instskip(NEXT) | instid1(VALU_DEP_2)
	v_mad_co_i64_i32 v[111:112], null, v0, s40, 0
	v_mad_co_i64_i32 v[109:110], null, v1, s40, 0
.LBB24_177:                             ;   in Loop: Header=BB24_12 Depth=1
	s_wait_alu 0xfffe
	s_and_not1_b32 vcc_lo, exec_lo, s3
	s_wait_alu 0xfffe
	s_cbranch_vccnz .LBB24_181
; %bb.178:                              ;   in Loop: Header=BB24_12 Depth=1
	scratch_load_b32 v64, off, off          ; 4-byte Folded Reload
	v_mov_b32_e32 v4, 0
	v_mov_b32_e32 v252, 0
	v_readlane_b32 s4, v255, 8
	v_xor_b32_e32 v254, 16, v251
	s_add_nc_u64 s[86:87], s[86:87], s[88:89]
	v_dual_mov_b32 v5, v4 :: v_dual_add_nc_u32 v0, s94, v121
	v_add_nc_u32_e32 v2, s94, v183
	v_readlane_b32 s5, v255, 9
	v_dual_mov_b32 v8, 0 :: v_dual_mov_b32 v11, v252
	s_delay_alu instid0(VALU_DEP_4) | instskip(NEXT) | instid1(VALU_DEP_4)
	v_mul_hi_u32 v1, s38, v0
	v_mul_hi_u32 v3, s38, v2
	v_dual_mov_b32 v9, v252 :: v_dual_mov_b32 v6, v4
	v_dual_mov_b32 v7, v4 :: v_dual_mov_b32 v10, v252
	v_dual_mov_b32 v13, v4 :: v_dual_mov_b32 v12, v4
	v_mov_b32_e32 v15, v4
	v_add_nc_u32_e32 v1, v0, v1
	v_dual_mov_b32 v14, v4 :: v_dual_add_nc_u32 v3, v2, v3
	v_dual_mov_b32 v17, v252 :: v_dual_mov_b32 v18, v252
	v_mov_b32_e32 v21, v252
	s_delay_alu instid0(VALU_DEP_4) | instskip(NEXT) | instid1(VALU_DEP_4)
	v_lshrrev_b32_e32 v1, s39, v1
	v_lshrrev_b32_e32 v3, s39, v3
	v_dual_mov_b32 v24, v4 :: v_dual_mov_b32 v23, v252
	v_dual_mov_b32 v26, v4 :: v_dual_mov_b32 v29, v4
	s_delay_alu instid0(VALU_DEP_4) | instskip(NEXT) | instid1(VALU_DEP_4)
	v_mul_lo_u32 v1, v1, s24
	v_mul_lo_u32 v3, v3, s24
	v_dual_mov_b32 v20, 0 :: v_dual_mov_b32 v31, v4
	v_dual_mov_b32 v22, v252 :: v_dual_mov_b32 v159, 32
	;; [unrolled: 1-line block ×3, first 2 shown]
	v_sub_nc_u32_e32 v178, v0, v1
	v_sub_nc_u32_e32 v177, v2, v3
	v_dual_mov_b32 v2, v252 :: v_dual_mov_b32 v3, v252
	v_mov_b32_e32 v30, v4
	s_delay_alu instid0(VALU_DEP_4)
	v_mad_co_i64_i32 v[0:1], null, s4, v178, s[90:91]
	s_add_co_i32 s6, s42, -1
	v_mov_b32_e32 v19, v252
	s_wait_alu 0xfffe
	s_mov_b32 s34, s6
	v_mov_b32_e32 v25, v4
	v_mov_b32_e32 v27, v4
	v_add_co_u32 v109, vcc_lo, v217, v0
	s_wait_alu 0xfffd
	v_add_co_ci_u32_e64 v110, null, v218, v1, vcc_lo
	v_mad_co_i64_i32 v[0:1], null, s4, v177, s[90:91]
	s_add_nc_u64 s[4:5], s[84:85], s[82:83]
	v_add_co_u32 v111, vcc_lo, v217, v0
	s_wait_alu 0xfffd
	v_add_co_ci_u32_e64 v112, null, v218, v1, vcc_lo
	v_cmp_gt_i32_e32 vcc_lo, 32, v254
	v_dual_mov_b32 v0, 0 :: v_dual_mov_b32 v1, v252
	s_wait_alu 0xfffd
	v_cndmask_b32_e32 v16, v251, v254, vcc_lo
	s_delay_alu instid0(VALU_DEP_1)
	v_lshlrev_b32_e32 v176, 2, v16
	v_mov_b32_e32 v16, 0
	s_wait_loadcnt 0x0
	v_add_co_u32 v156, vcc_lo, v64, s86
	scratch_load_b32 v64, off, off offset:4 ; 4-byte Folded Reload
	s_wait_loadcnt 0x0
	s_wait_alu 0xfffd
	v_add_co_ci_u32_e64 v175, null, s87, v64, vcc_lo
	scratch_load_b32 v64, off, off offset:8 ; 4-byte Folded Reload
	s_wait_loadcnt 0x0
	v_add_co_u32 v174, vcc_lo, v64, s86
	scratch_load_b32 v64, off, off offset:12 ; 4-byte Folded Reload
	s_wait_loadcnt 0x0
	s_wait_alu 0xfffd
	v_add_co_ci_u32_e64 v216, null, s87, v64, vcc_lo
	scratch_load_b32 v64, off, off offset:16 ; 4-byte Folded Reload
	;; [unrolled: 7-line block ×8, first 2 shown]
	s_wait_loadcnt 0x0
	s_wait_alu 0xfffe
	v_add_co_u32 v170, vcc_lo, v64, s4
	scratch_load_b32 v64, off, off offset:68 ; 4-byte Folded Reload
	s_wait_loadcnt 0x0
	s_wait_alu 0xfffd
	v_add_co_ci_u32_e64 v212, null, s5, v64, vcc_lo
	scratch_load_b32 v64, off, off offset:72 ; 4-byte Folded Reload
	s_wait_loadcnt 0x0
	v_add_co_u32 v102, vcc_lo, v64, s4
	scratch_load_b32 v64, off, off offset:76 ; 4-byte Folded Reload
	s_wait_loadcnt 0x0
	s_wait_alu 0xfffd
	v_add_co_ci_u32_e64 v147, null, s5, v64, vcc_lo
	scratch_load_b32 v64, off, off offset:80 ; 4-byte Folded Reload
	s_wait_loadcnt 0x0
	v_add_co_u32 v169, vcc_lo, v64, s4
	scratch_load_b32 v64, off, off offset:84 ; 4-byte Folded Reload
	s_wait_loadcnt 0x0
	s_wait_alu 0xfffd
	v_add_co_ci_u32_e64 v168, null, s5, v64, vcc_lo
	scratch_load_b32 v64, off, off offset:88 ; 4-byte Folded Reload
	s_wait_loadcnt 0x0
	v_add_co_u32 v211, vcc_lo, v64, s4
	scratch_load_b32 v64, off, off offset:92 ; 4-byte Folded Reload
	s_wait_loadcnt 0x0
	s_wait_alu 0xfffd
	v_add_co_ci_u32_e64 v101, null, s5, v64, vcc_lo
	scratch_load_b32 v64, off, off offset:96 ; 4-byte Folded Reload
	s_wait_loadcnt 0x0
	v_add_co_u32 v161, vcc_lo, v64, s4
	s_wait_alu 0xfffd
	v_add_co_ci_u32_e64 v160, null, s5, v244, vcc_lo
	v_add_co_u32 v158, vcc_lo, v245, s4
	s_wait_alu 0xfffd
	v_add_co_ci_u32_e64 v157, null, s5, v246, vcc_lo
	v_add_co_u32 v155, vcc_lo, v247, s4
	s_wait_alu 0xfffd
	v_add_co_ci_u32_e64 v154, null, s5, v248, vcc_lo
	v_add_co_u32 v152, vcc_lo, v249, s4
	s_wait_alu 0xfffd
	v_add_co_ci_u32_e64 v151, null, s5, v250, vcc_lo
.LBB24_179:                             ;   Parent Loop BB24_12 Depth=1
                                        ; =>  This Inner Loop Header: Depth=2
	global_load_b32 v114, v[109:110], off
	global_load_b32 v115, v[111:112], off
	v_add_nc_u32_e32 v149, v184, v182
	s_add_co_i32 s34, s34, -1
	s_wait_alu 0xfffe
	s_cmp_lg_u32 s34, 0
	s_delay_alu instid0(VALU_DEP_1)
	v_add_nc_u32_e32 v113, 0x2000, v149
	s_wait_loadcnt 0x0
	ds_store_2addr_b32 v113, v114, v115 offset0:128 offset1:208
	v_add_co_u32 v113, vcc_lo, v170, v179
	s_wait_alu 0xfffd
	v_add_co_ci_u32_e64 v114, null, 0, v212, vcc_lo
	v_add_co_u32 v117, vcc_lo, v102, v179
	s_wait_alu 0xfffd
	v_add_co_ci_u32_e64 v118, null, 0, v147, vcc_lo
	global_load_b128 v[113:116], v[113:114], off
	global_load_b128 v[117:120], v[117:118], off
	s_wait_loadcnt 0x1
	ds_store_b128 v125, v[113:116]
	s_wait_loadcnt 0x0
	ds_store_b128 v185, v[117:120]
	v_add_co_u32 v113, vcc_lo, v169, v179
	s_wait_alu 0xfffd
	v_add_co_ci_u32_e64 v114, null, 0, v168, vcc_lo
	v_add_co_u32 v117, vcc_lo, v211, v179
	s_wait_alu 0xfffd
	v_add_co_ci_u32_e64 v118, null, 0, v101, vcc_lo
	global_load_b128 v[113:116], v[113:114], off
	global_load_b128 v[117:120], v[117:118], off
	s_wait_loadcnt 0x1
	ds_store_b128 v186, v[113:116]
	s_wait_loadcnt 0x0
	ds_store_b128 v187, v[117:120]
	;; [unrolled: 12-line block ×4, first 2 shown]
	s_wait_dscnt 0x0
	s_barrier_signal -1
	s_barrier_wait -1
	global_inv scope:SCOPE_SE
	ds_load_b128 v[141:144], v126
	ds_load_b128 v[219:222], v126 offset:32
	s_wait_dscnt 0x1
	v_wmma_f32_16x16x16_f16 v[113:120], v[141:144], v[60:63], 0
	s_wait_dscnt 0x0
	s_delay_alu instid0(VALU_DEP_1)
	v_wmma_f32_16x16x16_f16 v[113:120], v[219:222], v[56:59], v[113:120]
	ds_load_b128 v[141:144], v126 offset:64
	ds_load_b128 v[219:222], v126 offset:96
	s_wait_dscnt 0x1
	v_wmma_f32_16x16x16_f16 v[113:120], v[141:144], v[52:55], v[113:120]
	s_wait_dscnt 0x0
	s_delay_alu instid0(VALU_DEP_1)
	v_wmma_f32_16x16x16_f16 v[113:120], v[219:222], v[48:51], v[113:120]
	ds_load_b128 v[141:144], v126 offset:128
	;; [unrolled: 7-line block ×3, first 2 shown]
	ds_load_b128 v[219:222], v126 offset:224
	s_wait_loadcnt_dscnt 0x0
	s_barrier_signal -1
	s_barrier_wait -1
	global_inv scope:SCOPE_SE
	v_wmma_f32_16x16x16_f16 v[113:120], v[141:144], v[36:39], v[113:120]
	s_delay_alu instid0(VALU_DEP_1)
	v_wmma_f32_16x16x16_f16 v[113:120], v[219:222], v[32:35], v[113:120]
	v_add_nc_u32_e32 v141, 0x2200, v127
	v_add_nc_u32_e32 v143, 0x2208, v127
	ds_load_2addr_b32 v[141:142], v141 offset1:1
	ds_load_2addr_b32 v[143:144], v143 offset1:1
	s_wait_dscnt 0x1
	v_cvt_f32_f16_e64 v149, v141
	v_lshrrev_b32_e32 v141, 16, v141
	s_wait_dscnt 0x0
	v_cvt_f32_f16_e64 v220, v143
	v_lshrrev_b32_e32 v143, 16, v143
	v_cvt_f32_f16_e64 v219, v142
	v_lshrrev_b32_e32 v142, 16, v142
	;; [unrolled: 2-line block ×3, first 2 shown]
	v_cvt_f32_f16_e64 v143, v143
	v_add_f32_e32 v149, v113, v149
	v_add_co_u32 v113, vcc_lo, v156, v179
	v_add_f32_e32 v136, v114, v141
	v_add_f32_e32 v166, v117, v220
	s_wait_alu 0xfffd
	v_add_co_ci_u32_e64 v114, null, 0, v175, vcc_lo
	v_add_co_u32 v117, vcc_lo, v174, v179
	v_cvt_f32_f16_e64 v144, v144
	v_cvt_f32_f16_e64 v142, v142
	;; [unrolled: 1-line block ×3, first 2 shown]
	v_add_f32_e32 v210, v118, v143
	s_wait_alu 0xfffd
	v_add_co_ci_u32_e64 v118, null, 0, v216, vcc_lo
	v_add_f32_e32 v146, v115, v219
	v_dual_add_f32 v148, v119, v144 :: v_dual_add_f32 v167, v120, v221
	v_add_f32_e32 v145, v116, v142
	global_load_b128 v[113:116], v[113:114], off
	global_load_b128 v[117:120], v[117:118], off
	v_add_nc_u32_e32 v227, 0x400, v128
	v_mov_b32_e32 v253, v165
	v_add_f32_e32 v165, 0x40051340, v149
	s_wait_loadcnt 0x1
	ds_store_b128 v125, v[113:116]
	s_wait_loadcnt 0x0
	ds_store_b128 v185, v[117:120]
	v_add_co_u32 v113, vcc_lo, v106, v179
	s_wait_alu 0xfffd
	v_add_co_ci_u32_e64 v114, null, 0, v215, vcc_lo
	v_add_co_u32 v117, vcc_lo, v105, v179
	s_wait_alu 0xfffd
	v_add_co_ci_u32_e64 v118, null, 0, v153, vcc_lo
	global_load_b128 v[113:116], v[113:114], off
	global_load_b128 v[117:120], v[117:118], off
	s_wait_loadcnt 0x1
	ds_store_b128 v186, v[113:116]
	s_wait_loadcnt 0x0
	ds_store_b128 v187, v[117:120]
	v_add_co_u32 v113, vcc_lo, v173, v179
	s_wait_alu 0xfffd
	v_add_co_ci_u32_e64 v114, null, 0, v214, vcc_lo
	v_add_co_u32 v117, vcc_lo, v104, v179
	s_wait_alu 0xfffd
	v_add_co_ci_u32_e64 v118, null, 0, v172, vcc_lo
	global_load_b128 v[113:116], v[113:114], off
	global_load_b128 v[117:120], v[117:118], off
	;; [unrolled: 12-line block ×3, first 2 shown]
	s_wait_loadcnt 0x1
	ds_store_b128 v191, v[113:116]
	s_wait_loadcnt 0x0
	ds_store_b128 v192, v[117:120]
	s_wait_dscnt 0x0
	s_barrier_signal -1
	s_barrier_wait -1
	global_inv scope:SCOPE_SE
	ds_load_2addr_b32 v[113:114], v227 offset0:16 offset1:32
	ds_load_2addr_b32 v[117:118], v227 offset0:84 offset1:100
	ds_load_2addr_b32 v[141:142], v129 offset1:16
	ds_load_2addr_b32 v[219:220], v130 offset1:16
	s_wait_dscnt 0x2
	v_perm_b32 v143, v118, v114, 0x7060302
	v_perm_b32 v221, v118, v114, 0x5040100
	s_wait_dscnt 0x0
	v_perm_b32 v116, v219, v141, 0x7060302
	v_perm_b32 v120, v219, v141, 0x5040100
	;; [unrolled: 1-line block ×4, first 2 shown]
	ds_load_2addr_b32 v[219:220], v128 offset0:136 offset1:152
	ds_load_2addr_b32 v[223:224], v128 offset0:204 offset1:220
	v_perm_b32 v115, v117, v113, 0x7060302
	v_perm_b32 v119, v117, v113, 0x5040100
	s_wait_dscnt 0x0
	v_perm_b32 v114, v223, v219, 0x7060302
	v_perm_b32 v118, v223, v219, 0x5040100
	;; [unrolled: 1-line block ×4, first 2 shown]
	ds_load_2addr_b32 v[223:224], v128 offset1:16
	ds_load_2addr_b32 v[225:226], v128 offset0:68 offset1:84
	s_wait_dscnt 0x0
	v_perm_b32 v113, v225, v223, 0x7060302
	v_perm_b32 v117, v225, v223, 0x5040100
	;; [unrolled: 1-line block ×4, first 2 shown]
	ds_load_2addr_b32 v[223:224], v227 offset0:48 offset1:64
	ds_load_2addr_b32 v[227:228], v227 offset0:116 offset1:132
	ds_load_2addr_b32 v[230:231], v129 offset0:32 offset1:48
	ds_load_2addr_b32 v[234:235], v130 offset0:32 offset1:48
	s_wait_dscnt 0x2
	v_perm_b32 v233, v228, v224, 0x7060302
	v_perm_b32 v237, v228, v224, 0x5040100
	s_wait_dscnt 0x0
	v_perm_b32 v226, v234, v230, 0x7060302
	v_perm_b32 v230, v234, v230, 0x5040100
	;; [unrolled: 1-line block ×4, first 2 shown]
	ds_load_2addr_b32 v[235:236], v128 offset0:168 offset1:184
	ds_load_2addr_b32 v[239:240], v128 offset0:236 offset1:252
	v_perm_b32 v225, v227, v223, 0x7060302
	v_perm_b32 v229, v227, v223, 0x5040100
	s_wait_dscnt 0x0
	v_perm_b32 v224, v239, v235, 0x7060302
	v_perm_b32 v228, v239, v235, 0x5040100
	;; [unrolled: 1-line block ×4, first 2 shown]
	ds_load_2addr_b32 v[239:240], v128 offset0:32 offset1:48
	ds_load_2addr_b32 v[241:242], v128 offset0:100 offset1:116
	s_wait_loadcnt_dscnt 0x0
	s_barrier_signal -1
	s_barrier_wait -1
	global_inv scope:SCOPE_SE
	v_perm_b32 v223, v241, v239, 0x7060302
	v_perm_b32 v227, v241, v239, 0x5040100
	v_add_f32_e32 v239, 0x40051340, v136
	v_perm_b32 v231, v242, v240, 0x7060302
	v_perm_b32 v235, v242, v240, 0x5040100
	v_add_f32_e32 v240, 0x40051340, v145
	s_delay_alu instid0(VALU_DEP_4) | instskip(SKIP_1) | instid1(VALU_DEP_1)
	v_max3_num_f32 v165, v253, v165, v239
	v_add_f32_e32 v239, 0x40051340, v146
	v_max3_num_f32 v165, v165, v239, v240
	v_add_f32_e32 v239, 0x40051340, v166
	v_add_f32_e32 v240, 0x40051340, v210
	s_delay_alu instid0(VALU_DEP_1) | instskip(SKIP_1) | instid1(VALU_DEP_1)
	v_max3_num_f32 v165, v165, v239, v240
	v_dual_add_f32 v239, 0x40051340, v148 :: v_dual_add_f32 v240, 0x40051340, v167
	v_max3_num_f32 v165, v165, v239, v240
	ds_bpermute_b32 v239, v176, v165
	s_wait_dscnt 0x0
	v_max_num_f32_e32 v239, v239, v239
	s_delay_alu instid0(VALU_DEP_1) | instskip(NEXT) | instid1(VALU_DEP_1)
	v_max_num_f32_e32 v165, v165, v239
	v_sub_f32_e32 v166, v166, v165
	s_delay_alu instid0(VALU_DEP_1) | instskip(NEXT) | instid1(VALU_DEP_1)
	v_dual_sub_f32 v210, v210, v165 :: v_dual_mul_f32 v239, 0x3fb8aa3b, v166
	v_cmp_ngt_f32_e32 vcc_lo, 0xc2ce8ed0, v210
	v_cmp_ngt_f32_e64 s5, 0xc2ce8ed0, v166
	s_delay_alu instid0(VALU_DEP_3) | instskip(SKIP_1) | instid1(VALU_DEP_1)
	v_fma_f32 v240, 0x3fb8aa3b, v166, -v239
	v_rndne_f32_e32 v241, v239
	v_dual_fmac_f32 v240, 0x32a5705f, v166 :: v_dual_sub_f32 v239, v239, v241
	v_cvt_i32_f32_e32 v241, v241
	s_delay_alu instid0(VALU_DEP_2)
	v_dual_add_f32 v239, v239, v240 :: v_dual_mul_f32 v240, 0x3fb8aa3b, v210
	v_sub_f32_e32 v148, v148, v165
	v_sub_f32_e32 v167, v167, v165
	;; [unrolled: 1-line block ×4, first 2 shown]
	v_fma_f32 v242, 0x3fb8aa3b, v210, -v240
	v_rndne_f32_e32 v100, v240
	v_cmp_ngt_f32_e64 s3, 0xc2ce8ed0, v148
	v_cmp_ngt_f32_e64 s4, 0xc2ce8ed0, v167
	v_sub_f32_e32 v146, v146, v165
	v_fmac_f32_e32 v242, 0x32a5705f, v210
	v_sub_f32_e32 v240, v240, v100
	v_sub_f32_e32 v136, v136, v165
	s_delay_alu instid0(VALU_DEP_2) | instskip(SKIP_1) | instid1(VALU_DEP_1)
	v_add_f32_e32 v240, v240, v242
	v_mul_f32_e32 v242, 0x3fb8aa3b, v148
	v_fma_f32 v64, 0x3fb8aa3b, v148, -v242
	v_rndne_f32_e32 v65, v242
	s_delay_alu instid0(VALU_DEP_2) | instskip(NEXT) | instid1(VALU_DEP_2)
	v_fmac_f32_e32 v64, 0x32a5705f, v148
	v_sub_f32_e32 v242, v242, v65
	v_cvt_i32_f32_e32 v65, v65
	s_delay_alu instid0(VALU_DEP_2) | instskip(SKIP_2) | instid1(VALU_DEP_2)
	v_add_f32_e32 v64, v242, v64
	v_mul_f32_e32 v242, 0x3fb8aa3b, v167
	v_exp_f32_e32 v239, v239
	v_exp_f32_e32 v64, v64
	s_delay_alu instid0(VALU_DEP_1) | instskip(SKIP_1) | instid1(VALU_DEP_2)
	v_fma_f32 v140, 0x3fb8aa3b, v167, -v242
	v_rndne_f32_e32 v243, v242
	v_fmac_f32_e32 v140, 0x32a5705f, v167
	s_delay_alu instid0(TRANS32_DEP_2) | instskip(NEXT) | instid1(TRANS32_DEP_1)
	v_ldexp_f32 v239, v239, v241
	v_ldexp_f32 v64, v64, v65
	v_cvt_i32_f32_e32 v65, v100
	v_exp_f32_e32 v100, v240
	s_wait_alu 0xf1ff
	s_delay_alu instid0(VALU_DEP_2) | instskip(SKIP_2) | instid1(VALU_DEP_1)
	v_cndmask_b32_e64 v64, 0, v64, s3
	v_cmp_nlt_f32_e64 s3, 0x42b17218, v148
	s_wait_alu 0xf1ff
	v_cndmask_b32_e64 v64, 0x7f800000, v64, s3
	s_delay_alu instid0(TRANS32_DEP_1) | instskip(SKIP_3) | instid1(VALU_DEP_3)
	v_ldexp_f32 v65, v100, v65
	v_cvt_i32_f32_e32 v100, v243
	v_cmp_ngt_f32_e64 s3, 0xc2ce8ed0, v146
	s_wait_alu 0xfffd
	v_cndmask_b32_e32 v65, 0, v65, vcc_lo
	v_cmp_nlt_f32_e32 vcc_lo, 0x42b17218, v210
	s_wait_alu 0xfffd
	s_delay_alu instid0(VALU_DEP_2) | instskip(NEXT) | instid1(VALU_DEP_1)
	v_dual_sub_f32 v242, v242, v243 :: v_dual_cndmask_b32 v65, 0x7f800000, v65
	v_add_f32_e32 v140, v242, v140
	v_cmp_ngt_f32_e32 vcc_lo, 0xc2ce8ed0, v145
	s_delay_alu instid0(VALU_DEP_3) | instskip(NEXT) | instid1(VALU_DEP_3)
	v_cvt_f16_f32_e64 v210, v65
	v_exp_f32_e32 v140, v140
	s_delay_alu instid0(TRANS32_DEP_1) | instskip(SKIP_3) | instid1(VALU_DEP_4)
	v_ldexp_f32 v100, v140, v100
	v_cndmask_b32_e64 v140, 0, v239, s5
	v_cmp_nlt_f32_e64 s5, 0x42b17218, v166
	v_cvt_f16_f32_e64 v166, v64
	v_cndmask_b32_e64 v100, 0, v100, s4
	v_cmp_nlt_f32_e64 s4, 0x42b17218, v167
	s_wait_alu 0xf1ff
	v_cndmask_b32_e64 v140, 0x7f800000, v140, s5
	s_delay_alu instid0(VALU_DEP_2) | instskip(NEXT) | instid1(VALU_DEP_2)
	v_cndmask_b32_e64 v100, 0x7f800000, v100, s4
	v_cvt_f16_f32_e64 v148, v140
	s_delay_alu instid0(VALU_DEP_2) | instskip(NEXT) | instid1(VALU_DEP_2)
	v_cvt_f16_f32_e64 v167, v100
	v_perm_b32 v241, v210, v148, 0x5040100
	v_mul_f32_e32 v148, 0x3fb8aa3b, v145
	s_delay_alu instid0(VALU_DEP_3) | instskip(NEXT) | instid1(VALU_DEP_2)
	v_perm_b32 v242, v167, v166, 0x5040100
	v_fma_f32 v166, 0x3fb8aa3b, v145, -v148
	v_rndne_f32_e32 v167, v148
	s_delay_alu instid0(VALU_DEP_2) | instskip(NEXT) | instid1(VALU_DEP_2)
	v_fmac_f32_e32 v166, 0x32a5705f, v145
	v_sub_f32_e32 v148, v148, v167
	v_cvt_i32_f32_e32 v167, v167
	s_delay_alu instid0(VALU_DEP_2) | instskip(SKIP_1) | instid1(VALU_DEP_2)
	v_add_f32_e32 v148, v148, v166
	v_mul_f32_e32 v166, 0x3fb8aa3b, v146
	v_exp_f32_e32 v148, v148
	s_delay_alu instid0(VALU_DEP_1) | instskip(SKIP_1) | instid1(VALU_DEP_2)
	v_fma_f32 v210, 0x3fb8aa3b, v146, -v166
	v_rndne_f32_e32 v239, v166
	v_fmac_f32_e32 v210, 0x32a5705f, v146
	s_delay_alu instid0(VALU_DEP_2) | instskip(NEXT) | instid1(TRANS32_DEP_1)
	v_sub_f32_e32 v166, v166, v239
	v_ldexp_f32 v148, v148, v167
	v_cvt_i32_f32_e32 v167, v239
	s_delay_alu instid0(VALU_DEP_3) | instskip(SKIP_1) | instid1(VALU_DEP_3)
	v_add_f32_e32 v166, v166, v210
	s_wait_alu 0xfffd
	v_cndmask_b32_e32 v148, 0, v148, vcc_lo
	v_cmp_nlt_f32_e32 vcc_lo, 0x42b17218, v145
	s_delay_alu instid0(VALU_DEP_3) | instskip(NEXT) | instid1(TRANS32_DEP_1)
	v_exp_f32_e32 v166, v166
	v_ldexp_f32 v166, v166, v167
	s_delay_alu instid0(VALU_DEP_1)
	v_cndmask_b32_e64 v145, 0, v166, s3
	v_cmp_nlt_f32_e64 s3, 0x42b17218, v146
	s_wait_alu 0xfffd
	v_cndmask_b32_e32 v146, 0x7f800000, v148, vcc_lo
	v_cmp_ngt_f32_e32 vcc_lo, 0xc2ce8ed0, v136
	s_wait_alu 0xf1ff
	v_cndmask_b32_e64 v145, 0x7f800000, v145, s3
	s_delay_alu instid0(VALU_DEP_3) | instskip(SKIP_1) | instid1(VALU_DEP_3)
	v_cvt_f16_f32_e64 v166, v146
	v_cmp_ngt_f32_e64 s3, 0xc2ce8ed0, v149
	v_cvt_f16_f32_e64 v148, v145
	s_delay_alu instid0(VALU_DEP_1) | instskip(SKIP_1) | instid1(VALU_DEP_1)
	v_perm_b32 v240, v166, v148, 0x5040100
	v_mul_f32_e32 v148, 0x3fb8aa3b, v136
	v_fma_f32 v166, 0x3fb8aa3b, v136, -v148
	v_rndne_f32_e32 v167, v148
	s_delay_alu instid0(VALU_DEP_2) | instskip(NEXT) | instid1(VALU_DEP_2)
	v_fmac_f32_e32 v166, 0x32a5705f, v136
	v_sub_f32_e32 v148, v148, v167
	v_cvt_i32_f32_e32 v167, v167
	s_delay_alu instid0(VALU_DEP_2) | instskip(SKIP_1) | instid1(VALU_DEP_2)
	v_add_f32_e32 v148, v148, v166
	v_mul_f32_e32 v166, 0x3fb8aa3b, v149
	v_exp_f32_e32 v148, v148
	s_delay_alu instid0(VALU_DEP_1) | instskip(SKIP_1) | instid1(VALU_DEP_2)
	v_fma_f32 v210, 0x3fb8aa3b, v149, -v166
	v_rndne_f32_e32 v239, v166
	v_fmac_f32_e32 v210, 0x32a5705f, v149
	s_delay_alu instid0(VALU_DEP_2) | instskip(NEXT) | instid1(TRANS32_DEP_1)
	v_sub_f32_e32 v166, v166, v239
	v_ldexp_f32 v148, v148, v167
	v_cvt_i32_f32_e32 v167, v239
	s_delay_alu instid0(VALU_DEP_3) | instskip(SKIP_1) | instid1(VALU_DEP_3)
	v_add_f32_e32 v166, v166, v210
	s_wait_alu 0xfffd
	v_cndmask_b32_e32 v148, 0, v148, vcc_lo
	v_cmp_nlt_f32_e32 vcc_lo, 0x42b17218, v136
	s_delay_alu instid0(VALU_DEP_3) | instskip(SKIP_1) | instid1(VALU_DEP_2)
	v_exp_f32_e32 v166, v166
	s_wait_alu 0xfffd
	v_cndmask_b32_e32 v148, 0x7f800000, v148, vcc_lo
	s_delay_alu instid0(TRANS32_DEP_1) | instskip(SKIP_1) | instid1(VALU_DEP_1)
	v_ldexp_f32 v166, v166, v167
	s_wait_alu 0xf1ff
	v_cndmask_b32_e64 v136, 0, v166, s3
	v_cmp_nlt_f32_e64 s3, 0x42b17218, v149
	v_cvt_f16_f32_e64 v166, v148
	s_wait_alu 0xf1ff
	s_delay_alu instid0(VALU_DEP_2) | instskip(NEXT) | instid1(VALU_DEP_1)
	v_cndmask_b32_e64 v136, 0x7f800000, v136, s3
	v_cvt_f16_f32_e64 v149, v136
	s_delay_alu instid0(VALU_DEP_1) | instskip(SKIP_1) | instid1(VALU_DEP_1)
	v_perm_b32 v239, v166, v149, 0x5040100
	v_sub_f32_e32 v149, v253, v165
	v_mul_f32_e32 v166, 0x3fb8aa3b, v149
	v_cmp_ngt_f32_e32 vcc_lo, 0xc2ce8ed0, v149
	s_delay_alu instid0(VALU_DEP_2) | instskip(SKIP_1) | instid1(VALU_DEP_1)
	v_fma_f32 v167, 0x3fb8aa3b, v149, -v166
	v_rndne_f32_e32 v210, v166
	v_dual_fmac_f32 v167, 0x32a5705f, v149 :: v_dual_sub_f32 v166, v166, v210
	s_delay_alu instid0(VALU_DEP_1) | instskip(SKIP_1) | instid1(VALU_DEP_2)
	v_add_f32_e32 v166, v166, v167
	v_cvt_i32_f32_e32 v167, v210
	v_exp_f32_e32 v166, v166
	s_delay_alu instid0(TRANS32_DEP_1) | instskip(SKIP_1) | instid1(VALU_DEP_1)
	v_ldexp_f32 v166, v166, v167
	s_wait_alu 0xfffd
	v_cndmask_b32_e32 v166, 0, v166, vcc_lo
	v_cmp_nlt_f32_e32 vcc_lo, 0x42b17218, v149
	s_wait_alu 0xfffd
	s_delay_alu instid0(VALU_DEP_2) | instskip(SKIP_2) | instid1(VALU_DEP_2)
	v_cndmask_b32_e32 v166, 0x7f800000, v166, vcc_lo
	v_cmp_le_f32_e32 vcc_lo, 0xc1a00000, v149
	s_wait_alu 0xfffd
	v_cndmask_b32_e32 v149, 0, v166, vcc_lo
	v_add_co_u32 v109, vcc_lo, v109, 64
	s_wait_alu 0xfffd
	v_add_co_ci_u32_e64 v110, null, 0, v110, vcc_lo
	s_delay_alu instid0(VALU_DEP_3) | instskip(SKIP_3) | instid1(VALU_DEP_3)
	v_cvt_f16_f32_e64 v166, v149
	v_add_co_u32 v111, vcc_lo, v111, 64
	s_wait_alu 0xfffd
	v_add_co_ci_u32_e64 v112, null, 0, v112, vcc_lo
	v_and_b32_e32 v166, 0xffff, v166
	v_add_co_u32 v156, vcc_lo, v156, s68
	s_wait_alu 0xfffd
	v_add_co_ci_u32_e64 v175, null, s69, v175, vcc_lo
	s_delay_alu instid0(VALU_DEP_3) | instskip(SKIP_3) | instid1(VALU_DEP_3)
	v_mul_u32_u24_e32 v166, 0x10001, v166
	v_add_co_u32 v174, vcc_lo, v174, s68
	s_wait_alu 0xfffd
	v_add_co_ci_u32_e64 v216, null, s69, v216, vcc_lo
	v_pk_mul_f16 v20, v20, v166
	v_pk_mul_f16 v21, v21, v166
	;; [unrolled: 1-line block ×4, first 2 shown]
	v_add_co_u32 v106, vcc_lo, v106, s68
	s_wait_alu 0xfffd
	v_add_co_ci_u32_e64 v215, null, s69, v215, vcc_lo
	s_delay_alu instid0(VALU_DEP_3) | instskip(SKIP_4) | instid1(VALU_DEP_3)
	v_wmma_f16_16x16x16_f16 v[20:23], v[113:116], v[239:242], v[20:23]
	v_add_f32_e32 v113, v136, v148
	v_add_co_u32 v105, vcc_lo, v105, s68
	s_wait_alu 0xfffd
	v_add_co_ci_u32_e64 v153, null, s69, v153, vcc_lo
	v_add_f32_e32 v113, v145, v113
	v_add_co_u32 v173, vcc_lo, v173, s68
	s_wait_alu 0xfffd
	v_add_co_ci_u32_e64 v214, null, s69, v214, vcc_lo
	s_delay_alu instid0(VALU_DEP_3) | instskip(SKIP_3) | instid1(VALU_DEP_3)
	v_add_f32_e32 v113, v146, v113
	v_add_co_u32 v104, vcc_lo, v104, s68
	s_wait_alu 0xfffd
	v_add_co_ci_u32_e64 v172, null, s69, v172, vcc_lo
	v_add_f32_e32 v113, v140, v113
	v_add_co_u32 v213, vcc_lo, v213, s68
	s_wait_alu 0xfffd
	v_add_co_ci_u32_e64 v103, null, s69, v103, vcc_lo
	v_add_co_u32 v150, vcc_lo, v150, s68
	s_wait_alu 0xfffd
	v_add_co_ci_u32_e64 v171, null, s69, v171, vcc_lo
	v_add_co_u32 v170, vcc_lo, v170, s70
	v_add_f32_e32 v65, v65, v113
	s_wait_alu 0xfffd
	v_add_co_ci_u32_e64 v212, null, s71, v212, vcc_lo
	v_add_co_u32 v102, vcc_lo, v102, s70
	s_wait_alu 0xfffd
	v_add_co_ci_u32_e64 v147, null, s71, v147, vcc_lo
	v_add_co_u32 v169, vcc_lo, v169, s70
	v_add_f32_e32 v64, v64, v65
	s_wait_alu 0xfffd
	v_add_co_ci_u32_e64 v168, null, s71, v168, vcc_lo
	v_add_co_u32 v211, vcc_lo, v211, s70
	s_wait_alu 0xfffd
	v_add_co_ci_u32_e64 v101, null, s71, v101, vcc_lo
	v_add_co_u32 v161, vcc_lo, v161, s70
	;; [unrolled: 3-line block ×3, first 2 shown]
	v_pk_mul_f16 v28, v28, v166
	v_pk_mul_f16 v29, v29, v166
	;; [unrolled: 1-line block ×28, first 2 shown]
	v_mov_b32_e32 v65, v252
	v_add_f32_e32 v252, v100, v64
	s_wait_alu 0xfffd
	v_add_co_ci_u32_e64 v157, null, s71, v157, vcc_lo
	v_add_co_u32 v155, vcc_lo, v155, s70
	s_wait_alu 0xfffd
	v_add_co_ci_u32_e64 v154, null, s71, v154, vcc_lo
	v_add_co_u32 v152, vcc_lo, v152, s70
	v_wmma_f16_16x16x16_f16 v[28:31], v[117:120], v[239:242], v[28:31]
	v_wmma_f16_16x16x16_f16 v[24:27], v[219:222], v[239:242], v[24:27]
	;; [unrolled: 1-line block ×7, first 2 shown]
	v_fmac_f32_e32 v252, v65, v149
	s_wait_alu 0xfffd
	v_add_co_ci_u32_e64 v151, null, s71, v151, vcc_lo
	s_cbranch_scc1 .LBB24_179
; %bb.180:                              ;   in Loop: Header=BB24_12 Depth=1
	v_mad_co_i64_i32 v[111:112], null, v178, s40, 0
	v_mad_co_i64_i32 v[109:110], null, v177, s40, 0
	s_lshl_b32 s56, s6, 5
	s_wait_alu 0xfffe
	s_mov_b64 s[4:5], s[56:57]
	s_branch .LBB24_182
.LBB24_181:                             ;   in Loop: Header=BB24_12 Depth=1
	v_dual_mov_b32 v31, 0 :: v_dual_mov_b32 v252, 0
	v_mov_b32_e32 v23, 0
	v_mov_b32_e32 v165, 0xfeffffff
	s_mov_b64 s[4:5], 0
	s_delay_alu instid0(VALU_DEP_3)
	v_mov_b32_e32 v30, v31
	v_dual_mov_b32 v28, v31 :: v_dual_mov_b32 v29, v31
	v_dual_mov_b32 v22, v23 :: v_dual_mov_b32 v21, v23
	v_dual_mov_b32 v20, v23 :: v_dual_mov_b32 v27, v31
	v_dual_mov_b32 v26, v31 :: v_dual_mov_b32 v25, v31
	v_dual_mov_b32 v24, v31 :: v_dual_mov_b32 v19, v23
	v_dual_mov_b32 v18, v23 :: v_dual_mov_b32 v17, v23
	v_dual_mov_b32 v16, v23 :: v_dual_mov_b32 v15, v31
	v_dual_mov_b32 v14, v31 :: v_dual_mov_b32 v13, v31
	v_dual_mov_b32 v12, v31 :: v_dual_mov_b32 v11, v23
	v_dual_mov_b32 v10, v23 :: v_dual_mov_b32 v9, v23
	v_dual_mov_b32 v8, v23 :: v_dual_mov_b32 v7, v31
	v_dual_mov_b32 v6, v31 :: v_dual_mov_b32 v5, v31
	v_dual_mov_b32 v4, v31 :: v_dual_mov_b32 v3, v23
	v_dual_mov_b32 v2, v23 :: v_dual_mov_b32 v1, v23
	v_mov_b32_e32 v0, v23
.LBB24_182:                             ;   in Loop: Header=BB24_12 Depth=1
	v_lshlrev_b32_e32 v64, 1, v122
	s_wait_alu 0xfffe
	s_lshl_b64 s[42:43], s[4:5], 1
	v_lshlrev_b64_e32 v[101:102], 1, v[111:112]
	s_wait_alu 0xfffe
	s_add_nc_u64 s[42:43], s[80:81], s[42:43]
	v_lshlrev_b64_e32 v[103:104], 1, v[109:110]
	s_wait_alu 0xfffe
	v_add_co_u32 v64, s3, s42, v64
	s_wait_alu 0xf1ff
	v_add_co_ci_u32_e64 v65, null, s43, 0, s3
	v_add_nc_u32_e32 v100, v184, v182
	s_delay_alu instid0(VALU_DEP_3) | instskip(SKIP_1) | instid1(VALU_DEP_3)
	v_add_co_u32 v101, vcc_lo, v64, v101
	s_wait_alu 0xfffd
	v_add_co_ci_u32_e64 v102, null, v65, v102, vcc_lo
	v_add_co_u32 v103, vcc_lo, v64, v103
	s_wait_alu 0xfffd
	v_add_co_ci_u32_e64 v104, null, v65, v104, vcc_lo
	s_clause 0x1
	global_load_b32 v64, v[101:102], off
	global_load_b32 v65, v[103:104], off
	s_mul_u64 s[42:43], s[4:5], s[26:27]
	v_add_nc_u32_e32 v100, 0x2000, v100
	s_wait_alu 0xfffe
	s_lshl_b64 s[42:43], s[42:43], 2
	s_mul_u64 s[4:5], s[4:5], s[36:37]
	s_wait_alu 0xfffe
	s_add_nc_u64 s[42:43], s[78:79], s[42:43]
	s_lshl_b64 s[4:5], s[4:5], 2
	s_cmp_eq_u64 s[74:75], 0
	s_wait_alu 0xfffe
	s_add_nc_u64 s[4:5], s[76:77], s[4:5]
	s_wait_loadcnt 0x0
	ds_store_2addr_b32 v100, v64, v65 offset0:128 offset1:208
	v_add_co_u32 v64, vcc_lo, s42, v82
	s_wait_alu 0xfffd
	v_add_co_ci_u32_e64 v65, null, s43, v83, vcc_lo
	s_delay_alu instid0(VALU_DEP_2) | instskip(SKIP_1) | instid1(VALU_DEP_2)
	v_add_co_u32 v101, vcc_lo, v64, v180
	s_wait_alu 0xfffd
	v_add_co_ci_u32_e64 v102, null, 0, v65, vcc_lo
	v_add_co_u32 v64, vcc_lo, s42, v84
	s_wait_alu 0xfffd
	v_add_co_ci_u32_e64 v65, null, s43, v85, vcc_lo
	s_delay_alu instid0(VALU_DEP_2) | instskip(SKIP_1) | instid1(VALU_DEP_2)
	v_add_co_u32 v105, vcc_lo, v64, v180
	s_wait_alu 0xfffd
	v_add_co_ci_u32_e64 v106, null, 0, v65, vcc_lo
	s_clause 0x1
	global_load_b128 v[101:104], v[101:102], off
	global_load_b128 v[109:112], v[105:106], off
	v_add_co_u32 v64, vcc_lo, s42, v86
	s_wait_alu 0xfffd
	v_add_co_ci_u32_e64 v65, null, s43, v87, vcc_lo
	s_wait_loadcnt 0x1
	ds_store_b128 v125, v[101:104]
	s_wait_loadcnt 0x0
	ds_store_b128 v185, v[109:112]
	v_add_co_u32 v101, vcc_lo, v64, v180
	s_wait_alu 0xfffd
	v_add_co_ci_u32_e64 v102, null, 0, v65, vcc_lo
	v_add_co_u32 v64, vcc_lo, s42, v88
	s_wait_alu 0xfffd
	v_add_co_ci_u32_e64 v65, null, s43, v89, vcc_lo
	s_delay_alu instid0(VALU_DEP_2) | instskip(SKIP_1) | instid1(VALU_DEP_2)
	v_add_co_u32 v105, vcc_lo, v64, v180
	s_wait_alu 0xfffd
	v_add_co_ci_u32_e64 v106, null, 0, v65, vcc_lo
	s_clause 0x1
	global_load_b128 v[101:104], v[101:102], off
	global_load_b128 v[109:112], v[105:106], off
	v_add_co_u32 v64, vcc_lo, s42, v90
	s_wait_alu 0xfffd
	v_add_co_ci_u32_e64 v65, null, s43, v91, vcc_lo
	s_wait_loadcnt 0x1
	ds_store_b128 v186, v[101:104]
	s_wait_loadcnt 0x0
	ds_store_b128 v187, v[109:112]
	;; [unrolled: 20-line block ×3, first 2 shown]
	v_add_co_u32 v101, vcc_lo, v64, v180
	s_wait_alu 0xfffd
	v_add_co_ci_u32_e64 v102, null, 0, v65, vcc_lo
	v_add_co_u32 v64, vcc_lo, s42, v97
	s_wait_alu 0xfffd
	v_add_co_ci_u32_e64 v65, null, s43, v98, vcc_lo
	s_delay_alu instid0(VALU_DEP_2) | instskip(SKIP_1) | instid1(VALU_DEP_2)
	v_add_co_u32 v105, vcc_lo, v64, v180
	s_wait_alu 0xfffd
	v_add_co_ci_u32_e64 v106, null, 0, v65, vcc_lo
	s_clause 0x1
	global_load_b128 v[101:104], v[101:102], off
	global_load_b128 v[109:112], v[105:106], off
	v_cmp_lt_i32_e32 vcc_lo, v254, v159
	s_wait_loadcnt 0x1
	ds_store_b128 v191, v[101:104]
	s_wait_loadcnt 0x0
	ds_store_b128 v192, v[109:112]
	s_wait_dscnt 0x0
	s_barrier_signal -1
	s_barrier_wait -1
	global_inv scope:SCOPE_SE
	ds_load_b128 v[101:104], v126
	ds_load_b128 v[117:120], v126 offset:32
	s_wait_dscnt 0x1
	v_wmma_f32_16x16x16_f16 v[109:116], v[101:104], v[60:63], 0
	s_wait_dscnt 0x0
	s_delay_alu instid0(VALU_DEP_1)
	v_wmma_f32_16x16x16_f16 v[109:116], v[117:120], v[56:59], v[109:116]
	ds_load_b128 v[56:59], v126 offset:64
	ds_load_b128 v[60:63], v126 offset:96
	s_wait_dscnt 0x1
	v_wmma_f32_16x16x16_f16 v[109:116], v[56:59], v[52:55], v[109:116]
	v_add_nc_u32_e32 v59, 0x400, v128
	s_wait_dscnt 0x0
	s_delay_alu instid0(VALU_DEP_2)
	v_wmma_f32_16x16x16_f16 v[109:116], v[60:63], v[48:51], v[109:116]
	ds_load_b128 v[48:51], v126 offset:128
	ds_load_b128 v[52:55], v126 offset:160
	s_wait_dscnt 0x1
	v_wmma_f32_16x16x16_f16 v[109:116], v[48:51], v[40:43], v[109:116]
	s_wait_dscnt 0x0
	s_delay_alu instid0(VALU_DEP_1)
	v_wmma_f32_16x16x16_f16 v[109:116], v[52:55], v[44:47], v[109:116]
	ds_load_b128 v[40:43], v126 offset:192
	ds_load_b128 v[44:47], v126 offset:224
	s_wait_loadcnt_dscnt 0x0
	s_barrier_signal -1
	s_barrier_wait -1
	global_inv scope:SCOPE_SE
	v_wmma_f32_16x16x16_f16 v[109:116], v[40:43], v[36:39], v[109:116]
	s_delay_alu instid0(VALU_DEP_1)
	v_wmma_f32_16x16x16_f16 v[109:116], v[44:47], v[32:35], v[109:116]
	v_add_nc_u32_e32 v32, 0x2200, v127
	v_add_nc_u32_e32 v34, 0x2208, v127
	ds_load_2addr_b32 v[32:33], v32 offset1:1
	ds_load_2addr_b32 v[34:35], v34 offset1:1
	s_wait_dscnt 0x1
	v_cvt_f32_f16_e32 v36, v32
	v_lshrrev_b32_e32 v32, 16, v32
	v_cvt_f32_f16_e32 v37, v33
	v_lshrrev_b32_e32 v33, 16, v33
	s_wait_dscnt 0x0
	v_lshrrev_b32_e32 v38, 16, v35
	v_cvt_f32_f16_e32 v42, v34
	v_cvt_f32_f16_e32 v32, v32
	v_lshrrev_b32_e32 v34, 16, v34
	v_cvt_f32_f16_e32 v33, v33
	v_cvt_f32_f16_e32 v43, v38
	v_add_f32_e32 v38, v109, v36
	v_add_f32_e32 v39, v110, v32
	v_cvt_f32_f16_e32 v34, v34
	v_dual_add_f32 v41, v112, v33 :: v_dual_add_f32 v64, v113, v42
	v_add_f32_e32 v40, v111, v37
	s_delay_alu instid0(VALU_DEP_4) | instskip(SKIP_1) | instid1(VALU_DEP_4)
	v_dual_add_f32 v32, 0x40051340, v38 :: v_dual_add_f32 v33, 0x40051340, v39
	v_cvt_f32_f16_e32 v35, v35
	v_dual_add_f32 v65, v114, v34 :: v_dual_add_f32 v34, 0x40051340, v41
	s_delay_alu instid0(VALU_DEP_3) | instskip(NEXT) | instid1(VALU_DEP_3)
	v_max3_num_f32 v32, v165, v32, v33
	v_dual_add_f32 v33, 0x40051340, v40 :: v_dual_add_f32 v100, v115, v35
	v_add_f32_e32 v42, v116, v43
	s_delay_alu instid0(VALU_DEP_2) | instskip(SKIP_1) | instid1(VALU_DEP_1)
	v_max3_num_f32 v32, v32, v33, v34
	v_dual_add_f32 v33, 0x40051340, v64 :: v_dual_add_f32 v34, 0x40051340, v65
	v_max3_num_f32 v32, v32, v33, v34
	s_delay_alu instid0(VALU_DEP_4) | instskip(NEXT) | instid1(VALU_DEP_1)
	v_dual_add_f32 v33, 0x40051340, v100 :: v_dual_add_f32 v34, 0x40051340, v42
	v_max3_num_f32 v32, v32, v33, v34
	s_wait_alu 0xfffd
	v_cndmask_b32_e32 v33, v251, v254, vcc_lo
	s_delay_alu instid0(VALU_DEP_1) | instskip(SKIP_3) | instid1(VALU_DEP_1)
	v_lshlrev_b32_e32 v36, 2, v33
	ds_bpermute_b32 v33, v36, v32
	s_wait_dscnt 0x0
	v_max_num_f32_e32 v33, v33, v33
	v_max_num_f32_e32 v37, v32, v33
	s_delay_alu instid0(VALU_DEP_1)
	v_sub_f32_e32 v32, v165, v37
	v_sub_f32_e32 v42, v42, v37
	;; [unrolled: 1-line block ×5, first 2 shown]
	v_mul_f32_e32 v33, 0x3fb8aa3b, v32
	v_cmp_ngt_f32_e32 vcc_lo, 0xc2ce8ed0, v32
	v_sub_f32_e32 v100, v100, v37
	v_sub_f32_e32 v40, v40, v37
	;; [unrolled: 1-line block ×3, first 2 shown]
	v_fma_f32 v34, 0x3fb8aa3b, v32, -v33
	v_rndne_f32_e32 v35, v33
	v_cmp_ngt_f32_e64 s3, 0xc2ce8ed0, v100
	s_delay_alu instid0(VALU_DEP_2) | instskip(NEXT) | instid1(VALU_DEP_1)
	v_dual_fmac_f32 v34, 0x32a5705f, v32 :: v_dual_sub_f32 v33, v33, v35
	v_add_f32_e32 v33, v33, v34
	v_cvt_i32_f32_e32 v34, v35
	s_delay_alu instid0(VALU_DEP_2) | instskip(NEXT) | instid1(TRANS32_DEP_1)
	v_exp_f32_e32 v33, v33
	v_ldexp_f32 v33, v33, v34
	s_wait_alu 0xfffd
	s_delay_alu instid0(VALU_DEP_1) | instskip(SKIP_2) | instid1(VALU_DEP_2)
	v_cndmask_b32_e32 v33, 0, v33, vcc_lo
	v_cmp_nlt_f32_e32 vcc_lo, 0x42b17218, v32
	s_wait_alu 0xfffd
	v_cndmask_b32_e32 v33, 0x7f800000, v33, vcc_lo
	v_cmp_le_f32_e32 vcc_lo, 0xc1a00000, v32
	s_wait_alu 0xfffd
	s_delay_alu instid0(VALU_DEP_2) | instskip(NEXT) | instid1(VALU_DEP_1)
	v_cndmask_b32_e32 v117, 0, v33, vcc_lo
	v_cvt_f16_f32_e32 v32, v117
	s_delay_alu instid0(VALU_DEP_1) | instskip(NEXT) | instid1(VALU_DEP_1)
	v_and_b32_e32 v32, 0xffff, v32
	v_mul_u32_u24_e32 v43, 0x10001, v32
	s_delay_alu instid0(VALU_DEP_1)
	v_pk_mul_f16 v32, v20, v43
	v_pk_mul_f16 v20, v24, v43
	s_wait_alu 0xfffe
	v_add_co_u32 v24, vcc_lo, s4, v66
	v_pk_mul_f16 v33, v21, v43
	v_pk_mul_f16 v21, v25, v43
	s_wait_alu 0xfffd
	v_add_co_ci_u32_e64 v25, null, s5, v67, vcc_lo
	v_add_co_u32 v24, vcc_lo, v24, v180
	v_pk_mul_f16 v34, v22, v43
	v_pk_mul_f16 v22, v26, v43
	s_wait_alu 0xfffd
	v_add_co_ci_u32_e64 v25, null, 0, v25, vcc_lo
	;; [unrolled: 5-line block ×3, first 2 shown]
	v_pk_mul_f16 v28, v28, v43
	v_pk_mul_f16 v29, v29, v43
	v_pk_mul_f16 v30, v30, v43
	v_pk_mul_f16 v31, v31, v43
	v_pk_mul_f16 v16, v16, v43
	v_pk_mul_f16 v17, v17, v43
	v_pk_mul_f16 v18, v18, v43
	v_pk_mul_f16 v19, v19, v43
	v_pk_mul_f16 v12, v12, v43
	v_pk_mul_f16 v13, v13, v43
	v_pk_mul_f16 v14, v14, v43
	v_pk_mul_f16 v15, v15, v43
	v_pk_mul_f16 v8, v8, v43
	v_pk_mul_f16 v9, v9, v43
	v_pk_mul_f16 v10, v10, v43
	v_pk_mul_f16 v11, v11, v43
	v_pk_mul_f16 v4, v4, v43
	v_pk_mul_f16 v5, v5, v43
	v_pk_mul_f16 v6, v6, v43
	v_pk_mul_f16 v7, v7, v43
	v_pk_mul_f16 v0, v0, v43
	v_pk_mul_f16 v1, v1, v43
	v_pk_mul_f16 v2, v2, v43
	v_pk_mul_f16 v3, v3, v43
	v_add_co_u32 v43, vcc_lo, v26, v180
	s_wait_alu 0xfffd
	v_add_co_ci_u32_e64 v44, null, 0, v27, vcc_lo
	s_clause 0x1
	global_load_b128 v[24:27], v[24:25], off
	global_load_b128 v[43:46], v[43:44], off
	s_wait_loadcnt 0x1
	ds_store_b128 v125, v[24:27]
	s_wait_loadcnt 0x0
	ds_store_b128 v185, v[43:46]
	v_add_co_u32 v24, vcc_lo, s4, v70
	s_wait_alu 0xfffd
	v_add_co_ci_u32_e64 v25, null, s5, v71, vcc_lo
	s_delay_alu instid0(VALU_DEP_2) | instskip(SKIP_1) | instid1(VALU_DEP_2)
	v_add_co_u32 v24, vcc_lo, v24, v180
	s_wait_alu 0xfffd
	v_add_co_ci_u32_e64 v25, null, 0, v25, vcc_lo
	v_add_co_u32 v26, vcc_lo, s4, v72
	s_wait_alu 0xfffd
	v_add_co_ci_u32_e64 v27, null, s5, v73, vcc_lo
	s_delay_alu instid0(VALU_DEP_2) | instskip(SKIP_1) | instid1(VALU_DEP_2)
	v_add_co_u32 v43, vcc_lo, v26, v180
	s_wait_alu 0xfffd
	v_add_co_ci_u32_e64 v44, null, 0, v27, vcc_lo
	s_clause 0x1
	global_load_b128 v[24:27], v[24:25], off
	global_load_b128 v[43:46], v[43:44], off
	s_wait_loadcnt 0x1
	ds_store_b128 v186, v[24:27]
	s_wait_loadcnt 0x0
	ds_store_b128 v187, v[43:46]
	v_add_co_u32 v24, vcc_lo, s4, v74
	s_wait_alu 0xfffd
	v_add_co_ci_u32_e64 v25, null, s5, v75, vcc_lo
	s_delay_alu instid0(VALU_DEP_2) | instskip(SKIP_1) | instid1(VALU_DEP_2)
	v_add_co_u32 v24, vcc_lo, v24, v180
	s_wait_alu 0xfffd
	v_add_co_ci_u32_e64 v25, null, 0, v25, vcc_lo
	v_add_co_u32 v26, vcc_lo, s4, v76
	s_wait_alu 0xfffd
	v_add_co_ci_u32_e64 v27, null, s5, v77, vcc_lo
	s_delay_alu instid0(VALU_DEP_2) | instskip(SKIP_1) | instid1(VALU_DEP_2)
	;; [unrolled: 21-line block ×3, first 2 shown]
	v_add_co_u32 v43, vcc_lo, v26, v180
	s_wait_alu 0xfffd
	v_add_co_ci_u32_e64 v44, null, 0, v27, vcc_lo
	s_clause 0x1
	global_load_b128 v[24:27], v[24:25], off
	global_load_b128 v[43:46], v[43:44], off
	s_wait_loadcnt 0x1
	ds_store_b128 v191, v[24:27]
	s_wait_loadcnt 0x0
	ds_store_b128 v192, v[43:46]
	s_wait_dscnt 0x0
	s_barrier_signal -1
	s_barrier_wait -1
	global_inv scope:SCOPE_SE
	ds_load_2addr_b32 v[24:25], v59 offset0:16 offset1:32
	ds_load_2addr_b32 v[43:44], v59 offset0:84 offset1:100
	ds_load_2addr_b32 v[46:47], v129 offset1:16
	ds_load_2addr_b32 v[50:51], v130 offset1:16
	v_cmp_ngt_f32_e32 vcc_lo, 0xc2ce8ed0, v65
	s_wait_dscnt 0x2
	v_perm_b32 v49, v44, v25, 0x7060302
	v_perm_b32 v53, v44, v25, 0x5040100
	s_wait_dscnt 0x0
	v_perm_b32 v27, v50, v46, 0x7060302
	v_perm_b32 v46, v50, v46, 0x5040100
	;; [unrolled: 1-line block ×4, first 2 shown]
	ds_load_2addr_b32 v[51:52], v128 offset0:136 offset1:152
	ds_load_2addr_b32 v[55:56], v128 offset0:204 offset1:220
	v_perm_b32 v26, v43, v24, 0x7060302
	v_perm_b32 v45, v43, v24, 0x5040100
	s_wait_dscnt 0x0
	v_perm_b32 v25, v55, v51, 0x7060302
	v_perm_b32 v44, v55, v51, 0x5040100
	;; [unrolled: 1-line block ×4, first 2 shown]
	ds_load_2addr_b32 v[55:56], v128 offset1:16
	ds_load_2addr_b32 v[57:58], v128 offset0:68 offset1:84
	s_wait_dscnt 0x0
	v_perm_b32 v24, v57, v55, 0x7060302
	v_perm_b32 v43, v57, v55, 0x5040100
	;; [unrolled: 1-line block ×4, first 2 shown]
	ds_load_2addr_b32 v[55:56], v59 offset0:48 offset1:64
	ds_load_2addr_b32 v[59:60], v59 offset0:116 offset1:132
	;; [unrolled: 1-line block ×6, first 2 shown]
	s_wait_dscnt 0x4
	v_perm_b32 v103, v60, v56, 0x7060302
	v_perm_b32 v111, v60, v56, 0x5040100
	s_wait_dscnt 0x2
	v_perm_b32 v104, v102, v63, 0x7060302
	v_perm_b32 v112, v102, v63, 0x5040100
	s_wait_dscnt 0x0
	v_perm_b32 v56, v109, v105, 0x7060302
	v_perm_b32 v60, v109, v105, 0x5040100
	v_perm_b32 v102, v110, v106, 0x7060302
	v_perm_b32 v110, v110, v106, 0x5040100
	ds_load_2addr_b32 v[105:106], v128 offset0:32 offset1:48
	ds_load_2addr_b32 v[113:114], v128 offset0:100 offset1:116
	v_sub_f32_e32 v63, v64, v37
	v_perm_b32 v57, v59, v55, 0x7060302
	v_perm_b32 v58, v101, v62, 0x7060302
	;; [unrolled: 1-line block ×4, first 2 shown]
	v_mul_f32_e32 v64, 0x3fb8aa3b, v63
	s_wait_loadcnt_dscnt 0x0
	s_barrier_signal -1
	s_barrier_wait -1
	global_inv scope:SCOPE_SE
	v_perm_b32 v55, v113, v105, 0x7060302
	v_perm_b32 v59, v113, v105, 0x5040100
	;; [unrolled: 1-line block ×4, first 2 shown]
	v_fma_f32 v105, 0x3fb8aa3b, v63, -v64
	v_rndne_f32_e32 v106, v64
	s_delay_alu instid0(VALU_DEP_1) | instskip(SKIP_1) | instid1(VALU_DEP_2)
	v_dual_fmac_f32 v105, 0x32a5705f, v63 :: v_dual_sub_f32 v64, v64, v106
	v_cvt_i32_f32_e32 v106, v106
	v_add_f32_e32 v64, v64, v105
	v_mul_f32_e32 v105, 0x3fb8aa3b, v65
	s_delay_alu instid0(VALU_DEP_1) | instskip(SKIP_1) | instid1(VALU_DEP_2)
	v_fma_f32 v113, 0x3fb8aa3b, v65, -v105
	v_rndne_f32_e32 v114, v105
	v_fmac_f32_e32 v113, 0x32a5705f, v65
	s_delay_alu instid0(VALU_DEP_2) | instskip(NEXT) | instid1(VALU_DEP_1)
	v_sub_f32_e32 v105, v105, v114
	v_add_f32_e32 v105, v105, v113
	v_mul_f32_e32 v113, 0x3fb8aa3b, v100
	v_exp_f32_e32 v64, v64
	s_delay_alu instid0(VALU_DEP_2) | instskip(NEXT) | instid1(VALU_DEP_1)
	v_exp_f32_e32 v105, v105
	v_fma_f32 v115, 0x3fb8aa3b, v100, -v113
	v_rndne_f32_e32 v116, v113
	s_delay_alu instid0(VALU_DEP_2) | instskip(NEXT) | instid1(VALU_DEP_2)
	v_fmac_f32_e32 v115, 0x32a5705f, v100
	v_sub_f32_e32 v113, v113, v116
	s_delay_alu instid0(TRANS32_DEP_2) | instskip(SKIP_1) | instid1(VALU_DEP_3)
	v_ldexp_f32 v64, v64, v106
	v_cvt_i32_f32_e32 v106, v114
	v_add_f32_e32 v113, v113, v115
	v_mul_f32_e32 v115, 0x3fb8aa3b, v42
	s_delay_alu instid0(TRANS32_DEP_1) | instid1(VALU_DEP_3)
	v_ldexp_f32 v105, v105, v106
	s_delay_alu instid0(VALU_DEP_3) | instskip(NEXT) | instid1(VALU_DEP_2)
	v_exp_f32_e32 v106, v113
	v_fma_f32 v118, 0x3fb8aa3b, v42, -v115
	v_rndne_f32_e32 v119, v115
	v_cvt_i32_f32_e32 v113, v116
	s_wait_alu 0xfffd
	v_cndmask_b32_e32 v105, 0, v105, vcc_lo
	v_cmp_nlt_f32_e32 vcc_lo, 0x42b17218, v65
	v_dual_sub_f32 v115, v115, v119 :: v_dual_fmac_f32 v118, 0x32a5705f, v42
	v_cvt_i32_f32_e32 v114, v119
	s_delay_alu instid0(TRANS32_DEP_1)
	v_ldexp_f32 v106, v106, v113
	v_cmp_ngt_f32_e64 s4, 0xc2ce8ed0, v42
	v_cmp_ngt_f32_e64 s5, 0xc2ce8ed0, v63
	v_add_f32_e32 v115, v115, v118
	s_wait_alu 0xf1ff
	v_cndmask_b32_e64 v65, 0, v106, s3
	v_cmp_nlt_f32_e64 s3, 0x42b17218, v100
	s_delay_alu instid0(VALU_DEP_3) | instskip(NEXT) | instid1(TRANS32_DEP_1)
	v_exp_f32_e32 v113, v115
	v_ldexp_f32 v113, v113, v114
	s_delay_alu instid0(VALU_DEP_1)
	v_cndmask_b32_e64 v100, 0, v113, s4
	v_cmp_nlt_f32_e64 s4, 0x42b17218, v42
	v_cndmask_b32_e64 v42, 0, v64, s5
	v_cmp_nlt_f32_e64 s5, 0x42b17218, v63
	s_wait_alu 0xf1ff
	v_cndmask_b32_e64 v63, 0x7f800000, v65, s3
	s_wait_alu 0xfffd
	v_cndmask_b32_e32 v65, 0x7f800000, v105, vcc_lo
	v_cndmask_b32_e64 v64, 0x7f800000, v100, s4
	v_cmp_ngt_f32_e32 vcc_lo, 0xc2ce8ed0, v41
	v_cndmask_b32_e64 v42, 0x7f800000, v42, s5
	v_cvt_f16_f32_e32 v105, v63
	v_cvt_f16_f32_e32 v113, v65
	;; [unrolled: 1-line block ×3, first 2 shown]
	v_cmp_ngt_f32_e64 s3, 0xc2ce8ed0, v40
	v_cvt_f16_f32_e32 v100, v42
	s_delay_alu instid0(VALU_DEP_3) | instskip(NEXT) | instid1(VALU_DEP_2)
	v_perm_b32 v116, v106, v105, 0x5040100
	v_perm_b32 v115, v113, v100, 0x5040100
	v_mul_f32_e32 v100, 0x3fb8aa3b, v41
	s_delay_alu instid0(VALU_DEP_1) | instskip(SKIP_1) | instid1(VALU_DEP_1)
	v_fma_f32 v105, 0x3fb8aa3b, v41, -v100
	v_rndne_f32_e32 v106, v100
	v_dual_fmac_f32 v105, 0x32a5705f, v41 :: v_dual_sub_f32 v100, v100, v106
	v_cvt_i32_f32_e32 v106, v106
	s_delay_alu instid0(VALU_DEP_2) | instskip(NEXT) | instid1(VALU_DEP_1)
	v_dual_add_f32 v100, v100, v105 :: v_dual_mul_f32 v105, 0x3fb8aa3b, v40
	v_exp_f32_e32 v100, v100
	s_delay_alu instid0(VALU_DEP_1) | instskip(SKIP_1) | instid1(VALU_DEP_2)
	v_fma_f32 v113, 0x3fb8aa3b, v40, -v105
	v_rndne_f32_e32 v114, v105
	v_fmac_f32_e32 v113, 0x32a5705f, v40
	s_delay_alu instid0(VALU_DEP_2) | instskip(NEXT) | instid1(TRANS32_DEP_1)
	v_sub_f32_e32 v105, v105, v114
	v_ldexp_f32 v100, v100, v106
	v_cvt_i32_f32_e32 v106, v114
	s_wait_alu 0xfffd
	s_delay_alu instid0(VALU_DEP_2) | instskip(SKIP_1) | instid1(VALU_DEP_2)
	v_dual_add_f32 v105, v105, v113 :: v_dual_cndmask_b32 v100, 0, v100
	v_cmp_nlt_f32_e32 vcc_lo, 0x42b17218, v41
	v_exp_f32_e32 v105, v105
	s_delay_alu instid0(TRANS32_DEP_1) | instskip(SKIP_1) | instid1(VALU_DEP_1)
	v_ldexp_f32 v105, v105, v106
	s_wait_alu 0xf1ff
	v_cndmask_b32_e64 v41, 0, v105, s3
	v_cmp_nlt_f32_e64 s3, 0x42b17218, v40
	s_wait_alu 0xf1ff
	s_delay_alu instid0(VALU_DEP_1)
	v_cndmask_b32_e64 v40, 0x7f800000, v41, s3
	s_wait_alu 0xfffd
	v_cndmask_b32_e32 v41, 0x7f800000, v100, vcc_lo
	v_cmp_ngt_f32_e32 vcc_lo, 0xc2ce8ed0, v39
	v_cmp_ngt_f32_e64 s3, 0xc2ce8ed0, v38
	v_cvt_f16_f32_e32 v100, v40
	s_delay_alu instid0(VALU_DEP_4) | instskip(NEXT) | instid1(VALU_DEP_1)
	v_cvt_f16_f32_e32 v105, v41
	v_perm_b32 v114, v105, v100, 0x5040100
	v_mul_f32_e32 v100, 0x3fb8aa3b, v39
	s_delay_alu instid0(VALU_DEP_1) | instskip(SKIP_1) | instid1(VALU_DEP_1)
	v_fma_f32 v105, 0x3fb8aa3b, v39, -v100
	v_rndne_f32_e32 v106, v100
	v_dual_fmac_f32 v105, 0x32a5705f, v39 :: v_dual_sub_f32 v100, v100, v106
	v_cvt_i32_f32_e32 v106, v106
	s_delay_alu instid0(VALU_DEP_2) | instskip(NEXT) | instid1(VALU_DEP_1)
	v_dual_add_f32 v100, v100, v105 :: v_dual_mul_f32 v105, 0x3fb8aa3b, v38
	v_exp_f32_e32 v100, v100
	s_delay_alu instid0(VALU_DEP_1) | instskip(SKIP_1) | instid1(VALU_DEP_2)
	v_fma_f32 v113, 0x3fb8aa3b, v38, -v105
	v_rndne_f32_e32 v118, v105
	v_fmac_f32_e32 v113, 0x32a5705f, v38
	s_delay_alu instid0(VALU_DEP_2) | instskip(NEXT) | instid1(TRANS32_DEP_1)
	v_sub_f32_e32 v105, v105, v118
	v_ldexp_f32 v100, v100, v106
	v_cvt_i32_f32_e32 v106, v118
	s_wait_alu 0xfffd
	s_delay_alu instid0(VALU_DEP_2) | instskip(SKIP_1) | instid1(VALU_DEP_2)
	v_dual_add_f32 v105, v105, v113 :: v_dual_cndmask_b32 v100, 0, v100
	v_cmp_nlt_f32_e32 vcc_lo, 0x42b17218, v39
	v_exp_f32_e32 v105, v105
	s_delay_alu instid0(TRANS32_DEP_1) | instskip(SKIP_1) | instid1(VALU_DEP_1)
	v_ldexp_f32 v105, v105, v106
	s_wait_alu 0xf1ff
	v_cndmask_b32_e64 v39, 0, v105, s3
	v_cmp_nlt_f32_e64 s3, 0x42b17218, v38
	s_wait_alu 0xf1ff
	s_delay_alu instid0(VALU_DEP_1)
	v_cndmask_b32_e64 v38, 0x7f800000, v39, s3
	s_wait_alu 0xfffd
	v_cndmask_b32_e32 v39, 0x7f800000, v100, vcc_lo
	s_cselect_b32 s3, -1, 0
	s_xor_b32 s4, s0, -1
	v_cvt_f16_f32_e32 v100, v38
	s_delay_alu instid0(VALU_DEP_2) | instskip(SKIP_2) | instid1(VALU_DEP_1)
	v_cvt_f16_f32_e32 v105, v39
	s_wait_alu 0xfffe
	s_or_b32 s3, s4, s3
	v_perm_b32 v113, v105, v100, 0x5040100
	s_delay_alu instid0(VALU_DEP_1)
	v_wmma_f16_16x16x16_f16 v[32:35], v[24:27], v[113:116], v[32:35]
	v_add_f32_e32 v24, v38, v39
	v_wmma_f16_16x16x16_f16 v[28:31], v[43:46], v[113:116], v[28:31]
	v_wmma_f16_16x16x16_f16 v[20:23], v[51:54], v[113:116], v[20:23]
	v_wmma_f16_16x16x16_f16 v[16:19], v[47:50], v[113:116], v[16:19]
	v_wmma_f16_16x16x16_f16 v[12:15], v[59:62], v[113:116], v[12:15]
	v_add_f32_e32 v24, v40, v24
	v_wmma_f16_16x16x16_f16 v[8:11], v[55:58], v[113:116], v[8:11]
	v_wmma_f16_16x16x16_f16 v[4:7], v[109:112], v[113:116], v[4:7]
	;; [unrolled: 1-line block ×3, first 2 shown]
	s_delay_alu instid0(VALU_DEP_4) | instskip(NEXT) | instid1(VALU_DEP_1)
	v_add_f32_e32 v24, v41, v24
	v_add_f32_e32 v24, v42, v24
	s_delay_alu instid0(VALU_DEP_1) | instskip(NEXT) | instid1(VALU_DEP_1)
	v_add_f32_e32 v24, v65, v24
	v_add_f32_e32 v24, v63, v24
	s_delay_alu instid0(VALU_DEP_1) | instskip(NEXT) | instid1(VALU_DEP_1)
	v_add_f32_e32 v24, v64, v24
	v_fmac_f32_e32 v24, v252, v117
	ds_bpermute_b32 v25, v36, v24
	s_wait_alu 0xfffe
	s_and_saveexec_b32 s4, s3
	s_wait_alu 0xfffe
	s_xor_b32 s3, exec_lo, s4
	s_wait_alu 0xfffe
	s_or_saveexec_b32 s3, s3
	s_wait_dscnt 0x0
	v_add_f32_e32 v24, v24, v25
	s_wait_alu 0xfffe
	s_xor_b32 exec_lo, exec_lo, s3
	s_cbranch_execz .LBB24_184
; %bb.183:                              ;   in Loop: Header=BB24_12 Depth=1
	v_dual_max_num_f32 v26, v37, v37 :: v_dual_lshlrev_b32 v25, 2, v131
	global_load_b32 v25, v25, s[74:75]
	s_wait_loadcnt 0x0
	v_max_num_f32_e32 v27, v25, v25
	s_delay_alu instid0(VALU_DEP_1) | instskip(NEXT) | instid1(VALU_DEP_1)
	v_max_num_f32_e32 v26, v26, v27
	v_sub_f32_e32 v27, v37, v26
	s_delay_alu instid0(VALU_DEP_1) | instskip(NEXT) | instid1(VALU_DEP_1)
	v_mul_f32_e32 v37, 0x3fb8aa3b, v27
	v_fma_f32 v38, 0x3fb8aa3b, v27, -v37
	v_rndne_f32_e32 v39, v37
	s_delay_alu instid0(VALU_DEP_2) | instskip(NEXT) | instid1(VALU_DEP_2)
	v_fmac_f32_e32 v38, 0x32a5705f, v27
	v_sub_f32_e32 v37, v37, v39
	v_cvt_i32_f32_e32 v39, v39
	s_delay_alu instid0(VALU_DEP_2) | instskip(SKIP_1) | instid1(VALU_DEP_2)
	v_add_f32_e32 v37, v37, v38
	v_sub_f32_e32 v25, v25, v26
	v_exp_f32_e32 v37, v37
	s_delay_alu instid0(VALU_DEP_1) | instskip(SKIP_1) | instid1(VALU_DEP_2)
	v_mul_f32_e32 v38, 0x3fb8aa3b, v25
	v_cmp_ngt_f32_e32 vcc_lo, 0xc2ce8ed0, v27
	v_fma_f32 v40, 0x3fb8aa3b, v25, -v38
	v_rndne_f32_e32 v41, v38
	s_delay_alu instid0(TRANS32_DEP_1) | instskip(NEXT) | instid1(VALU_DEP_3)
	v_ldexp_f32 v37, v37, v39
	v_fmac_f32_e32 v40, 0x32a5705f, v25
	s_delay_alu instid0(VALU_DEP_3)
	v_sub_f32_e32 v38, v38, v41
	v_cvt_i32_f32_e32 v39, v41
	s_wait_alu 0xfffd
	v_cndmask_b32_e32 v37, 0, v37, vcc_lo
	v_cmp_nlt_f32_e32 vcc_lo, 0x42b17218, v27
	s_wait_alu 0xfffd
	s_delay_alu instid0(VALU_DEP_2) | instskip(NEXT) | instid1(VALU_DEP_1)
	v_dual_add_f32 v38, v38, v40 :: v_dual_cndmask_b32 v37, 0x7f800000, v37
	v_exp_f32_e32 v38, v38
	v_cmp_le_f32_e32 vcc_lo, 0xc1a00000, v27
	s_wait_alu 0xfffd
	s_delay_alu instid0(VALU_DEP_2) | instskip(SKIP_1) | instid1(TRANS32_DEP_1)
	v_cndmask_b32_e32 v27, 0, v37, vcc_lo
	v_cmp_ngt_f32_e32 vcc_lo, 0xc2ce8ed0, v25
	v_ldexp_f32 v37, v38, v39
	s_delay_alu instid0(VALU_DEP_3) | instskip(SKIP_1) | instid1(VALU_DEP_2)
	v_cvt_f16_f32_e32 v38, v27
	s_wait_alu 0xfffd
	v_cndmask_b32_e32 v37, 0, v37, vcc_lo
	v_cmp_nlt_f32_e32 vcc_lo, 0x42b17218, v25
	s_delay_alu instid0(VALU_DEP_3) | instskip(SKIP_1) | instid1(VALU_DEP_3)
	v_and_b32_e32 v38, 0xffff, v38
	s_wait_alu 0xfffd
	v_cndmask_b32_e32 v25, 0x7f800000, v37, vcc_lo
	s_delay_alu instid0(VALU_DEP_2) | instskip(SKIP_1) | instid1(VALU_DEP_3)
	v_mul_u32_u24_e32 v38, 0x10001, v38
	v_mov_b32_e32 v37, v26
	v_fmac_f32_e32 v25, v24, v27
	s_delay_alu instid0(VALU_DEP_3)
	v_pk_mul_f16 v28, v28, v38
	v_pk_mul_f16 v29, v29, v38
	;; [unrolled: 1-line block ×32, first 2 shown]
	v_mov_b32_e32 v24, v25
.LBB24_184:                             ;   in Loop: Header=BB24_12 Depth=1
	s_or_b32 exec_lo, exec_lo, s3
	s_and_saveexec_b32 s3, s2
; %bb.185:                              ;   in Loop: Header=BB24_12 Depth=1
	v_add_nc_u32_e32 v25, 0, v132
	ds_store_2addr_b32 v25, v37, v24 offset0:64 offset1:65
; %bb.186:                              ;   in Loop: Header=BB24_12 Depth=1
	s_wait_alu 0xfffe
	s_or_b32 exec_lo, exec_lo, s3
	s_wait_loadcnt_dscnt 0x0
	s_barrier_signal -1
	s_barrier_wait -1
	global_inv scope:SCOPE_SE
	s_and_saveexec_b32 s3, s1
	s_wait_alu 0xfffe
	s_xor_b32 s3, exec_lo, s3
	s_cbranch_execz .LBB24_188
; %bb.187:                              ;   in Loop: Header=BB24_12 Depth=1
	s_wait_loadcnt 0x0
	s_barrier_signal -1
	s_barrier_wait -1
	global_inv scope:SCOPE_SE
                                        ; implicit-def: $vgpr36
.LBB24_188:                             ;   in Loop: Header=BB24_12 Depth=1
	s_wait_alu 0xfffe
	s_and_not1_saveexec_b32 s3, s3
	s_cbranch_execz .LBB24_190
; %bb.189:                              ;   in Loop: Header=BB24_12 Depth=1
	v_add_nc_u32_e32 v37, 0, v133
	ds_load_b64 v[24:25], v37 offset:256
	s_wait_loadcnt_dscnt 0x0
	s_barrier_signal -1
	s_barrier_wait -1
	global_inv scope:SCOPE_SE
	ds_bpermute_b32 v26, v36, v24
	s_wait_dscnt 0x0
	v_dual_max_num_f32 v27, v24, v24 :: v_dual_max_num_f32 v26, v26, v26
	s_delay_alu instid0(VALU_DEP_1) | instskip(NEXT) | instid1(VALU_DEP_1)
	v_max_num_f32_e32 v26, v27, v26
	v_sub_f32_e32 v24, v24, v26
	s_delay_alu instid0(VALU_DEP_1) | instskip(SKIP_1) | instid1(VALU_DEP_2)
	v_mul_f32_e32 v26, 0x3fb8aa3b, v24
	v_cmp_ngt_f32_e32 vcc_lo, 0xc2ce8ed0, v24
	v_fma_f32 v27, 0x3fb8aa3b, v24, -v26
	v_rndne_f32_e32 v38, v26
	s_delay_alu instid0(VALU_DEP_1) | instskip(NEXT) | instid1(VALU_DEP_1)
	v_dual_fmac_f32 v27, 0x32a5705f, v24 :: v_dual_sub_f32 v26, v26, v38
	v_add_f32_e32 v26, v26, v27
	v_cvt_i32_f32_e32 v27, v38
	s_delay_alu instid0(VALU_DEP_2) | instskip(NEXT) | instid1(TRANS32_DEP_1)
	v_exp_f32_e32 v26, v26
	v_ldexp_f32 v26, v26, v27
	s_wait_alu 0xfffd
	s_delay_alu instid0(VALU_DEP_1) | instskip(SKIP_2) | instid1(VALU_DEP_2)
	v_cndmask_b32_e32 v26, 0, v26, vcc_lo
	v_cmp_nlt_f32_e32 vcc_lo, 0x42b17218, v24
	s_wait_alu 0xfffd
	v_cndmask_b32_e32 v26, 0x7f800000, v26, vcc_lo
	s_delay_alu instid0(VALU_DEP_1)
	v_mul_f32_e32 v24, v25, v26
	ds_bpermute_b32 v27, v36, v24
	s_wait_dscnt 0x0
	v_fmac_f32_e32 v27, v25, v26
	ds_store_b64 v37, v[26:27] offset:256
.LBB24_190:                             ;   in Loop: Header=BB24_12 Depth=1
	s_wait_alu 0xfffe
	s_or_b32 exec_lo, exec_lo, s3
	v_perm_b32 v24, v32, v28, 0x5040100
	v_perm_b32 v25, v32, v28, 0x7060302
	v_add_nc_u32_e32 v32, v134, v138
	v_perm_b32 v26, v33, v29, 0x5040100
	v_perm_b32 v27, v33, v29, 0x7060302
	;; [unrolled: 1-line block ×14, first 2 shown]
	ds_store_2addr_b32 v32, v24, v25 offset1:1
	ds_store_2addr_b32 v32, v26, v27 offset0:2 offset1:3
	ds_store_2addr_b32 v32, v28, v29 offset0:4 offset1:5
	;; [unrolled: 1-line block ×7, first 2 shown]
	v_perm_b32 v16, v8, v12, 0x5040100
	v_perm_b32 v8, v8, v12, 0x7060302
	;; [unrolled: 1-line block ×16, first 2 shown]
	ds_store_2addr_b32 v32, v16, v8 offset0:32 offset1:33
	ds_store_2addr_b32 v32, v12, v9 offset0:34 offset1:35
	;; [unrolled: 1-line block ×8, first 2 shown]
	s_wait_loadcnt_dscnt 0x0
	s_barrier_signal -1
	s_barrier_wait -1
	global_inv scope:SCOPE_SE
	s_and_saveexec_b32 s34, s0
	s_cbranch_execz .LBB24_10
; %bb.191:                              ;   in Loop: Header=BB24_12 Depth=1
	v_add_nc_u32_e32 v0, s94, v208
	v_or_b32_e32 v1, s41, v108
	s_delay_alu instid0(VALU_DEP_1) | instskip(SKIP_1) | instid1(VALU_DEP_4)
	v_cmp_gt_i32_e64 s3, s33, v1
	v_mov_b32_e32 v1, 0x47
	v_cmp_gt_i32_e32 vcc_lo, s24, v0
	s_and_b32 s4, vcc_lo, s3
	s_wait_alu 0xfffe
	s_and_saveexec_b32 s42, s4
	s_cbranch_execz .LBB24_193
; %bb.192:                              ;   in Loop: Header=BB24_12 Depth=1
	v_add_nc_u32_e32 v5, 0x1000, v163
	ds_load_2addr_b32 v[1:2], v163 offset1:32
	ds_load_2addr_b32 v[3:4], v139 offset0:64 offset1:65
	ds_load_b32 v7, v139 offset:4608
	ds_load_2addr_b32 v[5:6], v5 offset0:64 offset1:96
	s_wait_dscnt 0x2
	v_fma_mix_f32 v8, v3, v1, 0 op_sel_hi:[0,1,0]
	v_fma_mix_f32 v1, v3, v1, 0 op_sel:[0,1,0] op_sel_hi:[0,1,0]
	v_fma_mix_f32 v9, v3, v2, 0 op_sel_hi:[0,1,0]
	v_fma_mix_f32 v2, v3, v2, 0 op_sel:[0,1,0] op_sel_hi:[0,1,0]
	s_wait_dscnt 0x0
	v_fma_mix_f32 v3, v7, v5, v8 op_sel_hi:[0,1,0]
	v_fma_mix_f32 v5, v7, v5, v1 op_sel:[0,1,0] op_sel_hi:[0,1,0]
	v_fma_mix_f32 v8, v7, v6, v9 op_sel_hi:[0,1,0]
	v_fma_mix_f32 v9, v7, v6, v2 op_sel:[0,1,0] op_sel_hi:[0,1,0]
	v_mad_co_u64_u32 v[0:1], null, v0, s25, v[108:109]
	v_div_scale_f32 v2, null, v4, v4, v3
	v_div_scale_f32 v6, null, v4, v4, v5
	;; [unrolled: 1-line block ×4, first 2 shown]
	s_delay_alu instid0(VALU_DEP_4) | instskip(NEXT) | instid1(VALU_DEP_3)
	v_rcp_f32_e32 v11, v2
	v_rcp_f32_e32 v12, v6
	s_delay_alu instid0(VALU_DEP_2) | instskip(NEXT) | instid1(VALU_DEP_1)
	v_rcp_f32_e32 v13, v7
	v_rcp_f32_e32 v14, v10
	v_div_scale_f32 v15, vcc_lo, v3, v4, v3
	v_div_scale_f32 v16, s4, v5, v4, v5
	v_div_scale_f32 v17, s5, v8, v4, v8
	v_fma_f32 v1, -v2, v11, 1.0
	s_delay_alu instid0(TRANS32_DEP_3) | instskip(NEXT) | instid1(TRANS32_DEP_2)
	v_fma_f32 v18, -v6, v12, 1.0
	v_fma_f32 v19, -v7, v13, 1.0
	s_delay_alu instid0(TRANS32_DEP_1) | instskip(SKIP_1) | instid1(VALU_DEP_4)
	v_fma_f32 v20, -v10, v14, 1.0
	v_div_scale_f32 v21, s6, v9, v4, v9
	v_dual_fmac_f32 v11, v1, v11 :: v_dual_fmac_f32 v12, v18, v12
	s_delay_alu instid0(VALU_DEP_3) | instskip(SKIP_1) | instid1(VALU_DEP_3)
	v_dual_fmac_f32 v14, v20, v14 :: v_dual_fmac_f32 v13, v19, v13
	v_lshl_add_u32 v0, v0, 6, v96
	v_dual_mul_f32 v18, v15, v11 :: v_dual_mul_f32 v19, v16, v12
	s_delay_alu instid0(VALU_DEP_3) | instskip(NEXT) | instid1(VALU_DEP_3)
	v_mul_f32_e32 v22, v21, v14
	v_ashrrev_i32_e32 v1, 31, v0
	s_delay_alu instid0(VALU_DEP_3) | instskip(NEXT) | instid1(VALU_DEP_4)
	v_fma_f32 v23, -v2, v18, v15
	v_fma_f32 v24, -v6, v19, v16
	v_mul_f32_e32 v20, v17, v13
	v_fma_f32 v26, -v10, v22, v21
	v_lshlrev_b64_e32 v[0:1], 3, v[0:1]
	s_delay_alu instid0(VALU_DEP_4) | instskip(NEXT) | instid1(VALU_DEP_4)
	v_dual_fmac_f32 v18, v23, v11 :: v_dual_fmac_f32 v19, v24, v12
	v_fma_f32 v25, -v7, v20, v17
	s_delay_alu instid0(VALU_DEP_4) | instskip(NEXT) | instid1(VALU_DEP_3)
	v_fmac_f32_e32 v22, v26, v14
	v_fma_f32 v2, -v2, v18, v15
	s_delay_alu instid0(VALU_DEP_4) | instskip(NEXT) | instid1(VALU_DEP_4)
	v_fma_f32 v6, -v6, v19, v16
	v_fmac_f32_e32 v20, v25, v13
	s_delay_alu instid0(VALU_DEP_4)
	v_fma_f32 v10, -v10, v22, v21
	s_wait_alu 0xfffd
	v_div_fmas_f32 v2, v2, v11, v18
	s_mov_b32 vcc_lo, s4
	v_fma_f32 v7, -v7, v20, v17
	s_wait_alu 0xfffe
	v_div_fmas_f32 v6, v6, v12, v19
	s_mov_b32 vcc_lo, s5
	v_div_fixup_f32 v2, v2, v4, v3
	s_wait_alu 0xfffe
	v_div_fmas_f32 v7, v7, v13, v20
	s_mov_b32 vcc_lo, s6
	v_div_fixup_f32 v3, v6, v4, v5
	s_wait_alu 0xfffe
	v_div_fmas_f32 v10, v10, v14, v22
	v_add_co_u32 v5, vcc_lo, s72, v0
	s_wait_alu 0xfffd
	v_add_co_ci_u32_e64 v6, null, s73, v1, vcc_lo
	v_mov_b32_e32 v1, 0
	v_div_fixup_f32 v7, v7, v4, v8
	v_div_fixup_f32 v8, v10, v4, v9
	s_clause 0x1
	global_store_b64 v[5:6], v[2:3], off
	global_store_b64 v[5:6], v[7:8], off offset:256
.LBB24_193:                             ;   in Loop: Header=BB24_12 Depth=1
	s_wait_alu 0xfffe
	s_or_b32 exec_lo, exec_lo, s42
	s_mov_b32 s4, -1
	s_mov_b32 s5, exec_lo
	v_cmpx_gt_i32_e32 0x47, v1
; %bb.194:                              ;   in Loop: Header=BB24_12 Depth=1
	v_cmp_eq_u32_e32 vcc_lo, 0, v1
	s_or_not1_b32 s4, vcc_lo, exec_lo
; %bb.195:                              ;   in Loop: Header=BB24_12 Depth=1
	s_wait_alu 0xfffe
	s_or_b32 exec_lo, exec_lo, s5
	s_delay_alu instid0(SALU_CYCLE_1)
	s_and_b32 exec_lo, exec_lo, s4
	s_cbranch_execz .LBB24_10
; %bb.196:                              ;   in Loop: Header=BB24_12 Depth=1
	v_add_nc_u32_e32 v0, s94, v209
	v_or_b32_e32 v1, s41, v99
	s_delay_alu instid0(VALU_DEP_1) | instskip(SKIP_1) | instid1(VALU_DEP_4)
	v_cmp_gt_i32_e64 s4, s33, v1
	v_mov_b32_e32 v1, 0x47
	v_cmp_gt_i32_e32 vcc_lo, s24, v0
	s_and_b32 s4, vcc_lo, s4
	s_wait_alu 0xfffe
	s_and_saveexec_b32 s42, s4
	s_cbranch_execz .LBB24_198
; %bb.197:                              ;   in Loop: Header=BB24_12 Depth=1
	scratch_load_b32 v6, off, off offset:108 ; 4-byte Folded Reload
	v_add_nc_u32_e32 v5, 0x1000, v164
	ds_load_2addr_b32 v[1:2], v164 offset1:32
	s_wait_loadcnt 0x0
	ds_load_2addr_b32 v[3:4], v6 offset0:64 offset1:65
	ds_load_b32 v7, v6 offset:4608
	ds_load_2addr_b32 v[5:6], v5 offset0:64 offset1:96
	s_wait_dscnt 0x2
	v_fma_mix_f32 v8, v3, v1, 0 op_sel_hi:[0,1,0]
	v_fma_mix_f32 v1, v3, v1, 0 op_sel:[0,1,0] op_sel_hi:[0,1,0]
	v_fma_mix_f32 v9, v3, v2, 0 op_sel_hi:[0,1,0]
	v_fma_mix_f32 v2, v3, v2, 0 op_sel:[0,1,0] op_sel_hi:[0,1,0]
	s_wait_dscnt 0x0
	v_fma_mix_f32 v3, v7, v5, v8 op_sel_hi:[0,1,0]
	v_fma_mix_f32 v5, v7, v5, v1 op_sel:[0,1,0] op_sel_hi:[0,1,0]
	v_fma_mix_f32 v8, v7, v6, v9 op_sel_hi:[0,1,0]
	v_fma_mix_f32 v9, v7, v6, v2 op_sel:[0,1,0] op_sel_hi:[0,1,0]
	v_mad_co_u64_u32 v[0:1], null, v0, s25, v[99:100]
	v_div_scale_f32 v2, null, v4, v4, v3
	v_div_scale_f32 v6, null, v4, v4, v5
	;; [unrolled: 1-line block ×4, first 2 shown]
	s_delay_alu instid0(VALU_DEP_4) | instskip(NEXT) | instid1(VALU_DEP_3)
	v_rcp_f32_e32 v11, v2
	v_rcp_f32_e32 v12, v6
	s_delay_alu instid0(VALU_DEP_2) | instskip(NEXT) | instid1(VALU_DEP_1)
	v_rcp_f32_e32 v13, v7
	v_rcp_f32_e32 v14, v10
	v_div_scale_f32 v15, vcc_lo, v3, v4, v3
	v_div_scale_f32 v16, s4, v5, v4, v5
	v_div_scale_f32 v17, s5, v8, v4, v8
	v_fma_f32 v1, -v2, v11, 1.0
	s_delay_alu instid0(TRANS32_DEP_3) | instskip(NEXT) | instid1(TRANS32_DEP_2)
	v_fma_f32 v18, -v6, v12, 1.0
	v_fma_f32 v19, -v7, v13, 1.0
	s_delay_alu instid0(TRANS32_DEP_1) | instskip(SKIP_1) | instid1(VALU_DEP_4)
	v_fma_f32 v20, -v10, v14, 1.0
	v_div_scale_f32 v21, s6, v9, v4, v9
	v_dual_fmac_f32 v11, v1, v11 :: v_dual_fmac_f32 v12, v18, v12
	s_delay_alu instid0(VALU_DEP_3) | instskip(SKIP_1) | instid1(VALU_DEP_3)
	v_dual_fmac_f32 v14, v20, v14 :: v_dual_fmac_f32 v13, v19, v13
	v_lshl_add_u32 v0, v0, 6, v96
	v_dual_mul_f32 v18, v15, v11 :: v_dual_mul_f32 v19, v16, v12
	s_delay_alu instid0(VALU_DEP_3) | instskip(NEXT) | instid1(VALU_DEP_3)
	v_mul_f32_e32 v22, v21, v14
	v_ashrrev_i32_e32 v1, 31, v0
	s_delay_alu instid0(VALU_DEP_3) | instskip(NEXT) | instid1(VALU_DEP_4)
	v_fma_f32 v23, -v2, v18, v15
	v_fma_f32 v24, -v6, v19, v16
	v_mul_f32_e32 v20, v17, v13
	v_fma_f32 v26, -v10, v22, v21
	v_lshlrev_b64_e32 v[0:1], 3, v[0:1]
	s_delay_alu instid0(VALU_DEP_4) | instskip(NEXT) | instid1(VALU_DEP_4)
	v_dual_fmac_f32 v18, v23, v11 :: v_dual_fmac_f32 v19, v24, v12
	v_fma_f32 v25, -v7, v20, v17
	s_delay_alu instid0(VALU_DEP_4) | instskip(NEXT) | instid1(VALU_DEP_3)
	v_fmac_f32_e32 v22, v26, v14
	v_fma_f32 v2, -v2, v18, v15
	s_delay_alu instid0(VALU_DEP_4) | instskip(NEXT) | instid1(VALU_DEP_4)
	v_fma_f32 v6, -v6, v19, v16
	v_fmac_f32_e32 v20, v25, v13
	s_delay_alu instid0(VALU_DEP_4)
	v_fma_f32 v10, -v10, v22, v21
	s_wait_alu 0xfffd
	v_div_fmas_f32 v2, v2, v11, v18
	s_mov_b32 vcc_lo, s4
	v_fma_f32 v7, -v7, v20, v17
	s_wait_alu 0xfffe
	v_div_fmas_f32 v6, v6, v12, v19
	s_mov_b32 vcc_lo, s5
	v_div_fixup_f32 v2, v2, v4, v3
	s_wait_alu 0xfffe
	v_div_fmas_f32 v7, v7, v13, v20
	s_mov_b32 vcc_lo, s6
	v_div_fixup_f32 v3, v6, v4, v5
	s_wait_alu 0xfffe
	v_div_fmas_f32 v10, v10, v14, v22
	v_add_co_u32 v5, vcc_lo, s72, v0
	s_wait_alu 0xfffd
	v_add_co_ci_u32_e64 v6, null, s73, v1, vcc_lo
	v_mov_b32_e32 v1, 0
	v_div_fixup_f32 v7, v7, v4, v8
	v_div_fixup_f32 v8, v10, v4, v9
	s_clause 0x1
	global_store_b64 v[5:6], v[2:3], off
	global_store_b64 v[5:6], v[7:8], off offset:256
.LBB24_198:                             ;   in Loop: Header=BB24_12 Depth=1
	s_wait_alu 0xfffe
	s_or_b32 exec_lo, exec_lo, s42
	s_mov_b32 s4, -1
	s_mov_b32 s5, exec_lo
	v_cmpx_gt_i32_e32 0x47, v1
; %bb.199:                              ;   in Loop: Header=BB24_12 Depth=1
	v_cmp_eq_u32_e32 vcc_lo, 0, v1
	s_or_not1_b32 s4, vcc_lo, exec_lo
; %bb.200:                              ;   in Loop: Header=BB24_12 Depth=1
	s_wait_alu 0xfffe
	s_or_b32 exec_lo, exec_lo, s5
	s_delay_alu instid0(SALU_CYCLE_1)
	s_and_b32 exec_lo, exec_lo, s4
	s_cbranch_execz .LBB24_10
; %bb.201:                              ;   in Loop: Header=BB24_12 Depth=1
	scratch_load_b32 v0, off, off offset:112 ; 4-byte Folded Reload
	s_wait_loadcnt 0x0
	v_dual_mov_b32 v1, 0x47 :: v_dual_add_nc_u32 v0, s94, v0
	s_delay_alu instid0(VALU_DEP_1)
	v_cmp_gt_i32_e32 vcc_lo, s24, v0
	s_and_b32 s4, vcc_lo, s3
	s_wait_alu 0xfffe
	s_and_saveexec_b32 s42, s4
	s_cbranch_execz .LBB24_203
; %bb.202:                              ;   in Loop: Header=BB24_12 Depth=1
	s_clause 0x1
	scratch_load_b32 v3, off, off offset:128
	scratch_load_b32 v6, off, off offset:124
	s_wait_loadcnt 0x1
	v_add_nc_u32_e32 v5, 0x1000, v3
	ds_load_2addr_b32 v[1:2], v3 offset1:32
	s_wait_loadcnt 0x0
	ds_load_2addr_b32 v[3:4], v6 offset0:64 offset1:65
	ds_load_b32 v7, v6 offset:4608
	ds_load_2addr_b32 v[5:6], v5 offset0:64 offset1:96
	s_wait_dscnt 0x2
	v_fma_mix_f32 v8, v3, v1, 0 op_sel_hi:[0,1,0]
	v_fma_mix_f32 v1, v3, v1, 0 op_sel:[0,1,0] op_sel_hi:[0,1,0]
	v_fma_mix_f32 v9, v3, v2, 0 op_sel_hi:[0,1,0]
	v_fma_mix_f32 v2, v3, v2, 0 op_sel:[0,1,0] op_sel_hi:[0,1,0]
	s_wait_dscnt 0x0
	v_fma_mix_f32 v3, v7, v5, v8 op_sel_hi:[0,1,0]
	v_fma_mix_f32 v5, v7, v5, v1 op_sel:[0,1,0] op_sel_hi:[0,1,0]
	v_fma_mix_f32 v8, v7, v6, v9 op_sel_hi:[0,1,0]
	v_fma_mix_f32 v9, v7, v6, v2 op_sel:[0,1,0] op_sel_hi:[0,1,0]
	v_mad_co_u64_u32 v[0:1], null, v0, s25, v[108:109]
	v_div_scale_f32 v2, null, v4, v4, v3
	v_div_scale_f32 v6, null, v4, v4, v5
	v_div_scale_f32 v7, null, v4, v4, v8
	v_div_scale_f32 v10, null, v4, v4, v9
	s_delay_alu instid0(VALU_DEP_4) | instskip(NEXT) | instid1(VALU_DEP_3)
	v_rcp_f32_e32 v11, v2
	v_rcp_f32_e32 v12, v6
	s_delay_alu instid0(VALU_DEP_2) | instskip(NEXT) | instid1(VALU_DEP_1)
	v_rcp_f32_e32 v13, v7
	v_rcp_f32_e32 v14, v10
	v_div_scale_f32 v15, vcc_lo, v3, v4, v3
	v_div_scale_f32 v16, s4, v5, v4, v5
	v_div_scale_f32 v17, s5, v8, v4, v8
	v_fma_f32 v1, -v2, v11, 1.0
	s_delay_alu instid0(TRANS32_DEP_3) | instskip(NEXT) | instid1(TRANS32_DEP_2)
	v_fma_f32 v18, -v6, v12, 1.0
	v_fma_f32 v19, -v7, v13, 1.0
	s_delay_alu instid0(TRANS32_DEP_1) | instskip(SKIP_1) | instid1(VALU_DEP_4)
	v_fma_f32 v20, -v10, v14, 1.0
	v_div_scale_f32 v21, s6, v9, v4, v9
	v_dual_fmac_f32 v11, v1, v11 :: v_dual_fmac_f32 v12, v18, v12
	s_delay_alu instid0(VALU_DEP_3) | instskip(SKIP_1) | instid1(VALU_DEP_3)
	v_dual_fmac_f32 v14, v20, v14 :: v_dual_fmac_f32 v13, v19, v13
	v_lshl_add_u32 v0, v0, 6, v96
	v_dual_mul_f32 v18, v15, v11 :: v_dual_mul_f32 v19, v16, v12
	s_delay_alu instid0(VALU_DEP_3) | instskip(NEXT) | instid1(VALU_DEP_3)
	v_mul_f32_e32 v22, v21, v14
	v_ashrrev_i32_e32 v1, 31, v0
	s_delay_alu instid0(VALU_DEP_3) | instskip(NEXT) | instid1(VALU_DEP_4)
	v_fma_f32 v23, -v2, v18, v15
	v_fma_f32 v24, -v6, v19, v16
	v_mul_f32_e32 v20, v17, v13
	v_fma_f32 v26, -v10, v22, v21
	v_lshlrev_b64_e32 v[0:1], 3, v[0:1]
	s_delay_alu instid0(VALU_DEP_4) | instskip(NEXT) | instid1(VALU_DEP_4)
	v_dual_fmac_f32 v18, v23, v11 :: v_dual_fmac_f32 v19, v24, v12
	v_fma_f32 v25, -v7, v20, v17
	s_delay_alu instid0(VALU_DEP_4) | instskip(NEXT) | instid1(VALU_DEP_3)
	v_fmac_f32_e32 v22, v26, v14
	v_fma_f32 v2, -v2, v18, v15
	s_delay_alu instid0(VALU_DEP_4) | instskip(NEXT) | instid1(VALU_DEP_4)
	v_fma_f32 v6, -v6, v19, v16
	v_fmac_f32_e32 v20, v25, v13
	s_delay_alu instid0(VALU_DEP_4)
	v_fma_f32 v10, -v10, v22, v21
	s_wait_alu 0xfffd
	v_div_fmas_f32 v2, v2, v11, v18
	s_mov_b32 vcc_lo, s4
	v_fma_f32 v7, -v7, v20, v17
	s_wait_alu 0xfffe
	v_div_fmas_f32 v6, v6, v12, v19
	s_mov_b32 vcc_lo, s5
	v_div_fixup_f32 v2, v2, v4, v3
	s_wait_alu 0xfffe
	v_div_fmas_f32 v7, v7, v13, v20
	s_mov_b32 vcc_lo, s6
	v_div_fixup_f32 v3, v6, v4, v5
	s_wait_alu 0xfffe
	v_div_fmas_f32 v10, v10, v14, v22
	v_add_co_u32 v5, vcc_lo, s72, v0
	s_wait_alu 0xfffd
	v_add_co_ci_u32_e64 v6, null, s73, v1, vcc_lo
	v_mov_b32_e32 v1, 0
	v_div_fixup_f32 v7, v7, v4, v8
	v_div_fixup_f32 v8, v10, v4, v9
	s_clause 0x1
	global_store_b64 v[5:6], v[2:3], off
	global_store_b64 v[5:6], v[7:8], off offset:256
.LBB24_203:                             ;   in Loop: Header=BB24_12 Depth=1
	s_wait_alu 0xfffe
	s_or_b32 exec_lo, exec_lo, s42
	s_mov_b32 s4, -1
	s_mov_b32 s5, exec_lo
	v_cmpx_gt_i32_e32 0x47, v1
; %bb.204:                              ;   in Loop: Header=BB24_12 Depth=1
	v_cmp_eq_u32_e32 vcc_lo, 0, v1
	s_or_not1_b32 s4, vcc_lo, exec_lo
; %bb.205:                              ;   in Loop: Header=BB24_12 Depth=1
	s_wait_alu 0xfffe
	s_or_b32 exec_lo, exec_lo, s5
	s_delay_alu instid0(SALU_CYCLE_1)
	s_and_b32 exec_lo, exec_lo, s4
	s_cbranch_execz .LBB24_10
; %bb.206:                              ;   in Loop: Header=BB24_12 Depth=1
	s_clause 0x1
	scratch_load_b32 v0, off, off offset:132
	scratch_load_b64 v[1:2], off, off offset:116
	s_wait_loadcnt 0x1
	v_add_nc_u32_e32 v0, s94, v0
	s_wait_loadcnt 0x0
	v_or_b32_e32 v1, s41, v1
	s_delay_alu instid0(VALU_DEP_1)
	v_cmp_gt_i32_e64 s4, s33, v1
	v_mov_b32_e32 v1, 0x47
	v_cmp_gt_i32_e32 vcc_lo, s24, v0
	s_and_b32 s4, vcc_lo, s4
	s_wait_alu 0xfffe
	s_and_saveexec_b32 s42, s4
	s_cbranch_execz .LBB24_208
; %bb.207:                              ;   in Loop: Header=BB24_12 Depth=1
	s_clause 0x1
	scratch_load_b32 v3, off, off offset:144
	scratch_load_b32 v6, off, off offset:136
	s_wait_loadcnt 0x1
	v_add_nc_u32_e32 v5, 0x1000, v3
	ds_load_2addr_b32 v[1:2], v3 offset1:32
	s_wait_loadcnt 0x0
	ds_load_2addr_b32 v[3:4], v6 offset0:64 offset1:65
	ds_load_b32 v7, v6 offset:4608
	ds_load_2addr_b32 v[5:6], v5 offset0:64 offset1:96
	scratch_load_b64 v[11:12], off, off offset:116 ; 8-byte Folded Reload
	s_wait_dscnt 0x2
	v_fma_mix_f32 v8, v3, v1, 0 op_sel_hi:[0,1,0]
	v_fma_mix_f32 v1, v3, v1, 0 op_sel:[0,1,0] op_sel_hi:[0,1,0]
	v_fma_mix_f32 v9, v3, v2, 0 op_sel_hi:[0,1,0]
	v_fma_mix_f32 v2, v3, v2, 0 op_sel:[0,1,0] op_sel_hi:[0,1,0]
	s_wait_dscnt 0x0
	v_fma_mix_f32 v3, v7, v5, v8 op_sel_hi:[0,1,0]
	v_fma_mix_f32 v5, v7, v5, v1 op_sel:[0,1,0] op_sel_hi:[0,1,0]
	v_fma_mix_f32 v8, v7, v6, v9 op_sel_hi:[0,1,0]
	v_fma_mix_f32 v9, v7, v6, v2 op_sel:[0,1,0] op_sel_hi:[0,1,0]
	s_delay_alu instid0(VALU_DEP_4) | instskip(NEXT) | instid1(VALU_DEP_4)
	v_div_scale_f32 v2, null, v4, v4, v3
	v_div_scale_f32 v6, null, v4, v4, v5
	s_delay_alu instid0(VALU_DEP_4) | instskip(NEXT) | instid1(VALU_DEP_4)
	v_div_scale_f32 v7, null, v4, v4, v8
	v_div_scale_f32 v10, null, v4, v4, v9
	v_div_scale_f32 v15, vcc_lo, v3, v4, v3
	s_delay_alu instid0(VALU_DEP_3) | instskip(NEXT) | instid1(VALU_DEP_2)
	v_rcp_f32_e32 v13, v7
	v_rcp_f32_e32 v14, v10
	v_div_scale_f32 v16, s4, v5, v4, v5
	v_div_scale_f32 v17, s5, v8, v4, v8
	v_div_scale_f32 v21, s6, v9, v4, v9
	s_delay_alu instid0(TRANS32_DEP_2) | instskip(NEXT) | instid1(TRANS32_DEP_1)
	v_fma_f32 v19, -v7, v13, 1.0
	v_fma_f32 v20, -v10, v14, 1.0
	s_delay_alu instid0(VALU_DEP_1) | instskip(NEXT) | instid1(VALU_DEP_1)
	v_dual_fmac_f32 v14, v20, v14 :: v_dual_fmac_f32 v13, v19, v13
	v_mul_f32_e32 v22, v21, v14
	s_delay_alu instid0(VALU_DEP_1) | instskip(NEXT) | instid1(VALU_DEP_1)
	v_fma_f32 v26, -v10, v22, v21
	v_fmac_f32_e32 v22, v26, v14
	s_delay_alu instid0(VALU_DEP_1) | instskip(SKIP_4) | instid1(VALU_DEP_1)
	v_fma_f32 v10, -v10, v22, v21
	s_wait_loadcnt 0x0
	v_mad_co_u64_u32 v[0:1], null, v0, s25, v[11:12]
	v_rcp_f32_e32 v11, v2
	v_rcp_f32_e32 v12, v6
	v_lshl_add_u32 v0, v0, 6, v96
	s_delay_alu instid0(TRANS32_DEP_2) | instskip(NEXT) | instid1(TRANS32_DEP_1)
	v_fma_f32 v1, -v2, v11, 1.0
	v_fma_f32 v18, -v6, v12, 1.0
	s_delay_alu instid0(VALU_DEP_1) | instskip(NEXT) | instid1(VALU_DEP_4)
	v_dual_fmac_f32 v11, v1, v11 :: v_dual_fmac_f32 v12, v18, v12
	v_ashrrev_i32_e32 v1, 31, v0
	s_delay_alu instid0(VALU_DEP_2) | instskip(NEXT) | instid1(VALU_DEP_2)
	v_dual_mul_f32 v18, v15, v11 :: v_dual_mul_f32 v19, v16, v12
	v_lshlrev_b64_e32 v[0:1], 3, v[0:1]
	s_delay_alu instid0(VALU_DEP_2) | instskip(NEXT) | instid1(VALU_DEP_3)
	v_fma_f32 v23, -v2, v18, v15
	v_fma_f32 v24, -v6, v19, v16
	v_mul_f32_e32 v20, v17, v13
	s_delay_alu instid0(VALU_DEP_2) | instskip(NEXT) | instid1(VALU_DEP_2)
	v_dual_fmac_f32 v18, v23, v11 :: v_dual_fmac_f32 v19, v24, v12
	v_fma_f32 v25, -v7, v20, v17
	s_delay_alu instid0(VALU_DEP_2) | instskip(NEXT) | instid1(VALU_DEP_3)
	v_fma_f32 v2, -v2, v18, v15
	v_fma_f32 v6, -v6, v19, v16
	s_delay_alu instid0(VALU_DEP_3) | instskip(SKIP_1) | instid1(VALU_DEP_3)
	v_fmac_f32_e32 v20, v25, v13
	s_wait_alu 0xfffd
	v_div_fmas_f32 v2, v2, v11, v18
	s_mov_b32 vcc_lo, s4
	s_delay_alu instid0(VALU_DEP_2)
	v_fma_f32 v7, -v7, v20, v17
	s_wait_alu 0xfffe
	v_div_fmas_f32 v6, v6, v12, v19
	s_mov_b32 vcc_lo, s5
	v_div_fixup_f32 v2, v2, v4, v3
	s_wait_alu 0xfffe
	v_div_fmas_f32 v7, v7, v13, v20
	s_mov_b32 vcc_lo, s6
	v_div_fixup_f32 v3, v6, v4, v5
	s_wait_alu 0xfffe
	v_div_fmas_f32 v10, v10, v14, v22
	v_add_co_u32 v5, vcc_lo, s72, v0
	s_wait_alu 0xfffd
	v_add_co_ci_u32_e64 v6, null, s73, v1, vcc_lo
	v_mov_b32_e32 v1, 0
	v_div_fixup_f32 v7, v7, v4, v8
	v_div_fixup_f32 v8, v10, v4, v9
	s_clause 0x1
	global_store_b64 v[5:6], v[2:3], off
	global_store_b64 v[5:6], v[7:8], off offset:256
.LBB24_208:                             ;   in Loop: Header=BB24_12 Depth=1
	s_wait_alu 0xfffe
	s_or_b32 exec_lo, exec_lo, s42
	s_mov_b32 s4, -1
	s_mov_b32 s5, exec_lo
	v_cmpx_gt_i32_e32 0x47, v1
; %bb.209:                              ;   in Loop: Header=BB24_12 Depth=1
	v_cmp_eq_u32_e32 vcc_lo, 0, v1
	s_or_not1_b32 s4, vcc_lo, exec_lo
; %bb.210:                              ;   in Loop: Header=BB24_12 Depth=1
	s_wait_alu 0xfffe
	s_or_b32 exec_lo, exec_lo, s5
	s_delay_alu instid0(SALU_CYCLE_1)
	s_and_b32 exec_lo, exec_lo, s4
	s_cbranch_execz .LBB24_10
; %bb.211:                              ;   in Loop: Header=BB24_12 Depth=1
	scratch_load_b32 v0, off, off offset:140 ; 4-byte Folded Reload
	s_wait_loadcnt 0x0
	v_dual_mov_b32 v1, 0x47 :: v_dual_add_nc_u32 v0, s94, v0
	s_delay_alu instid0(VALU_DEP_1)
	v_cmp_gt_i32_e32 vcc_lo, s24, v0
	s_and_b32 s4, vcc_lo, s3
	s_wait_alu 0xfffe
	s_and_saveexec_b32 s42, s4
	s_cbranch_execz .LBB24_213
; %bb.212:                              ;   in Loop: Header=BB24_12 Depth=1
	s_clause 0x1
	scratch_load_b32 v3, off, off offset:164
	scratch_load_b32 v6, off, off offset:160
	s_wait_loadcnt 0x1
	v_add_nc_u32_e32 v5, 0x1000, v3
	ds_load_2addr_b32 v[1:2], v3 offset1:32
	s_wait_loadcnt 0x0
	ds_load_2addr_b32 v[3:4], v6 offset0:64 offset1:65
	ds_load_b32 v7, v6 offset:4608
	ds_load_2addr_b32 v[5:6], v5 offset0:64 offset1:96
	s_wait_dscnt 0x2
	v_fma_mix_f32 v8, v3, v1, 0 op_sel_hi:[0,1,0]
	v_fma_mix_f32 v1, v3, v1, 0 op_sel:[0,1,0] op_sel_hi:[0,1,0]
	v_fma_mix_f32 v9, v3, v2, 0 op_sel_hi:[0,1,0]
	v_fma_mix_f32 v2, v3, v2, 0 op_sel:[0,1,0] op_sel_hi:[0,1,0]
	s_wait_dscnt 0x0
	v_fma_mix_f32 v3, v7, v5, v8 op_sel_hi:[0,1,0]
	v_fma_mix_f32 v5, v7, v5, v1 op_sel:[0,1,0] op_sel_hi:[0,1,0]
	v_fma_mix_f32 v8, v7, v6, v9 op_sel_hi:[0,1,0]
	v_fma_mix_f32 v9, v7, v6, v2 op_sel:[0,1,0] op_sel_hi:[0,1,0]
	v_mad_co_u64_u32 v[0:1], null, v0, s25, v[108:109]
	v_div_scale_f32 v2, null, v4, v4, v3
	v_div_scale_f32 v6, null, v4, v4, v5
	;; [unrolled: 1-line block ×4, first 2 shown]
	s_delay_alu instid0(VALU_DEP_4) | instskip(NEXT) | instid1(VALU_DEP_3)
	v_rcp_f32_e32 v11, v2
	v_rcp_f32_e32 v12, v6
	s_delay_alu instid0(VALU_DEP_2) | instskip(NEXT) | instid1(VALU_DEP_1)
	v_rcp_f32_e32 v13, v7
	v_rcp_f32_e32 v14, v10
	v_div_scale_f32 v15, vcc_lo, v3, v4, v3
	v_div_scale_f32 v16, s4, v5, v4, v5
	v_div_scale_f32 v17, s5, v8, v4, v8
	v_fma_f32 v1, -v2, v11, 1.0
	s_delay_alu instid0(TRANS32_DEP_3) | instskip(NEXT) | instid1(TRANS32_DEP_2)
	v_fma_f32 v18, -v6, v12, 1.0
	v_fma_f32 v19, -v7, v13, 1.0
	s_delay_alu instid0(TRANS32_DEP_1) | instskip(SKIP_1) | instid1(VALU_DEP_4)
	v_fma_f32 v20, -v10, v14, 1.0
	v_div_scale_f32 v21, s6, v9, v4, v9
	v_dual_fmac_f32 v11, v1, v11 :: v_dual_fmac_f32 v12, v18, v12
	s_delay_alu instid0(VALU_DEP_3) | instskip(SKIP_1) | instid1(VALU_DEP_3)
	v_dual_fmac_f32 v14, v20, v14 :: v_dual_fmac_f32 v13, v19, v13
	v_lshl_add_u32 v0, v0, 6, v96
	v_dual_mul_f32 v18, v15, v11 :: v_dual_mul_f32 v19, v16, v12
	s_delay_alu instid0(VALU_DEP_3) | instskip(NEXT) | instid1(VALU_DEP_3)
	v_mul_f32_e32 v22, v21, v14
	v_ashrrev_i32_e32 v1, 31, v0
	s_delay_alu instid0(VALU_DEP_3) | instskip(NEXT) | instid1(VALU_DEP_4)
	v_fma_f32 v23, -v2, v18, v15
	v_fma_f32 v24, -v6, v19, v16
	v_mul_f32_e32 v20, v17, v13
	v_fma_f32 v26, -v10, v22, v21
	v_lshlrev_b64_e32 v[0:1], 3, v[0:1]
	s_delay_alu instid0(VALU_DEP_4) | instskip(NEXT) | instid1(VALU_DEP_4)
	v_dual_fmac_f32 v18, v23, v11 :: v_dual_fmac_f32 v19, v24, v12
	v_fma_f32 v25, -v7, v20, v17
	s_delay_alu instid0(VALU_DEP_4) | instskip(NEXT) | instid1(VALU_DEP_3)
	v_fmac_f32_e32 v22, v26, v14
	v_fma_f32 v2, -v2, v18, v15
	s_delay_alu instid0(VALU_DEP_4) | instskip(NEXT) | instid1(VALU_DEP_4)
	v_fma_f32 v6, -v6, v19, v16
	v_fmac_f32_e32 v20, v25, v13
	s_delay_alu instid0(VALU_DEP_4)
	v_fma_f32 v10, -v10, v22, v21
	s_wait_alu 0xfffd
	v_div_fmas_f32 v2, v2, v11, v18
	s_mov_b32 vcc_lo, s4
	v_fma_f32 v7, -v7, v20, v17
	s_wait_alu 0xfffe
	v_div_fmas_f32 v6, v6, v12, v19
	s_mov_b32 vcc_lo, s5
	v_div_fixup_f32 v2, v2, v4, v3
	s_wait_alu 0xfffe
	v_div_fmas_f32 v7, v7, v13, v20
	s_mov_b32 vcc_lo, s6
	v_div_fixup_f32 v3, v6, v4, v5
	s_wait_alu 0xfffe
	v_div_fmas_f32 v10, v10, v14, v22
	v_add_co_u32 v5, vcc_lo, s72, v0
	s_wait_alu 0xfffd
	v_add_co_ci_u32_e64 v6, null, s73, v1, vcc_lo
	v_mov_b32_e32 v1, 0
	v_div_fixup_f32 v7, v7, v4, v8
	v_div_fixup_f32 v8, v10, v4, v9
	s_clause 0x1
	global_store_b64 v[5:6], v[2:3], off
	global_store_b64 v[5:6], v[7:8], off offset:256
.LBB24_213:                             ;   in Loop: Header=BB24_12 Depth=1
	s_wait_alu 0xfffe
	s_or_b32 exec_lo, exec_lo, s42
	s_mov_b32 s4, -1
	s_mov_b32 s5, exec_lo
	v_cmpx_gt_i32_e32 0x47, v1
; %bb.214:                              ;   in Loop: Header=BB24_12 Depth=1
	v_cmp_eq_u32_e32 vcc_lo, 0, v1
	s_or_not1_b32 s4, vcc_lo, exec_lo
; %bb.215:                              ;   in Loop: Header=BB24_12 Depth=1
	s_wait_alu 0xfffe
	s_or_b32 exec_lo, exec_lo, s5
	s_delay_alu instid0(SALU_CYCLE_1)
	s_and_b32 exec_lo, exec_lo, s4
	s_cbranch_execz .LBB24_10
; %bb.216:                              ;   in Loop: Header=BB24_12 Depth=1
	s_clause 0x1
	scratch_load_b32 v0, off, off offset:168
	scratch_load_b64 v[1:2], off, off offset:152
	s_wait_loadcnt 0x1
	v_add_nc_u32_e32 v0, s94, v0
	s_wait_loadcnt 0x0
	v_or_b32_e32 v1, s41, v1
	s_delay_alu instid0(VALU_DEP_1)
	v_cmp_gt_i32_e64 s4, s33, v1
	v_mov_b32_e32 v1, 0x47
	v_cmp_gt_i32_e32 vcc_lo, s24, v0
	s_and_b32 s4, vcc_lo, s4
	s_wait_alu 0xfffe
	s_and_saveexec_b32 s42, s4
	s_cbranch_execz .LBB24_218
; %bb.217:                              ;   in Loop: Header=BB24_12 Depth=1
	s_clause 0x1
	scratch_load_b32 v3, off, off offset:180
	scratch_load_b32 v6, off, off offset:172
	s_wait_loadcnt 0x1
	v_add_nc_u32_e32 v5, 0x1000, v3
	ds_load_2addr_b32 v[1:2], v3 offset1:32
	s_wait_loadcnt 0x0
	ds_load_2addr_b32 v[3:4], v6 offset0:64 offset1:65
	ds_load_b32 v7, v6 offset:4608
	ds_load_2addr_b32 v[5:6], v5 offset0:64 offset1:96
	scratch_load_b64 v[11:12], off, off offset:152 ; 8-byte Folded Reload
	s_wait_dscnt 0x2
	v_fma_mix_f32 v8, v3, v1, 0 op_sel_hi:[0,1,0]
	v_fma_mix_f32 v1, v3, v1, 0 op_sel:[0,1,0] op_sel_hi:[0,1,0]
	v_fma_mix_f32 v9, v3, v2, 0 op_sel_hi:[0,1,0]
	v_fma_mix_f32 v2, v3, v2, 0 op_sel:[0,1,0] op_sel_hi:[0,1,0]
	s_wait_dscnt 0x0
	v_fma_mix_f32 v3, v7, v5, v8 op_sel_hi:[0,1,0]
	v_fma_mix_f32 v5, v7, v5, v1 op_sel:[0,1,0] op_sel_hi:[0,1,0]
	v_fma_mix_f32 v8, v7, v6, v9 op_sel_hi:[0,1,0]
	v_fma_mix_f32 v9, v7, v6, v2 op_sel:[0,1,0] op_sel_hi:[0,1,0]
	s_delay_alu instid0(VALU_DEP_4) | instskip(NEXT) | instid1(VALU_DEP_4)
	v_div_scale_f32 v2, null, v4, v4, v3
	v_div_scale_f32 v6, null, v4, v4, v5
	s_delay_alu instid0(VALU_DEP_4) | instskip(NEXT) | instid1(VALU_DEP_4)
	v_div_scale_f32 v7, null, v4, v4, v8
	v_div_scale_f32 v10, null, v4, v4, v9
	v_div_scale_f32 v15, vcc_lo, v3, v4, v3
	s_delay_alu instid0(VALU_DEP_3) | instskip(NEXT) | instid1(VALU_DEP_2)
	v_rcp_f32_e32 v13, v7
	v_rcp_f32_e32 v14, v10
	v_div_scale_f32 v16, s4, v5, v4, v5
	v_div_scale_f32 v17, s5, v8, v4, v8
	;; [unrolled: 1-line block ×3, first 2 shown]
	s_delay_alu instid0(TRANS32_DEP_2) | instskip(NEXT) | instid1(TRANS32_DEP_1)
	v_fma_f32 v19, -v7, v13, 1.0
	v_fma_f32 v20, -v10, v14, 1.0
	s_delay_alu instid0(VALU_DEP_1) | instskip(NEXT) | instid1(VALU_DEP_1)
	v_dual_fmac_f32 v14, v20, v14 :: v_dual_fmac_f32 v13, v19, v13
	v_mul_f32_e32 v22, v21, v14
	s_delay_alu instid0(VALU_DEP_1) | instskip(NEXT) | instid1(VALU_DEP_1)
	v_fma_f32 v26, -v10, v22, v21
	v_fmac_f32_e32 v22, v26, v14
	s_delay_alu instid0(VALU_DEP_1) | instskip(SKIP_4) | instid1(VALU_DEP_1)
	v_fma_f32 v10, -v10, v22, v21
	s_wait_loadcnt 0x0
	v_mad_co_u64_u32 v[0:1], null, v0, s25, v[11:12]
	v_rcp_f32_e32 v11, v2
	v_rcp_f32_e32 v12, v6
	v_lshl_add_u32 v0, v0, 6, v96
	s_delay_alu instid0(TRANS32_DEP_2) | instskip(NEXT) | instid1(TRANS32_DEP_1)
	v_fma_f32 v1, -v2, v11, 1.0
	v_fma_f32 v18, -v6, v12, 1.0
	s_delay_alu instid0(VALU_DEP_1) | instskip(NEXT) | instid1(VALU_DEP_4)
	v_dual_fmac_f32 v11, v1, v11 :: v_dual_fmac_f32 v12, v18, v12
	v_ashrrev_i32_e32 v1, 31, v0
	s_delay_alu instid0(VALU_DEP_2) | instskip(NEXT) | instid1(VALU_DEP_2)
	v_dual_mul_f32 v18, v15, v11 :: v_dual_mul_f32 v19, v16, v12
	v_lshlrev_b64_e32 v[0:1], 3, v[0:1]
	s_delay_alu instid0(VALU_DEP_2) | instskip(NEXT) | instid1(VALU_DEP_3)
	v_fma_f32 v23, -v2, v18, v15
	v_fma_f32 v24, -v6, v19, v16
	v_mul_f32_e32 v20, v17, v13
	s_delay_alu instid0(VALU_DEP_2) | instskip(NEXT) | instid1(VALU_DEP_2)
	v_dual_fmac_f32 v18, v23, v11 :: v_dual_fmac_f32 v19, v24, v12
	v_fma_f32 v25, -v7, v20, v17
	s_delay_alu instid0(VALU_DEP_2) | instskip(NEXT) | instid1(VALU_DEP_3)
	v_fma_f32 v2, -v2, v18, v15
	v_fma_f32 v6, -v6, v19, v16
	s_delay_alu instid0(VALU_DEP_3) | instskip(SKIP_1) | instid1(VALU_DEP_3)
	v_fmac_f32_e32 v20, v25, v13
	s_wait_alu 0xfffd
	v_div_fmas_f32 v2, v2, v11, v18
	s_mov_b32 vcc_lo, s4
	s_delay_alu instid0(VALU_DEP_2)
	v_fma_f32 v7, -v7, v20, v17
	s_wait_alu 0xfffe
	v_div_fmas_f32 v6, v6, v12, v19
	s_mov_b32 vcc_lo, s5
	v_div_fixup_f32 v2, v2, v4, v3
	s_wait_alu 0xfffe
	v_div_fmas_f32 v7, v7, v13, v20
	s_mov_b32 vcc_lo, s6
	v_div_fixup_f32 v3, v6, v4, v5
	s_wait_alu 0xfffe
	v_div_fmas_f32 v10, v10, v14, v22
	v_add_co_u32 v5, vcc_lo, s72, v0
	s_wait_alu 0xfffd
	v_add_co_ci_u32_e64 v6, null, s73, v1, vcc_lo
	v_mov_b32_e32 v1, 0
	v_div_fixup_f32 v7, v7, v4, v8
	v_div_fixup_f32 v8, v10, v4, v9
	s_clause 0x1
	global_store_b64 v[5:6], v[2:3], off
	global_store_b64 v[5:6], v[7:8], off offset:256
.LBB24_218:                             ;   in Loop: Header=BB24_12 Depth=1
	s_wait_alu 0xfffe
	s_or_b32 exec_lo, exec_lo, s42
	s_mov_b32 s4, -1
	s_mov_b32 s5, exec_lo
	v_cmpx_gt_i32_e32 0x47, v1
; %bb.219:                              ;   in Loop: Header=BB24_12 Depth=1
	v_cmp_eq_u32_e32 vcc_lo, 0, v1
	s_or_not1_b32 s4, vcc_lo, exec_lo
; %bb.220:                              ;   in Loop: Header=BB24_12 Depth=1
	s_wait_alu 0xfffe
	s_or_b32 exec_lo, exec_lo, s5
	s_delay_alu instid0(SALU_CYCLE_1)
	s_and_b32 exec_lo, exec_lo, s4
	s_cbranch_execz .LBB24_10
; %bb.221:                              ;   in Loop: Header=BB24_12 Depth=1
	scratch_load_b32 v0, off, off offset:176 ; 4-byte Folded Reload
	s_wait_loadcnt 0x0
	v_dual_mov_b32 v1, 0x47 :: v_dual_add_nc_u32 v0, s94, v0
	s_delay_alu instid0(VALU_DEP_1)
	v_cmp_gt_i32_e32 vcc_lo, s24, v0
	s_and_b32 s4, vcc_lo, s3
	s_wait_alu 0xfffe
	s_and_saveexec_b32 s42, s4
	s_cbranch_execz .LBB24_223
; %bb.222:                              ;   in Loop: Header=BB24_12 Depth=1
	s_clause 0x1
	scratch_load_b32 v3, off, off offset:196
	scratch_load_b32 v6, off, off offset:192
	s_wait_loadcnt 0x1
	v_add_nc_u32_e32 v5, 0x1000, v3
	ds_load_2addr_b32 v[1:2], v3 offset1:32
	s_wait_loadcnt 0x0
	ds_load_2addr_b32 v[3:4], v6 offset0:64 offset1:65
	ds_load_b32 v7, v6 offset:4608
	ds_load_2addr_b32 v[5:6], v5 offset0:64 offset1:96
	s_wait_dscnt 0x2
	v_fma_mix_f32 v8, v3, v1, 0 op_sel_hi:[0,1,0]
	v_fma_mix_f32 v1, v3, v1, 0 op_sel:[0,1,0] op_sel_hi:[0,1,0]
	v_fma_mix_f32 v9, v3, v2, 0 op_sel_hi:[0,1,0]
	v_fma_mix_f32 v2, v3, v2, 0 op_sel:[0,1,0] op_sel_hi:[0,1,0]
	s_wait_dscnt 0x0
	v_fma_mix_f32 v3, v7, v5, v8 op_sel_hi:[0,1,0]
	v_fma_mix_f32 v5, v7, v5, v1 op_sel:[0,1,0] op_sel_hi:[0,1,0]
	v_fma_mix_f32 v8, v7, v6, v9 op_sel_hi:[0,1,0]
	v_fma_mix_f32 v9, v7, v6, v2 op_sel:[0,1,0] op_sel_hi:[0,1,0]
	v_mad_co_u64_u32 v[0:1], null, v0, s25, v[108:109]
	v_div_scale_f32 v2, null, v4, v4, v3
	v_div_scale_f32 v6, null, v4, v4, v5
	;; [unrolled: 1-line block ×4, first 2 shown]
	s_delay_alu instid0(VALU_DEP_4) | instskip(NEXT) | instid1(VALU_DEP_3)
	v_rcp_f32_e32 v11, v2
	v_rcp_f32_e32 v12, v6
	s_delay_alu instid0(VALU_DEP_2) | instskip(NEXT) | instid1(VALU_DEP_1)
	v_rcp_f32_e32 v13, v7
	v_rcp_f32_e32 v14, v10
	v_div_scale_f32 v15, vcc_lo, v3, v4, v3
	v_div_scale_f32 v16, s4, v5, v4, v5
	v_div_scale_f32 v17, s5, v8, v4, v8
	v_fma_f32 v1, -v2, v11, 1.0
	s_delay_alu instid0(TRANS32_DEP_3) | instskip(NEXT) | instid1(TRANS32_DEP_2)
	v_fma_f32 v18, -v6, v12, 1.0
	v_fma_f32 v19, -v7, v13, 1.0
	s_delay_alu instid0(TRANS32_DEP_1) | instskip(SKIP_1) | instid1(VALU_DEP_4)
	v_fma_f32 v20, -v10, v14, 1.0
	v_div_scale_f32 v21, s6, v9, v4, v9
	v_dual_fmac_f32 v11, v1, v11 :: v_dual_fmac_f32 v12, v18, v12
	s_delay_alu instid0(VALU_DEP_3) | instskip(SKIP_1) | instid1(VALU_DEP_3)
	v_dual_fmac_f32 v14, v20, v14 :: v_dual_fmac_f32 v13, v19, v13
	v_lshl_add_u32 v0, v0, 6, v96
	v_dual_mul_f32 v18, v15, v11 :: v_dual_mul_f32 v19, v16, v12
	s_delay_alu instid0(VALU_DEP_3) | instskip(NEXT) | instid1(VALU_DEP_3)
	v_mul_f32_e32 v22, v21, v14
	v_ashrrev_i32_e32 v1, 31, v0
	s_delay_alu instid0(VALU_DEP_3) | instskip(NEXT) | instid1(VALU_DEP_4)
	v_fma_f32 v23, -v2, v18, v15
	v_fma_f32 v24, -v6, v19, v16
	v_mul_f32_e32 v20, v17, v13
	v_fma_f32 v26, -v10, v22, v21
	v_lshlrev_b64_e32 v[0:1], 3, v[0:1]
	s_delay_alu instid0(VALU_DEP_4) | instskip(NEXT) | instid1(VALU_DEP_4)
	v_dual_fmac_f32 v18, v23, v11 :: v_dual_fmac_f32 v19, v24, v12
	v_fma_f32 v25, -v7, v20, v17
	s_delay_alu instid0(VALU_DEP_4) | instskip(NEXT) | instid1(VALU_DEP_3)
	v_fmac_f32_e32 v22, v26, v14
	v_fma_f32 v2, -v2, v18, v15
	s_delay_alu instid0(VALU_DEP_4) | instskip(NEXT) | instid1(VALU_DEP_4)
	v_fma_f32 v6, -v6, v19, v16
	v_fmac_f32_e32 v20, v25, v13
	s_delay_alu instid0(VALU_DEP_4)
	v_fma_f32 v10, -v10, v22, v21
	s_wait_alu 0xfffd
	v_div_fmas_f32 v2, v2, v11, v18
	s_mov_b32 vcc_lo, s4
	v_fma_f32 v7, -v7, v20, v17
	s_wait_alu 0xfffe
	v_div_fmas_f32 v6, v6, v12, v19
	s_mov_b32 vcc_lo, s5
	v_div_fixup_f32 v2, v2, v4, v3
	s_wait_alu 0xfffe
	v_div_fmas_f32 v7, v7, v13, v20
	s_mov_b32 vcc_lo, s6
	v_div_fixup_f32 v3, v6, v4, v5
	s_wait_alu 0xfffe
	v_div_fmas_f32 v10, v10, v14, v22
	v_add_co_u32 v5, vcc_lo, s72, v0
	s_wait_alu 0xfffd
	v_add_co_ci_u32_e64 v6, null, s73, v1, vcc_lo
	v_mov_b32_e32 v1, 0
	v_div_fixup_f32 v7, v7, v4, v8
	v_div_fixup_f32 v8, v10, v4, v9
	s_clause 0x1
	global_store_b64 v[5:6], v[2:3], off
	global_store_b64 v[5:6], v[7:8], off offset:256
.LBB24_223:                             ;   in Loop: Header=BB24_12 Depth=1
	s_wait_alu 0xfffe
	s_or_b32 exec_lo, exec_lo, s42
	s_mov_b32 s4, -1
	s_mov_b32 s5, exec_lo
	v_cmpx_gt_i32_e32 0x47, v1
; %bb.224:                              ;   in Loop: Header=BB24_12 Depth=1
	v_cmp_eq_u32_e32 vcc_lo, 0, v1
	s_or_not1_b32 s4, vcc_lo, exec_lo
; %bb.225:                              ;   in Loop: Header=BB24_12 Depth=1
	s_wait_alu 0xfffe
	s_or_b32 exec_lo, exec_lo, s5
	s_delay_alu instid0(SALU_CYCLE_1)
	s_and_b32 exec_lo, exec_lo, s4
	s_cbranch_execz .LBB24_10
; %bb.226:                              ;   in Loop: Header=BB24_12 Depth=1
	s_clause 0x1
	scratch_load_b32 v0, off, off offset:200
	scratch_load_b64 v[1:2], off, off offset:184
	s_wait_loadcnt 0x1
	v_add_nc_u32_e32 v0, s94, v0
	s_wait_loadcnt 0x0
	v_or_b32_e32 v1, s41, v1
	s_delay_alu instid0(VALU_DEP_1)
	v_cmp_gt_i32_e64 s4, s33, v1
	v_mov_b32_e32 v1, 0x47
	v_cmp_gt_i32_e32 vcc_lo, s24, v0
	s_and_b32 s4, vcc_lo, s4
	s_wait_alu 0xfffe
	s_and_saveexec_b32 s42, s4
	s_cbranch_execz .LBB24_228
; %bb.227:                              ;   in Loop: Header=BB24_12 Depth=1
	s_clause 0x1
	scratch_load_b32 v3, off, off offset:212
	scratch_load_b32 v6, off, off offset:204
	s_wait_loadcnt 0x1
	v_add_nc_u32_e32 v5, 0x1000, v3
	ds_load_2addr_b32 v[1:2], v3 offset1:32
	s_wait_loadcnt 0x0
	ds_load_2addr_b32 v[3:4], v6 offset0:64 offset1:65
	ds_load_b32 v7, v6 offset:4608
	ds_load_2addr_b32 v[5:6], v5 offset0:64 offset1:96
	scratch_load_b64 v[11:12], off, off offset:184 ; 8-byte Folded Reload
	s_wait_dscnt 0x2
	v_fma_mix_f32 v8, v3, v1, 0 op_sel_hi:[0,1,0]
	v_fma_mix_f32 v1, v3, v1, 0 op_sel:[0,1,0] op_sel_hi:[0,1,0]
	v_fma_mix_f32 v9, v3, v2, 0 op_sel_hi:[0,1,0]
	v_fma_mix_f32 v2, v3, v2, 0 op_sel:[0,1,0] op_sel_hi:[0,1,0]
	s_wait_dscnt 0x0
	v_fma_mix_f32 v3, v7, v5, v8 op_sel_hi:[0,1,0]
	v_fma_mix_f32 v5, v7, v5, v1 op_sel:[0,1,0] op_sel_hi:[0,1,0]
	v_fma_mix_f32 v8, v7, v6, v9 op_sel_hi:[0,1,0]
	v_fma_mix_f32 v9, v7, v6, v2 op_sel:[0,1,0] op_sel_hi:[0,1,0]
	s_delay_alu instid0(VALU_DEP_4) | instskip(NEXT) | instid1(VALU_DEP_4)
	v_div_scale_f32 v2, null, v4, v4, v3
	v_div_scale_f32 v6, null, v4, v4, v5
	s_delay_alu instid0(VALU_DEP_4) | instskip(NEXT) | instid1(VALU_DEP_4)
	v_div_scale_f32 v7, null, v4, v4, v8
	v_div_scale_f32 v10, null, v4, v4, v9
	v_div_scale_f32 v15, vcc_lo, v3, v4, v3
	s_delay_alu instid0(VALU_DEP_3) | instskip(NEXT) | instid1(VALU_DEP_2)
	v_rcp_f32_e32 v13, v7
	v_rcp_f32_e32 v14, v10
	v_div_scale_f32 v16, s4, v5, v4, v5
	v_div_scale_f32 v17, s5, v8, v4, v8
	;; [unrolled: 1-line block ×3, first 2 shown]
	s_delay_alu instid0(TRANS32_DEP_2) | instskip(NEXT) | instid1(TRANS32_DEP_1)
	v_fma_f32 v19, -v7, v13, 1.0
	v_fma_f32 v20, -v10, v14, 1.0
	s_delay_alu instid0(VALU_DEP_1) | instskip(NEXT) | instid1(VALU_DEP_1)
	v_dual_fmac_f32 v14, v20, v14 :: v_dual_fmac_f32 v13, v19, v13
	v_mul_f32_e32 v22, v21, v14
	s_delay_alu instid0(VALU_DEP_1) | instskip(NEXT) | instid1(VALU_DEP_1)
	v_fma_f32 v26, -v10, v22, v21
	v_fmac_f32_e32 v22, v26, v14
	s_delay_alu instid0(VALU_DEP_1) | instskip(SKIP_4) | instid1(VALU_DEP_1)
	v_fma_f32 v10, -v10, v22, v21
	s_wait_loadcnt 0x0
	v_mad_co_u64_u32 v[0:1], null, v0, s25, v[11:12]
	v_rcp_f32_e32 v11, v2
	v_rcp_f32_e32 v12, v6
	v_lshl_add_u32 v0, v0, 6, v96
	s_delay_alu instid0(TRANS32_DEP_2) | instskip(NEXT) | instid1(TRANS32_DEP_1)
	v_fma_f32 v1, -v2, v11, 1.0
	v_fma_f32 v18, -v6, v12, 1.0
	s_delay_alu instid0(VALU_DEP_1) | instskip(NEXT) | instid1(VALU_DEP_4)
	v_dual_fmac_f32 v11, v1, v11 :: v_dual_fmac_f32 v12, v18, v12
	v_ashrrev_i32_e32 v1, 31, v0
	s_delay_alu instid0(VALU_DEP_2) | instskip(NEXT) | instid1(VALU_DEP_2)
	v_dual_mul_f32 v18, v15, v11 :: v_dual_mul_f32 v19, v16, v12
	v_lshlrev_b64_e32 v[0:1], 3, v[0:1]
	s_delay_alu instid0(VALU_DEP_2) | instskip(NEXT) | instid1(VALU_DEP_3)
	v_fma_f32 v23, -v2, v18, v15
	v_fma_f32 v24, -v6, v19, v16
	v_mul_f32_e32 v20, v17, v13
	s_delay_alu instid0(VALU_DEP_2) | instskip(NEXT) | instid1(VALU_DEP_2)
	v_dual_fmac_f32 v18, v23, v11 :: v_dual_fmac_f32 v19, v24, v12
	v_fma_f32 v25, -v7, v20, v17
	s_delay_alu instid0(VALU_DEP_2) | instskip(NEXT) | instid1(VALU_DEP_3)
	v_fma_f32 v2, -v2, v18, v15
	v_fma_f32 v6, -v6, v19, v16
	s_delay_alu instid0(VALU_DEP_3) | instskip(SKIP_1) | instid1(VALU_DEP_3)
	v_fmac_f32_e32 v20, v25, v13
	s_wait_alu 0xfffd
	v_div_fmas_f32 v2, v2, v11, v18
	s_mov_b32 vcc_lo, s4
	s_delay_alu instid0(VALU_DEP_2)
	v_fma_f32 v7, -v7, v20, v17
	s_wait_alu 0xfffe
	v_div_fmas_f32 v6, v6, v12, v19
	s_mov_b32 vcc_lo, s5
	v_div_fixup_f32 v2, v2, v4, v3
	s_wait_alu 0xfffe
	v_div_fmas_f32 v7, v7, v13, v20
	s_mov_b32 vcc_lo, s6
	v_div_fixup_f32 v3, v6, v4, v5
	s_wait_alu 0xfffe
	v_div_fmas_f32 v10, v10, v14, v22
	v_add_co_u32 v5, vcc_lo, s72, v0
	s_wait_alu 0xfffd
	v_add_co_ci_u32_e64 v6, null, s73, v1, vcc_lo
	v_mov_b32_e32 v1, 0
	v_div_fixup_f32 v7, v7, v4, v8
	v_div_fixup_f32 v8, v10, v4, v9
	s_clause 0x1
	global_store_b64 v[5:6], v[2:3], off
	global_store_b64 v[5:6], v[7:8], off offset:256
.LBB24_228:                             ;   in Loop: Header=BB24_12 Depth=1
	s_wait_alu 0xfffe
	s_or_b32 exec_lo, exec_lo, s42
	s_mov_b32 s4, -1
	s_mov_b32 s5, exec_lo
	v_cmpx_gt_i32_e32 0x47, v1
; %bb.229:                              ;   in Loop: Header=BB24_12 Depth=1
	v_cmp_eq_u32_e32 vcc_lo, 0, v1
	s_or_not1_b32 s4, vcc_lo, exec_lo
; %bb.230:                              ;   in Loop: Header=BB24_12 Depth=1
	s_wait_alu 0xfffe
	s_or_b32 exec_lo, exec_lo, s5
	s_delay_alu instid0(SALU_CYCLE_1)
	s_and_b32 exec_lo, exec_lo, s4
	s_cbranch_execz .LBB24_10
; %bb.231:                              ;   in Loop: Header=BB24_12 Depth=1
	scratch_load_b32 v0, off, off offset:208 ; 4-byte Folded Reload
	s_wait_loadcnt 0x0
	v_dual_mov_b32 v1, 0x47 :: v_dual_add_nc_u32 v0, s94, v0
	s_delay_alu instid0(VALU_DEP_1)
	v_cmp_gt_i32_e32 vcc_lo, s24, v0
	s_and_b32 s4, vcc_lo, s3
	s_wait_alu 0xfffe
	s_and_saveexec_b32 s42, s4
	s_cbranch_execz .LBB24_233
; %bb.232:                              ;   in Loop: Header=BB24_12 Depth=1
	s_clause 0x1
	scratch_load_b32 v3, off, off offset:228
	scratch_load_b32 v6, off, off offset:224
	s_wait_loadcnt 0x1
	v_add_nc_u32_e32 v5, 0x1000, v3
	ds_load_2addr_b32 v[1:2], v3 offset1:32
	s_wait_loadcnt 0x0
	ds_load_2addr_b32 v[3:4], v6 offset0:64 offset1:65
	ds_load_b32 v7, v6 offset:4608
	ds_load_2addr_b32 v[5:6], v5 offset0:64 offset1:96
	s_wait_dscnt 0x2
	v_fma_mix_f32 v8, v3, v1, 0 op_sel_hi:[0,1,0]
	v_fma_mix_f32 v1, v3, v1, 0 op_sel:[0,1,0] op_sel_hi:[0,1,0]
	v_fma_mix_f32 v9, v3, v2, 0 op_sel_hi:[0,1,0]
	v_fma_mix_f32 v2, v3, v2, 0 op_sel:[0,1,0] op_sel_hi:[0,1,0]
	s_wait_dscnt 0x0
	v_fma_mix_f32 v3, v7, v5, v8 op_sel_hi:[0,1,0]
	v_fma_mix_f32 v5, v7, v5, v1 op_sel:[0,1,0] op_sel_hi:[0,1,0]
	v_fma_mix_f32 v8, v7, v6, v9 op_sel_hi:[0,1,0]
	v_fma_mix_f32 v9, v7, v6, v2 op_sel:[0,1,0] op_sel_hi:[0,1,0]
	v_mad_co_u64_u32 v[0:1], null, v0, s25, v[108:109]
	v_div_scale_f32 v2, null, v4, v4, v3
	v_div_scale_f32 v6, null, v4, v4, v5
	;; [unrolled: 1-line block ×4, first 2 shown]
	s_delay_alu instid0(VALU_DEP_4) | instskip(NEXT) | instid1(VALU_DEP_3)
	v_rcp_f32_e32 v11, v2
	v_rcp_f32_e32 v12, v6
	s_delay_alu instid0(VALU_DEP_2) | instskip(NEXT) | instid1(VALU_DEP_1)
	v_rcp_f32_e32 v13, v7
	v_rcp_f32_e32 v14, v10
	v_div_scale_f32 v15, vcc_lo, v3, v4, v3
	v_div_scale_f32 v16, s4, v5, v4, v5
	v_div_scale_f32 v17, s5, v8, v4, v8
	v_fma_f32 v1, -v2, v11, 1.0
	s_delay_alu instid0(TRANS32_DEP_3) | instskip(NEXT) | instid1(TRANS32_DEP_2)
	v_fma_f32 v18, -v6, v12, 1.0
	v_fma_f32 v19, -v7, v13, 1.0
	s_delay_alu instid0(TRANS32_DEP_1) | instskip(SKIP_1) | instid1(VALU_DEP_4)
	v_fma_f32 v20, -v10, v14, 1.0
	v_div_scale_f32 v21, s6, v9, v4, v9
	v_dual_fmac_f32 v11, v1, v11 :: v_dual_fmac_f32 v12, v18, v12
	s_delay_alu instid0(VALU_DEP_3) | instskip(SKIP_1) | instid1(VALU_DEP_3)
	v_dual_fmac_f32 v14, v20, v14 :: v_dual_fmac_f32 v13, v19, v13
	v_lshl_add_u32 v0, v0, 6, v96
	v_dual_mul_f32 v18, v15, v11 :: v_dual_mul_f32 v19, v16, v12
	s_delay_alu instid0(VALU_DEP_3) | instskip(NEXT) | instid1(VALU_DEP_3)
	v_mul_f32_e32 v22, v21, v14
	v_ashrrev_i32_e32 v1, 31, v0
	s_delay_alu instid0(VALU_DEP_3) | instskip(NEXT) | instid1(VALU_DEP_4)
	v_fma_f32 v23, -v2, v18, v15
	v_fma_f32 v24, -v6, v19, v16
	v_mul_f32_e32 v20, v17, v13
	v_fma_f32 v26, -v10, v22, v21
	v_lshlrev_b64_e32 v[0:1], 3, v[0:1]
	s_delay_alu instid0(VALU_DEP_4) | instskip(NEXT) | instid1(VALU_DEP_4)
	v_dual_fmac_f32 v18, v23, v11 :: v_dual_fmac_f32 v19, v24, v12
	v_fma_f32 v25, -v7, v20, v17
	s_delay_alu instid0(VALU_DEP_4) | instskip(NEXT) | instid1(VALU_DEP_3)
	v_fmac_f32_e32 v22, v26, v14
	v_fma_f32 v2, -v2, v18, v15
	s_delay_alu instid0(VALU_DEP_4) | instskip(NEXT) | instid1(VALU_DEP_4)
	v_fma_f32 v6, -v6, v19, v16
	v_fmac_f32_e32 v20, v25, v13
	s_delay_alu instid0(VALU_DEP_4)
	v_fma_f32 v10, -v10, v22, v21
	s_wait_alu 0xfffd
	v_div_fmas_f32 v2, v2, v11, v18
	s_mov_b32 vcc_lo, s4
	v_fma_f32 v7, -v7, v20, v17
	s_wait_alu 0xfffe
	v_div_fmas_f32 v6, v6, v12, v19
	s_mov_b32 vcc_lo, s5
	v_div_fixup_f32 v2, v2, v4, v3
	s_wait_alu 0xfffe
	v_div_fmas_f32 v7, v7, v13, v20
	s_mov_b32 vcc_lo, s6
	v_div_fixup_f32 v3, v6, v4, v5
	s_wait_alu 0xfffe
	v_div_fmas_f32 v10, v10, v14, v22
	v_add_co_u32 v5, vcc_lo, s72, v0
	s_wait_alu 0xfffd
	v_add_co_ci_u32_e64 v6, null, s73, v1, vcc_lo
	v_mov_b32_e32 v1, 0
	v_div_fixup_f32 v7, v7, v4, v8
	v_div_fixup_f32 v8, v10, v4, v9
	s_clause 0x1
	global_store_b64 v[5:6], v[2:3], off
	global_store_b64 v[5:6], v[7:8], off offset:256
.LBB24_233:                             ;   in Loop: Header=BB24_12 Depth=1
	s_wait_alu 0xfffe
	s_or_b32 exec_lo, exec_lo, s42
	s_mov_b32 s4, -1
	s_mov_b32 s5, exec_lo
	v_cmpx_gt_i32_e32 0x47, v1
; %bb.234:                              ;   in Loop: Header=BB24_12 Depth=1
	v_cmp_eq_u32_e32 vcc_lo, 0, v1
	s_or_not1_b32 s4, vcc_lo, exec_lo
; %bb.235:                              ;   in Loop: Header=BB24_12 Depth=1
	s_wait_alu 0xfffe
	s_or_b32 exec_lo, exec_lo, s5
	s_delay_alu instid0(SALU_CYCLE_1)
	s_and_b32 exec_lo, exec_lo, s4
	s_cbranch_execz .LBB24_10
; %bb.236:                              ;   in Loop: Header=BB24_12 Depth=1
	s_clause 0x1
	scratch_load_b32 v0, off, off offset:232
	scratch_load_b64 v[1:2], off, off offset:216
	s_wait_loadcnt 0x1
	v_add_nc_u32_e32 v0, s94, v0
	s_wait_loadcnt 0x0
	v_or_b32_e32 v1, s41, v1
	s_delay_alu instid0(VALU_DEP_1)
	v_cmp_gt_i32_e64 s4, s33, v1
	v_mov_b32_e32 v1, 0x47
	v_cmp_gt_i32_e32 vcc_lo, s24, v0
	s_and_b32 s4, vcc_lo, s4
	s_wait_alu 0xfffe
	s_and_saveexec_b32 s42, s4
	s_cbranch_execz .LBB24_238
; %bb.237:                              ;   in Loop: Header=BB24_12 Depth=1
	s_clause 0x1
	scratch_load_b32 v3, off, off offset:244
	scratch_load_b32 v6, off, off offset:236
	s_wait_loadcnt 0x1
	v_add_nc_u32_e32 v5, 0x1000, v3
	ds_load_2addr_b32 v[1:2], v3 offset1:32
	s_wait_loadcnt 0x0
	ds_load_2addr_b32 v[3:4], v6 offset0:64 offset1:65
	ds_load_b32 v7, v6 offset:4608
	ds_load_2addr_b32 v[5:6], v5 offset0:64 offset1:96
	scratch_load_b64 v[11:12], off, off offset:216 ; 8-byte Folded Reload
	s_wait_dscnt 0x2
	v_fma_mix_f32 v8, v3, v1, 0 op_sel_hi:[0,1,0]
	v_fma_mix_f32 v1, v3, v1, 0 op_sel:[0,1,0] op_sel_hi:[0,1,0]
	v_fma_mix_f32 v9, v3, v2, 0 op_sel_hi:[0,1,0]
	v_fma_mix_f32 v2, v3, v2, 0 op_sel:[0,1,0] op_sel_hi:[0,1,0]
	s_wait_dscnt 0x0
	v_fma_mix_f32 v3, v7, v5, v8 op_sel_hi:[0,1,0]
	v_fma_mix_f32 v5, v7, v5, v1 op_sel:[0,1,0] op_sel_hi:[0,1,0]
	v_fma_mix_f32 v8, v7, v6, v9 op_sel_hi:[0,1,0]
	v_fma_mix_f32 v9, v7, v6, v2 op_sel:[0,1,0] op_sel_hi:[0,1,0]
	s_delay_alu instid0(VALU_DEP_4) | instskip(NEXT) | instid1(VALU_DEP_4)
	v_div_scale_f32 v2, null, v4, v4, v3
	v_div_scale_f32 v6, null, v4, v4, v5
	s_delay_alu instid0(VALU_DEP_4) | instskip(NEXT) | instid1(VALU_DEP_4)
	v_div_scale_f32 v7, null, v4, v4, v8
	v_div_scale_f32 v10, null, v4, v4, v9
	v_div_scale_f32 v15, vcc_lo, v3, v4, v3
	s_delay_alu instid0(VALU_DEP_3) | instskip(NEXT) | instid1(VALU_DEP_2)
	v_rcp_f32_e32 v13, v7
	v_rcp_f32_e32 v14, v10
	v_div_scale_f32 v16, s4, v5, v4, v5
	v_div_scale_f32 v17, s5, v8, v4, v8
	;; [unrolled: 1-line block ×3, first 2 shown]
	s_delay_alu instid0(TRANS32_DEP_2) | instskip(NEXT) | instid1(TRANS32_DEP_1)
	v_fma_f32 v19, -v7, v13, 1.0
	v_fma_f32 v20, -v10, v14, 1.0
	s_delay_alu instid0(VALU_DEP_1) | instskip(NEXT) | instid1(VALU_DEP_1)
	v_dual_fmac_f32 v14, v20, v14 :: v_dual_fmac_f32 v13, v19, v13
	v_mul_f32_e32 v22, v21, v14
	s_delay_alu instid0(VALU_DEP_1) | instskip(NEXT) | instid1(VALU_DEP_1)
	v_fma_f32 v26, -v10, v22, v21
	v_fmac_f32_e32 v22, v26, v14
	s_delay_alu instid0(VALU_DEP_1) | instskip(SKIP_4) | instid1(VALU_DEP_1)
	v_fma_f32 v10, -v10, v22, v21
	s_wait_loadcnt 0x0
	v_mad_co_u64_u32 v[0:1], null, v0, s25, v[11:12]
	v_rcp_f32_e32 v11, v2
	v_rcp_f32_e32 v12, v6
	v_lshl_add_u32 v0, v0, 6, v96
	s_delay_alu instid0(TRANS32_DEP_2) | instskip(NEXT) | instid1(TRANS32_DEP_1)
	v_fma_f32 v1, -v2, v11, 1.0
	v_fma_f32 v18, -v6, v12, 1.0
	s_delay_alu instid0(VALU_DEP_1) | instskip(NEXT) | instid1(VALU_DEP_4)
	v_dual_fmac_f32 v11, v1, v11 :: v_dual_fmac_f32 v12, v18, v12
	v_ashrrev_i32_e32 v1, 31, v0
	s_delay_alu instid0(VALU_DEP_2) | instskip(NEXT) | instid1(VALU_DEP_2)
	v_dual_mul_f32 v18, v15, v11 :: v_dual_mul_f32 v19, v16, v12
	v_lshlrev_b64_e32 v[0:1], 3, v[0:1]
	s_delay_alu instid0(VALU_DEP_2) | instskip(NEXT) | instid1(VALU_DEP_3)
	v_fma_f32 v23, -v2, v18, v15
	v_fma_f32 v24, -v6, v19, v16
	v_mul_f32_e32 v20, v17, v13
	s_delay_alu instid0(VALU_DEP_2) | instskip(NEXT) | instid1(VALU_DEP_2)
	v_dual_fmac_f32 v18, v23, v11 :: v_dual_fmac_f32 v19, v24, v12
	v_fma_f32 v25, -v7, v20, v17
	s_delay_alu instid0(VALU_DEP_2) | instskip(NEXT) | instid1(VALU_DEP_3)
	v_fma_f32 v2, -v2, v18, v15
	v_fma_f32 v6, -v6, v19, v16
	s_delay_alu instid0(VALU_DEP_3) | instskip(SKIP_1) | instid1(VALU_DEP_3)
	v_fmac_f32_e32 v20, v25, v13
	s_wait_alu 0xfffd
	v_div_fmas_f32 v2, v2, v11, v18
	s_mov_b32 vcc_lo, s4
	s_delay_alu instid0(VALU_DEP_2)
	v_fma_f32 v7, -v7, v20, v17
	s_wait_alu 0xfffe
	v_div_fmas_f32 v6, v6, v12, v19
	s_mov_b32 vcc_lo, s5
	v_div_fixup_f32 v2, v2, v4, v3
	s_wait_alu 0xfffe
	v_div_fmas_f32 v7, v7, v13, v20
	s_mov_b32 vcc_lo, s6
	v_div_fixup_f32 v3, v6, v4, v5
	s_wait_alu 0xfffe
	v_div_fmas_f32 v10, v10, v14, v22
	v_add_co_u32 v5, vcc_lo, s72, v0
	s_wait_alu 0xfffd
	v_add_co_ci_u32_e64 v6, null, s73, v1, vcc_lo
	v_mov_b32_e32 v1, 0
	v_div_fixup_f32 v7, v7, v4, v8
	v_div_fixup_f32 v8, v10, v4, v9
	s_clause 0x1
	global_store_b64 v[5:6], v[2:3], off
	global_store_b64 v[5:6], v[7:8], off offset:256
.LBB24_238:                             ;   in Loop: Header=BB24_12 Depth=1
	s_wait_alu 0xfffe
	s_or_b32 exec_lo, exec_lo, s42
	s_mov_b32 s4, -1
	s_mov_b32 s5, exec_lo
	v_cmpx_gt_i32_e32 0x47, v1
; %bb.239:                              ;   in Loop: Header=BB24_12 Depth=1
	v_cmp_eq_u32_e32 vcc_lo, 0, v1
	s_or_not1_b32 s4, vcc_lo, exec_lo
; %bb.240:                              ;   in Loop: Header=BB24_12 Depth=1
	s_wait_alu 0xfffe
	s_or_b32 exec_lo, exec_lo, s5
	s_delay_alu instid0(SALU_CYCLE_1)
	s_and_b32 exec_lo, exec_lo, s4
	s_cbranch_execz .LBB24_10
; %bb.241:                              ;   in Loop: Header=BB24_12 Depth=1
	scratch_load_b32 v0, off, off offset:240 ; 4-byte Folded Reload
	s_wait_loadcnt 0x0
	v_dual_mov_b32 v1, 0x47 :: v_dual_add_nc_u32 v0, s94, v0
	s_delay_alu instid0(VALU_DEP_1)
	v_cmp_gt_i32_e32 vcc_lo, s24, v0
	s_and_b32 s4, vcc_lo, s3
	s_wait_alu 0xfffe
	s_and_saveexec_b32 s42, s4
	s_cbranch_execz .LBB24_243
; %bb.242:                              ;   in Loop: Header=BB24_12 Depth=1
	s_clause 0x1
	scratch_load_b32 v3, off, off offset:260
	scratch_load_b32 v6, off, off offset:256
	s_wait_loadcnt 0x1
	v_add_nc_u32_e32 v5, 0x1000, v3
	ds_load_2addr_b32 v[1:2], v3 offset1:32
	s_wait_loadcnt 0x0
	ds_load_2addr_b32 v[3:4], v6 offset0:64 offset1:65
	ds_load_b32 v7, v6 offset:4608
	ds_load_2addr_b32 v[5:6], v5 offset0:64 offset1:96
	s_wait_dscnt 0x2
	v_fma_mix_f32 v8, v3, v1, 0 op_sel_hi:[0,1,0]
	v_fma_mix_f32 v1, v3, v1, 0 op_sel:[0,1,0] op_sel_hi:[0,1,0]
	v_fma_mix_f32 v9, v3, v2, 0 op_sel_hi:[0,1,0]
	v_fma_mix_f32 v2, v3, v2, 0 op_sel:[0,1,0] op_sel_hi:[0,1,0]
	s_wait_dscnt 0x0
	v_fma_mix_f32 v3, v7, v5, v8 op_sel_hi:[0,1,0]
	v_fma_mix_f32 v5, v7, v5, v1 op_sel:[0,1,0] op_sel_hi:[0,1,0]
	v_fma_mix_f32 v8, v7, v6, v9 op_sel_hi:[0,1,0]
	v_fma_mix_f32 v9, v7, v6, v2 op_sel:[0,1,0] op_sel_hi:[0,1,0]
	v_mad_co_u64_u32 v[0:1], null, v0, s25, v[108:109]
	v_div_scale_f32 v2, null, v4, v4, v3
	v_div_scale_f32 v6, null, v4, v4, v5
	;; [unrolled: 1-line block ×4, first 2 shown]
	s_delay_alu instid0(VALU_DEP_4) | instskip(NEXT) | instid1(VALU_DEP_3)
	v_rcp_f32_e32 v11, v2
	v_rcp_f32_e32 v12, v6
	s_delay_alu instid0(VALU_DEP_2) | instskip(NEXT) | instid1(VALU_DEP_1)
	v_rcp_f32_e32 v13, v7
	v_rcp_f32_e32 v14, v10
	v_div_scale_f32 v15, vcc_lo, v3, v4, v3
	v_div_scale_f32 v16, s4, v5, v4, v5
	v_div_scale_f32 v17, s5, v8, v4, v8
	v_fma_f32 v1, -v2, v11, 1.0
	s_delay_alu instid0(TRANS32_DEP_3) | instskip(NEXT) | instid1(TRANS32_DEP_2)
	v_fma_f32 v18, -v6, v12, 1.0
	v_fma_f32 v19, -v7, v13, 1.0
	s_delay_alu instid0(TRANS32_DEP_1) | instskip(SKIP_1) | instid1(VALU_DEP_4)
	v_fma_f32 v20, -v10, v14, 1.0
	v_div_scale_f32 v21, s6, v9, v4, v9
	v_dual_fmac_f32 v11, v1, v11 :: v_dual_fmac_f32 v12, v18, v12
	s_delay_alu instid0(VALU_DEP_3) | instskip(SKIP_1) | instid1(VALU_DEP_3)
	v_dual_fmac_f32 v14, v20, v14 :: v_dual_fmac_f32 v13, v19, v13
	v_lshl_add_u32 v0, v0, 6, v96
	v_dual_mul_f32 v18, v15, v11 :: v_dual_mul_f32 v19, v16, v12
	s_delay_alu instid0(VALU_DEP_3) | instskip(NEXT) | instid1(VALU_DEP_3)
	v_mul_f32_e32 v22, v21, v14
	v_ashrrev_i32_e32 v1, 31, v0
	s_delay_alu instid0(VALU_DEP_3) | instskip(NEXT) | instid1(VALU_DEP_4)
	v_fma_f32 v23, -v2, v18, v15
	v_fma_f32 v24, -v6, v19, v16
	v_mul_f32_e32 v20, v17, v13
	v_fma_f32 v26, -v10, v22, v21
	v_lshlrev_b64_e32 v[0:1], 3, v[0:1]
	s_delay_alu instid0(VALU_DEP_4) | instskip(NEXT) | instid1(VALU_DEP_4)
	v_dual_fmac_f32 v18, v23, v11 :: v_dual_fmac_f32 v19, v24, v12
	v_fma_f32 v25, -v7, v20, v17
	s_delay_alu instid0(VALU_DEP_4) | instskip(NEXT) | instid1(VALU_DEP_3)
	v_fmac_f32_e32 v22, v26, v14
	v_fma_f32 v2, -v2, v18, v15
	s_delay_alu instid0(VALU_DEP_4) | instskip(NEXT) | instid1(VALU_DEP_4)
	v_fma_f32 v6, -v6, v19, v16
	v_fmac_f32_e32 v20, v25, v13
	s_delay_alu instid0(VALU_DEP_4)
	v_fma_f32 v10, -v10, v22, v21
	s_wait_alu 0xfffd
	v_div_fmas_f32 v2, v2, v11, v18
	s_mov_b32 vcc_lo, s4
	v_fma_f32 v7, -v7, v20, v17
	s_wait_alu 0xfffe
	v_div_fmas_f32 v6, v6, v12, v19
	s_mov_b32 vcc_lo, s5
	v_div_fixup_f32 v2, v2, v4, v3
	s_wait_alu 0xfffe
	v_div_fmas_f32 v7, v7, v13, v20
	s_mov_b32 vcc_lo, s6
	v_div_fixup_f32 v3, v6, v4, v5
	s_wait_alu 0xfffe
	v_div_fmas_f32 v10, v10, v14, v22
	v_add_co_u32 v5, vcc_lo, s72, v0
	s_wait_alu 0xfffd
	v_add_co_ci_u32_e64 v6, null, s73, v1, vcc_lo
	v_mov_b32_e32 v1, 0
	v_div_fixup_f32 v7, v7, v4, v8
	v_div_fixup_f32 v8, v10, v4, v9
	s_clause 0x1
	global_store_b64 v[5:6], v[2:3], off
	global_store_b64 v[5:6], v[7:8], off offset:256
.LBB24_243:                             ;   in Loop: Header=BB24_12 Depth=1
	s_wait_alu 0xfffe
	s_or_b32 exec_lo, exec_lo, s42
	s_mov_b32 s4, -1
	s_mov_b32 s5, exec_lo
	v_cmpx_gt_i32_e32 0x47, v1
; %bb.244:                              ;   in Loop: Header=BB24_12 Depth=1
	v_cmp_eq_u32_e32 vcc_lo, 0, v1
	s_or_not1_b32 s4, vcc_lo, exec_lo
; %bb.245:                              ;   in Loop: Header=BB24_12 Depth=1
	s_wait_alu 0xfffe
	s_or_b32 exec_lo, exec_lo, s5
	s_delay_alu instid0(SALU_CYCLE_1)
	s_and_b32 exec_lo, exec_lo, s4
	s_cbranch_execz .LBB24_10
; %bb.246:                              ;   in Loop: Header=BB24_12 Depth=1
	s_clause 0x1
	scratch_load_b32 v0, off, off offset:264
	scratch_load_b64 v[1:2], off, off offset:248
	s_wait_loadcnt 0x1
	v_add_nc_u32_e32 v0, s94, v0
	s_wait_loadcnt 0x0
	v_or_b32_e32 v1, s41, v1
	s_delay_alu instid0(VALU_DEP_1)
	v_cmp_gt_i32_e64 s4, s33, v1
	v_mov_b32_e32 v1, 0x47
	v_cmp_gt_i32_e32 vcc_lo, s24, v0
	s_and_b32 s4, vcc_lo, s4
	s_wait_alu 0xfffe
	s_and_saveexec_b32 s42, s4
	s_cbranch_execz .LBB24_248
; %bb.247:                              ;   in Loop: Header=BB24_12 Depth=1
	s_clause 0x1
	scratch_load_b32 v3, off, off offset:276
	scratch_load_b32 v6, off, off offset:268
	s_wait_loadcnt 0x1
	v_add_nc_u32_e32 v5, 0x1000, v3
	ds_load_2addr_b32 v[1:2], v3 offset1:32
	s_wait_loadcnt 0x0
	ds_load_2addr_b32 v[3:4], v6 offset0:64 offset1:65
	ds_load_b32 v7, v6 offset:4608
	ds_load_2addr_b32 v[5:6], v5 offset0:64 offset1:96
	scratch_load_b64 v[11:12], off, off offset:248 ; 8-byte Folded Reload
	s_wait_dscnt 0x2
	v_fma_mix_f32 v8, v3, v1, 0 op_sel_hi:[0,1,0]
	v_fma_mix_f32 v1, v3, v1, 0 op_sel:[0,1,0] op_sel_hi:[0,1,0]
	v_fma_mix_f32 v9, v3, v2, 0 op_sel_hi:[0,1,0]
	v_fma_mix_f32 v2, v3, v2, 0 op_sel:[0,1,0] op_sel_hi:[0,1,0]
	s_wait_dscnt 0x0
	v_fma_mix_f32 v3, v7, v5, v8 op_sel_hi:[0,1,0]
	v_fma_mix_f32 v5, v7, v5, v1 op_sel:[0,1,0] op_sel_hi:[0,1,0]
	v_fma_mix_f32 v8, v7, v6, v9 op_sel_hi:[0,1,0]
	v_fma_mix_f32 v9, v7, v6, v2 op_sel:[0,1,0] op_sel_hi:[0,1,0]
	s_delay_alu instid0(VALU_DEP_4) | instskip(NEXT) | instid1(VALU_DEP_4)
	v_div_scale_f32 v2, null, v4, v4, v3
	v_div_scale_f32 v6, null, v4, v4, v5
	s_delay_alu instid0(VALU_DEP_4) | instskip(NEXT) | instid1(VALU_DEP_4)
	v_div_scale_f32 v7, null, v4, v4, v8
	v_div_scale_f32 v10, null, v4, v4, v9
	v_div_scale_f32 v15, vcc_lo, v3, v4, v3
	s_delay_alu instid0(VALU_DEP_3) | instskip(NEXT) | instid1(VALU_DEP_2)
	v_rcp_f32_e32 v13, v7
	v_rcp_f32_e32 v14, v10
	v_div_scale_f32 v16, s4, v5, v4, v5
	v_div_scale_f32 v17, s5, v8, v4, v8
	;; [unrolled: 1-line block ×3, first 2 shown]
	s_delay_alu instid0(TRANS32_DEP_2) | instskip(NEXT) | instid1(TRANS32_DEP_1)
	v_fma_f32 v19, -v7, v13, 1.0
	v_fma_f32 v20, -v10, v14, 1.0
	s_delay_alu instid0(VALU_DEP_1) | instskip(NEXT) | instid1(VALU_DEP_1)
	v_dual_fmac_f32 v14, v20, v14 :: v_dual_fmac_f32 v13, v19, v13
	v_mul_f32_e32 v22, v21, v14
	s_delay_alu instid0(VALU_DEP_1) | instskip(NEXT) | instid1(VALU_DEP_1)
	v_fma_f32 v26, -v10, v22, v21
	v_fmac_f32_e32 v22, v26, v14
	s_delay_alu instid0(VALU_DEP_1) | instskip(SKIP_4) | instid1(VALU_DEP_1)
	v_fma_f32 v10, -v10, v22, v21
	s_wait_loadcnt 0x0
	v_mad_co_u64_u32 v[0:1], null, v0, s25, v[11:12]
	v_rcp_f32_e32 v11, v2
	v_rcp_f32_e32 v12, v6
	v_lshl_add_u32 v0, v0, 6, v96
	s_delay_alu instid0(TRANS32_DEP_2) | instskip(NEXT) | instid1(TRANS32_DEP_1)
	v_fma_f32 v1, -v2, v11, 1.0
	v_fma_f32 v18, -v6, v12, 1.0
	s_delay_alu instid0(VALU_DEP_1) | instskip(NEXT) | instid1(VALU_DEP_4)
	v_dual_fmac_f32 v11, v1, v11 :: v_dual_fmac_f32 v12, v18, v12
	v_ashrrev_i32_e32 v1, 31, v0
	s_delay_alu instid0(VALU_DEP_2) | instskip(NEXT) | instid1(VALU_DEP_2)
	v_dual_mul_f32 v18, v15, v11 :: v_dual_mul_f32 v19, v16, v12
	v_lshlrev_b64_e32 v[0:1], 3, v[0:1]
	s_delay_alu instid0(VALU_DEP_2) | instskip(NEXT) | instid1(VALU_DEP_3)
	v_fma_f32 v23, -v2, v18, v15
	v_fma_f32 v24, -v6, v19, v16
	v_mul_f32_e32 v20, v17, v13
	s_delay_alu instid0(VALU_DEP_2) | instskip(NEXT) | instid1(VALU_DEP_2)
	v_dual_fmac_f32 v18, v23, v11 :: v_dual_fmac_f32 v19, v24, v12
	v_fma_f32 v25, -v7, v20, v17
	s_delay_alu instid0(VALU_DEP_2) | instskip(NEXT) | instid1(VALU_DEP_3)
	v_fma_f32 v2, -v2, v18, v15
	v_fma_f32 v6, -v6, v19, v16
	s_delay_alu instid0(VALU_DEP_3) | instskip(SKIP_1) | instid1(VALU_DEP_3)
	v_fmac_f32_e32 v20, v25, v13
	s_wait_alu 0xfffd
	v_div_fmas_f32 v2, v2, v11, v18
	s_mov_b32 vcc_lo, s4
	s_delay_alu instid0(VALU_DEP_2)
	v_fma_f32 v7, -v7, v20, v17
	s_wait_alu 0xfffe
	v_div_fmas_f32 v6, v6, v12, v19
	s_mov_b32 vcc_lo, s5
	v_div_fixup_f32 v2, v2, v4, v3
	s_wait_alu 0xfffe
	v_div_fmas_f32 v7, v7, v13, v20
	s_mov_b32 vcc_lo, s6
	v_div_fixup_f32 v3, v6, v4, v5
	s_wait_alu 0xfffe
	v_div_fmas_f32 v10, v10, v14, v22
	v_add_co_u32 v5, vcc_lo, s72, v0
	s_wait_alu 0xfffd
	v_add_co_ci_u32_e64 v6, null, s73, v1, vcc_lo
	v_mov_b32_e32 v1, 0
	v_div_fixup_f32 v7, v7, v4, v8
	v_div_fixup_f32 v8, v10, v4, v9
	s_clause 0x1
	global_store_b64 v[5:6], v[2:3], off
	global_store_b64 v[5:6], v[7:8], off offset:256
.LBB24_248:                             ;   in Loop: Header=BB24_12 Depth=1
	s_wait_alu 0xfffe
	s_or_b32 exec_lo, exec_lo, s42
	s_mov_b32 s4, -1
	s_mov_b32 s5, exec_lo
	v_cmpx_gt_i32_e32 0x47, v1
; %bb.249:                              ;   in Loop: Header=BB24_12 Depth=1
	v_cmp_eq_u32_e32 vcc_lo, 0, v1
	s_or_not1_b32 s4, vcc_lo, exec_lo
; %bb.250:                              ;   in Loop: Header=BB24_12 Depth=1
	s_wait_alu 0xfffe
	s_or_b32 exec_lo, exec_lo, s5
	s_delay_alu instid0(SALU_CYCLE_1)
	s_and_b32 exec_lo, exec_lo, s4
	s_cbranch_execz .LBB24_10
; %bb.251:                              ;   in Loop: Header=BB24_12 Depth=1
	scratch_load_b32 v0, off, off offset:272 ; 4-byte Folded Reload
	s_wait_loadcnt 0x0
	v_dual_mov_b32 v1, 0x47 :: v_dual_add_nc_u32 v0, s94, v0
	s_delay_alu instid0(VALU_DEP_1)
	v_cmp_gt_i32_e32 vcc_lo, s24, v0
	s_and_b32 s4, vcc_lo, s3
	s_wait_alu 0xfffe
	s_and_saveexec_b32 s42, s4
	s_cbranch_execz .LBB24_253
; %bb.252:                              ;   in Loop: Header=BB24_12 Depth=1
	s_clause 0x1
	scratch_load_b32 v3, off, off offset:292
	scratch_load_b32 v6, off, off offset:288
	s_wait_loadcnt 0x1
	v_add_nc_u32_e32 v5, 0x1000, v3
	ds_load_2addr_b32 v[1:2], v3 offset1:32
	s_wait_loadcnt 0x0
	ds_load_2addr_b32 v[3:4], v6 offset0:64 offset1:65
	ds_load_b32 v7, v6 offset:4608
	ds_load_2addr_b32 v[5:6], v5 offset0:64 offset1:96
	s_wait_dscnt 0x2
	v_fma_mix_f32 v8, v3, v1, 0 op_sel_hi:[0,1,0]
	v_fma_mix_f32 v1, v3, v1, 0 op_sel:[0,1,0] op_sel_hi:[0,1,0]
	v_fma_mix_f32 v9, v3, v2, 0 op_sel_hi:[0,1,0]
	v_fma_mix_f32 v2, v3, v2, 0 op_sel:[0,1,0] op_sel_hi:[0,1,0]
	s_wait_dscnt 0x0
	v_fma_mix_f32 v3, v7, v5, v8 op_sel_hi:[0,1,0]
	v_fma_mix_f32 v5, v7, v5, v1 op_sel:[0,1,0] op_sel_hi:[0,1,0]
	v_fma_mix_f32 v8, v7, v6, v9 op_sel_hi:[0,1,0]
	v_fma_mix_f32 v9, v7, v6, v2 op_sel:[0,1,0] op_sel_hi:[0,1,0]
	v_mad_co_u64_u32 v[0:1], null, v0, s25, v[108:109]
	v_div_scale_f32 v2, null, v4, v4, v3
	v_div_scale_f32 v6, null, v4, v4, v5
	;; [unrolled: 1-line block ×4, first 2 shown]
	s_delay_alu instid0(VALU_DEP_4) | instskip(NEXT) | instid1(VALU_DEP_3)
	v_rcp_f32_e32 v11, v2
	v_rcp_f32_e32 v12, v6
	s_delay_alu instid0(VALU_DEP_2) | instskip(NEXT) | instid1(VALU_DEP_1)
	v_rcp_f32_e32 v13, v7
	v_rcp_f32_e32 v14, v10
	v_div_scale_f32 v15, vcc_lo, v3, v4, v3
	v_div_scale_f32 v16, s4, v5, v4, v5
	v_div_scale_f32 v17, s5, v8, v4, v8
	v_fma_f32 v1, -v2, v11, 1.0
	s_delay_alu instid0(TRANS32_DEP_3) | instskip(NEXT) | instid1(TRANS32_DEP_2)
	v_fma_f32 v18, -v6, v12, 1.0
	v_fma_f32 v19, -v7, v13, 1.0
	s_delay_alu instid0(TRANS32_DEP_1) | instskip(SKIP_1) | instid1(VALU_DEP_4)
	v_fma_f32 v20, -v10, v14, 1.0
	v_div_scale_f32 v21, s6, v9, v4, v9
	v_dual_fmac_f32 v11, v1, v11 :: v_dual_fmac_f32 v12, v18, v12
	s_delay_alu instid0(VALU_DEP_3) | instskip(SKIP_1) | instid1(VALU_DEP_3)
	v_dual_fmac_f32 v14, v20, v14 :: v_dual_fmac_f32 v13, v19, v13
	v_lshl_add_u32 v0, v0, 6, v96
	v_dual_mul_f32 v18, v15, v11 :: v_dual_mul_f32 v19, v16, v12
	s_delay_alu instid0(VALU_DEP_3) | instskip(NEXT) | instid1(VALU_DEP_3)
	v_mul_f32_e32 v22, v21, v14
	v_ashrrev_i32_e32 v1, 31, v0
	s_delay_alu instid0(VALU_DEP_3) | instskip(NEXT) | instid1(VALU_DEP_4)
	v_fma_f32 v23, -v2, v18, v15
	v_fma_f32 v24, -v6, v19, v16
	v_mul_f32_e32 v20, v17, v13
	v_fma_f32 v26, -v10, v22, v21
	v_lshlrev_b64_e32 v[0:1], 3, v[0:1]
	s_delay_alu instid0(VALU_DEP_4) | instskip(NEXT) | instid1(VALU_DEP_4)
	v_dual_fmac_f32 v18, v23, v11 :: v_dual_fmac_f32 v19, v24, v12
	v_fma_f32 v25, -v7, v20, v17
	s_delay_alu instid0(VALU_DEP_4) | instskip(NEXT) | instid1(VALU_DEP_3)
	v_fmac_f32_e32 v22, v26, v14
	v_fma_f32 v2, -v2, v18, v15
	s_delay_alu instid0(VALU_DEP_4) | instskip(NEXT) | instid1(VALU_DEP_4)
	v_fma_f32 v6, -v6, v19, v16
	v_fmac_f32_e32 v20, v25, v13
	s_delay_alu instid0(VALU_DEP_4)
	v_fma_f32 v10, -v10, v22, v21
	s_wait_alu 0xfffd
	v_div_fmas_f32 v2, v2, v11, v18
	s_mov_b32 vcc_lo, s4
	v_fma_f32 v7, -v7, v20, v17
	s_wait_alu 0xfffe
	v_div_fmas_f32 v6, v6, v12, v19
	s_mov_b32 vcc_lo, s5
	v_div_fixup_f32 v2, v2, v4, v3
	s_wait_alu 0xfffe
	v_div_fmas_f32 v7, v7, v13, v20
	s_mov_b32 vcc_lo, s6
	v_div_fixup_f32 v3, v6, v4, v5
	s_wait_alu 0xfffe
	v_div_fmas_f32 v10, v10, v14, v22
	v_add_co_u32 v5, vcc_lo, s72, v0
	s_wait_alu 0xfffd
	v_add_co_ci_u32_e64 v6, null, s73, v1, vcc_lo
	v_mov_b32_e32 v1, 0
	v_div_fixup_f32 v7, v7, v4, v8
	v_div_fixup_f32 v8, v10, v4, v9
	s_clause 0x1
	global_store_b64 v[5:6], v[2:3], off
	global_store_b64 v[5:6], v[7:8], off offset:256
.LBB24_253:                             ;   in Loop: Header=BB24_12 Depth=1
	s_wait_alu 0xfffe
	s_or_b32 exec_lo, exec_lo, s42
	s_mov_b32 s4, -1
	s_mov_b32 s5, exec_lo
	v_cmpx_gt_i32_e32 0x47, v1
; %bb.254:                              ;   in Loop: Header=BB24_12 Depth=1
	v_cmp_eq_u32_e32 vcc_lo, 0, v1
	s_or_not1_b32 s4, vcc_lo, exec_lo
; %bb.255:                              ;   in Loop: Header=BB24_12 Depth=1
	s_wait_alu 0xfffe
	s_or_b32 exec_lo, exec_lo, s5
	s_delay_alu instid0(SALU_CYCLE_1)
	s_and_b32 exec_lo, exec_lo, s4
	s_cbranch_execz .LBB24_10
; %bb.256:                              ;   in Loop: Header=BB24_12 Depth=1
	s_clause 0x1
	scratch_load_b32 v0, off, off offset:296
	scratch_load_b64 v[1:2], off, off offset:280
	s_wait_loadcnt 0x1
	v_add_nc_u32_e32 v0, s94, v0
	s_wait_loadcnt 0x0
	v_or_b32_e32 v1, s41, v1
	s_delay_alu instid0(VALU_DEP_1)
	v_cmp_gt_i32_e64 s4, s33, v1
	v_mov_b32_e32 v1, 0x47
	v_cmp_gt_i32_e32 vcc_lo, s24, v0
	s_and_b32 s4, vcc_lo, s4
	s_wait_alu 0xfffe
	s_and_saveexec_b32 s42, s4
	s_cbranch_execz .LBB24_258
; %bb.257:                              ;   in Loop: Header=BB24_12 Depth=1
	s_clause 0x1
	scratch_load_b32 v3, off, off offset:308
	scratch_load_b32 v6, off, off offset:300
	s_wait_loadcnt 0x1
	v_add_nc_u32_e32 v5, 0x1000, v3
	ds_load_2addr_b32 v[1:2], v3 offset1:32
	s_wait_loadcnt 0x0
	ds_load_2addr_b32 v[3:4], v6 offset0:64 offset1:65
	ds_load_b32 v7, v6 offset:4608
	ds_load_2addr_b32 v[5:6], v5 offset0:64 offset1:96
	scratch_load_b64 v[11:12], off, off offset:280 ; 8-byte Folded Reload
	s_wait_dscnt 0x2
	v_fma_mix_f32 v8, v3, v1, 0 op_sel_hi:[0,1,0]
	v_fma_mix_f32 v1, v3, v1, 0 op_sel:[0,1,0] op_sel_hi:[0,1,0]
	v_fma_mix_f32 v9, v3, v2, 0 op_sel_hi:[0,1,0]
	v_fma_mix_f32 v2, v3, v2, 0 op_sel:[0,1,0] op_sel_hi:[0,1,0]
	s_wait_dscnt 0x0
	v_fma_mix_f32 v3, v7, v5, v8 op_sel_hi:[0,1,0]
	v_fma_mix_f32 v5, v7, v5, v1 op_sel:[0,1,0] op_sel_hi:[0,1,0]
	v_fma_mix_f32 v8, v7, v6, v9 op_sel_hi:[0,1,0]
	v_fma_mix_f32 v9, v7, v6, v2 op_sel:[0,1,0] op_sel_hi:[0,1,0]
	s_delay_alu instid0(VALU_DEP_4) | instskip(NEXT) | instid1(VALU_DEP_4)
	v_div_scale_f32 v2, null, v4, v4, v3
	v_div_scale_f32 v6, null, v4, v4, v5
	s_delay_alu instid0(VALU_DEP_4) | instskip(NEXT) | instid1(VALU_DEP_4)
	v_div_scale_f32 v7, null, v4, v4, v8
	v_div_scale_f32 v10, null, v4, v4, v9
	v_div_scale_f32 v15, vcc_lo, v3, v4, v3
	s_delay_alu instid0(VALU_DEP_3) | instskip(NEXT) | instid1(VALU_DEP_2)
	v_rcp_f32_e32 v13, v7
	v_rcp_f32_e32 v14, v10
	v_div_scale_f32 v16, s4, v5, v4, v5
	v_div_scale_f32 v17, s5, v8, v4, v8
	;; [unrolled: 1-line block ×3, first 2 shown]
	s_delay_alu instid0(TRANS32_DEP_2) | instskip(NEXT) | instid1(TRANS32_DEP_1)
	v_fma_f32 v19, -v7, v13, 1.0
	v_fma_f32 v20, -v10, v14, 1.0
	s_delay_alu instid0(VALU_DEP_1) | instskip(NEXT) | instid1(VALU_DEP_1)
	v_dual_fmac_f32 v14, v20, v14 :: v_dual_fmac_f32 v13, v19, v13
	v_mul_f32_e32 v22, v21, v14
	s_delay_alu instid0(VALU_DEP_1) | instskip(NEXT) | instid1(VALU_DEP_1)
	v_fma_f32 v26, -v10, v22, v21
	v_fmac_f32_e32 v22, v26, v14
	s_delay_alu instid0(VALU_DEP_1) | instskip(SKIP_4) | instid1(VALU_DEP_1)
	v_fma_f32 v10, -v10, v22, v21
	s_wait_loadcnt 0x0
	v_mad_co_u64_u32 v[0:1], null, v0, s25, v[11:12]
	v_rcp_f32_e32 v11, v2
	v_rcp_f32_e32 v12, v6
	v_lshl_add_u32 v0, v0, 6, v96
	s_delay_alu instid0(TRANS32_DEP_2) | instskip(NEXT) | instid1(TRANS32_DEP_1)
	v_fma_f32 v1, -v2, v11, 1.0
	v_fma_f32 v18, -v6, v12, 1.0
	s_delay_alu instid0(VALU_DEP_1) | instskip(NEXT) | instid1(VALU_DEP_4)
	v_dual_fmac_f32 v11, v1, v11 :: v_dual_fmac_f32 v12, v18, v12
	v_ashrrev_i32_e32 v1, 31, v0
	s_delay_alu instid0(VALU_DEP_2) | instskip(NEXT) | instid1(VALU_DEP_2)
	v_dual_mul_f32 v18, v15, v11 :: v_dual_mul_f32 v19, v16, v12
	v_lshlrev_b64_e32 v[0:1], 3, v[0:1]
	s_delay_alu instid0(VALU_DEP_2) | instskip(NEXT) | instid1(VALU_DEP_3)
	v_fma_f32 v23, -v2, v18, v15
	v_fma_f32 v24, -v6, v19, v16
	v_mul_f32_e32 v20, v17, v13
	s_delay_alu instid0(VALU_DEP_2) | instskip(NEXT) | instid1(VALU_DEP_2)
	v_dual_fmac_f32 v18, v23, v11 :: v_dual_fmac_f32 v19, v24, v12
	v_fma_f32 v25, -v7, v20, v17
	s_delay_alu instid0(VALU_DEP_2) | instskip(NEXT) | instid1(VALU_DEP_3)
	v_fma_f32 v2, -v2, v18, v15
	v_fma_f32 v6, -v6, v19, v16
	s_delay_alu instid0(VALU_DEP_3) | instskip(SKIP_1) | instid1(VALU_DEP_3)
	v_fmac_f32_e32 v20, v25, v13
	s_wait_alu 0xfffd
	v_div_fmas_f32 v2, v2, v11, v18
	s_mov_b32 vcc_lo, s4
	s_delay_alu instid0(VALU_DEP_2)
	v_fma_f32 v7, -v7, v20, v17
	s_wait_alu 0xfffe
	v_div_fmas_f32 v6, v6, v12, v19
	s_mov_b32 vcc_lo, s5
	v_div_fixup_f32 v2, v2, v4, v3
	s_wait_alu 0xfffe
	v_div_fmas_f32 v7, v7, v13, v20
	s_mov_b32 vcc_lo, s6
	v_div_fixup_f32 v3, v6, v4, v5
	s_wait_alu 0xfffe
	v_div_fmas_f32 v10, v10, v14, v22
	v_add_co_u32 v5, vcc_lo, s72, v0
	s_wait_alu 0xfffd
	v_add_co_ci_u32_e64 v6, null, s73, v1, vcc_lo
	v_mov_b32_e32 v1, 0
	v_div_fixup_f32 v7, v7, v4, v8
	v_div_fixup_f32 v8, v10, v4, v9
	s_clause 0x1
	global_store_b64 v[5:6], v[2:3], off
	global_store_b64 v[5:6], v[7:8], off offset:256
.LBB24_258:                             ;   in Loop: Header=BB24_12 Depth=1
	s_wait_alu 0xfffe
	s_or_b32 exec_lo, exec_lo, s42
	s_mov_b32 s4, -1
	s_mov_b32 s5, exec_lo
	v_cmpx_gt_i32_e32 0x47, v1
; %bb.259:                              ;   in Loop: Header=BB24_12 Depth=1
	v_cmp_eq_u32_e32 vcc_lo, 0, v1
	s_or_not1_b32 s4, vcc_lo, exec_lo
; %bb.260:                              ;   in Loop: Header=BB24_12 Depth=1
	s_wait_alu 0xfffe
	s_or_b32 exec_lo, exec_lo, s5
	s_delay_alu instid0(SALU_CYCLE_1)
	s_and_b32 exec_lo, exec_lo, s4
	s_cbranch_execz .LBB24_10
; %bb.261:                              ;   in Loop: Header=BB24_12 Depth=1
	scratch_load_b32 v0, off, off offset:304 ; 4-byte Folded Reload
	s_wait_loadcnt 0x0
	v_dual_mov_b32 v1, 0x47 :: v_dual_add_nc_u32 v0, s94, v0
	s_delay_alu instid0(VALU_DEP_1)
	v_cmp_gt_i32_e32 vcc_lo, s24, v0
	s_and_b32 s3, vcc_lo, s3
	s_wait_alu 0xfffe
	s_and_saveexec_b32 s6, s3
	s_cbranch_execz .LBB24_263
; %bb.262:                              ;   in Loop: Header=BB24_12 Depth=1
	s_clause 0x1
	scratch_load_b32 v3, off, off offset:324
	scratch_load_b32 v6, off, off offset:320
	s_wait_loadcnt 0x1
	v_add_nc_u32_e32 v5, 0x1000, v3
	ds_load_2addr_b32 v[1:2], v3 offset1:32
	s_wait_loadcnt 0x0
	ds_load_2addr_b32 v[3:4], v6 offset0:64 offset1:65
	ds_load_b32 v7, v6 offset:4608
	ds_load_2addr_b32 v[5:6], v5 offset0:64 offset1:96
	s_wait_dscnt 0x2
	v_fma_mix_f32 v8, v3, v1, 0 op_sel_hi:[0,1,0]
	v_fma_mix_f32 v1, v3, v1, 0 op_sel:[0,1,0] op_sel_hi:[0,1,0]
	v_fma_mix_f32 v9, v3, v2, 0 op_sel_hi:[0,1,0]
	v_fma_mix_f32 v2, v3, v2, 0 op_sel:[0,1,0] op_sel_hi:[0,1,0]
	s_wait_dscnt 0x0
	v_fma_mix_f32 v3, v7, v5, v8 op_sel_hi:[0,1,0]
	v_fma_mix_f32 v5, v7, v5, v1 op_sel:[0,1,0] op_sel_hi:[0,1,0]
	v_fma_mix_f32 v8, v7, v6, v9 op_sel_hi:[0,1,0]
	v_fma_mix_f32 v9, v7, v6, v2 op_sel:[0,1,0] op_sel_hi:[0,1,0]
	v_mad_co_u64_u32 v[0:1], null, v0, s25, v[108:109]
	v_div_scale_f32 v2, null, v4, v4, v3
	v_div_scale_f32 v6, null, v4, v4, v5
	;; [unrolled: 1-line block ×4, first 2 shown]
	s_delay_alu instid0(VALU_DEP_4) | instskip(NEXT) | instid1(VALU_DEP_3)
	v_rcp_f32_e32 v11, v2
	v_rcp_f32_e32 v12, v6
	s_delay_alu instid0(VALU_DEP_2) | instskip(NEXT) | instid1(VALU_DEP_1)
	v_rcp_f32_e32 v13, v7
	v_rcp_f32_e32 v14, v10
	v_div_scale_f32 v15, vcc_lo, v3, v4, v3
	v_div_scale_f32 v16, s3, v5, v4, v5
	v_div_scale_f32 v17, s4, v8, v4, v8
	v_fma_f32 v1, -v2, v11, 1.0
	s_delay_alu instid0(TRANS32_DEP_3) | instskip(NEXT) | instid1(TRANS32_DEP_2)
	v_fma_f32 v18, -v6, v12, 1.0
	v_fma_f32 v19, -v7, v13, 1.0
	s_delay_alu instid0(TRANS32_DEP_1) | instskip(SKIP_1) | instid1(VALU_DEP_4)
	v_fma_f32 v20, -v10, v14, 1.0
	v_div_scale_f32 v21, s5, v9, v4, v9
	v_dual_fmac_f32 v11, v1, v11 :: v_dual_fmac_f32 v12, v18, v12
	s_delay_alu instid0(VALU_DEP_3) | instskip(SKIP_1) | instid1(VALU_DEP_3)
	v_dual_fmac_f32 v14, v20, v14 :: v_dual_fmac_f32 v13, v19, v13
	v_lshl_add_u32 v0, v0, 6, v96
	v_dual_mul_f32 v18, v15, v11 :: v_dual_mul_f32 v19, v16, v12
	s_delay_alu instid0(VALU_DEP_3) | instskip(NEXT) | instid1(VALU_DEP_3)
	v_mul_f32_e32 v22, v21, v14
	v_ashrrev_i32_e32 v1, 31, v0
	s_delay_alu instid0(VALU_DEP_3) | instskip(NEXT) | instid1(VALU_DEP_4)
	v_fma_f32 v23, -v2, v18, v15
	v_fma_f32 v24, -v6, v19, v16
	v_mul_f32_e32 v20, v17, v13
	v_fma_f32 v26, -v10, v22, v21
	v_lshlrev_b64_e32 v[0:1], 3, v[0:1]
	s_delay_alu instid0(VALU_DEP_4) | instskip(NEXT) | instid1(VALU_DEP_4)
	v_dual_fmac_f32 v18, v23, v11 :: v_dual_fmac_f32 v19, v24, v12
	v_fma_f32 v25, -v7, v20, v17
	s_delay_alu instid0(VALU_DEP_4) | instskip(NEXT) | instid1(VALU_DEP_3)
	v_fmac_f32_e32 v22, v26, v14
	v_fma_f32 v2, -v2, v18, v15
	s_delay_alu instid0(VALU_DEP_4) | instskip(NEXT) | instid1(VALU_DEP_4)
	v_fma_f32 v6, -v6, v19, v16
	v_fmac_f32_e32 v20, v25, v13
	s_delay_alu instid0(VALU_DEP_4)
	v_fma_f32 v10, -v10, v22, v21
	s_wait_alu 0xfffd
	v_div_fmas_f32 v2, v2, v11, v18
	s_mov_b32 vcc_lo, s3
	v_fma_f32 v7, -v7, v20, v17
	s_wait_alu 0xfffe
	v_div_fmas_f32 v6, v6, v12, v19
	s_mov_b32 vcc_lo, s4
	v_div_fixup_f32 v2, v2, v4, v3
	s_wait_alu 0xfffe
	v_div_fmas_f32 v7, v7, v13, v20
	s_mov_b32 vcc_lo, s5
	v_div_fixup_f32 v3, v6, v4, v5
	s_wait_alu 0xfffe
	v_div_fmas_f32 v10, v10, v14, v22
	v_add_co_u32 v5, vcc_lo, s72, v0
	s_wait_alu 0xfffd
	v_add_co_ci_u32_e64 v6, null, s73, v1, vcc_lo
	v_mov_b32_e32 v1, 0
	v_div_fixup_f32 v7, v7, v4, v8
	v_div_fixup_f32 v8, v10, v4, v9
	s_clause 0x1
	global_store_b64 v[5:6], v[2:3], off
	global_store_b64 v[5:6], v[7:8], off offset:256
.LBB24_263:                             ;   in Loop: Header=BB24_12 Depth=1
	s_wait_alu 0xfffe
	s_or_b32 exec_lo, exec_lo, s6
	s_mov_b32 s3, -1
	s_mov_b32 s4, exec_lo
	v_cmpx_gt_i32_e32 0x47, v1
; %bb.264:                              ;   in Loop: Header=BB24_12 Depth=1
	v_cmp_eq_u32_e32 vcc_lo, 0, v1
	s_or_not1_b32 s3, vcc_lo, exec_lo
; %bb.265:                              ;   in Loop: Header=BB24_12 Depth=1
	s_wait_alu 0xfffe
	s_or_b32 exec_lo, exec_lo, s4
	s_delay_alu instid0(SALU_CYCLE_1)
	s_and_b32 exec_lo, exec_lo, s3
	s_cbranch_execz .LBB24_10
; %bb.266:                              ;   in Loop: Header=BB24_12 Depth=1
	s_clause 0x1
	scratch_load_b32 v0, off, off offset:328
	scratch_load_b64 v[1:2], off, off offset:312
	s_wait_loadcnt 0x1
	v_add_nc_u32_e32 v0, s94, v0
	s_wait_loadcnt 0x0
	v_or_b32_e32 v1, s41, v1
	s_delay_alu instid0(VALU_DEP_2) | instskip(NEXT) | instid1(VALU_DEP_2)
	v_cmp_gt_i32_e32 vcc_lo, s24, v0
	v_cmp_gt_i32_e64 s3, s33, v1
	s_and_b32 s3, vcc_lo, s3
	s_wait_alu 0xfffe
	s_and_b32 exec_lo, exec_lo, s3
	s_cbranch_execz .LBB24_10
; %bb.267:                              ;   in Loop: Header=BB24_12 Depth=1
	s_clause 0x1
	scratch_load_b32 v3, off, off offset:336
	scratch_load_b32 v6, off, off offset:332
	s_wait_loadcnt 0x1
	v_add_nc_u32_e32 v5, 0x1000, v3
	ds_load_2addr_b32 v[1:2], v3 offset1:32
	s_wait_loadcnt 0x0
	ds_load_2addr_b32 v[3:4], v6 offset0:64 offset1:65
	ds_load_b32 v7, v6 offset:4608
	ds_load_2addr_b32 v[5:6], v5 offset0:64 offset1:96
	scratch_load_b64 v[11:12], off, off offset:312 ; 8-byte Folded Reload
	s_wait_dscnt 0x2
	v_fma_mix_f32 v8, v3, v1, 0 op_sel_hi:[0,1,0]
	v_fma_mix_f32 v1, v3, v1, 0 op_sel:[0,1,0] op_sel_hi:[0,1,0]
	v_fma_mix_f32 v9, v3, v2, 0 op_sel_hi:[0,1,0]
	v_fma_mix_f32 v2, v3, v2, 0 op_sel:[0,1,0] op_sel_hi:[0,1,0]
	s_wait_dscnt 0x0
	v_fma_mix_f32 v3, v7, v5, v8 op_sel_hi:[0,1,0]
	v_fma_mix_f32 v5, v7, v5, v1 op_sel:[0,1,0] op_sel_hi:[0,1,0]
	v_fma_mix_f32 v8, v7, v6, v9 op_sel_hi:[0,1,0]
	v_fma_mix_f32 v6, v7, v6, v2 op_sel:[0,1,0] op_sel_hi:[0,1,0]
	s_delay_alu instid0(VALU_DEP_4) | instskip(NEXT) | instid1(VALU_DEP_4)
	v_div_scale_f32 v2, null, v4, v4, v3
	v_div_scale_f32 v7, null, v4, v4, v5
	s_delay_alu instid0(VALU_DEP_4) | instskip(NEXT) | instid1(VALU_DEP_4)
	v_div_scale_f32 v9, null, v4, v4, v8
	v_div_scale_f32 v10, null, v4, v4, v6
	v_div_scale_f32 v15, vcc_lo, v3, v4, v3
	s_delay_alu instid0(VALU_DEP_3) | instskip(NEXT) | instid1(VALU_DEP_2)
	v_rcp_f32_e32 v13, v9
	v_rcp_f32_e32 v14, v10
	v_div_scale_f32 v16, s3, v5, v4, v5
	v_div_scale_f32 v17, s4, v8, v4, v8
	;; [unrolled: 1-line block ×3, first 2 shown]
	s_delay_alu instid0(TRANS32_DEP_2) | instskip(NEXT) | instid1(TRANS32_DEP_1)
	v_fma_f32 v19, -v9, v13, 1.0
	v_fma_f32 v20, -v10, v14, 1.0
	s_delay_alu instid0(VALU_DEP_1) | instskip(NEXT) | instid1(VALU_DEP_1)
	v_dual_fmac_f32 v14, v20, v14 :: v_dual_fmac_f32 v13, v19, v13
	v_mul_f32_e32 v22, v21, v14
	s_delay_alu instid0(VALU_DEP_1) | instskip(NEXT) | instid1(VALU_DEP_1)
	v_fma_f32 v26, -v10, v22, v21
	v_fmac_f32_e32 v22, v26, v14
	s_delay_alu instid0(VALU_DEP_1) | instskip(SKIP_4) | instid1(VALU_DEP_1)
	v_fma_f32 v10, -v10, v22, v21
	s_wait_loadcnt 0x0
	v_mad_co_u64_u32 v[0:1], null, v0, s25, v[11:12]
	v_rcp_f32_e32 v11, v2
	v_rcp_f32_e32 v12, v7
	v_lshl_add_u32 v0, v0, 6, v96
	s_delay_alu instid0(TRANS32_DEP_2) | instskip(NEXT) | instid1(TRANS32_DEP_1)
	v_fma_f32 v1, -v2, v11, 1.0
	v_fma_f32 v18, -v7, v12, 1.0
	s_delay_alu instid0(VALU_DEP_1) | instskip(NEXT) | instid1(VALU_DEP_4)
	v_dual_fmac_f32 v11, v1, v11 :: v_dual_fmac_f32 v12, v18, v12
	v_ashrrev_i32_e32 v1, 31, v0
	s_delay_alu instid0(VALU_DEP_2) | instskip(NEXT) | instid1(VALU_DEP_2)
	v_dual_mul_f32 v18, v15, v11 :: v_dual_mul_f32 v19, v16, v12
	v_lshlrev_b64_e32 v[0:1], 3, v[0:1]
	s_delay_alu instid0(VALU_DEP_2) | instskip(NEXT) | instid1(VALU_DEP_3)
	v_fma_f32 v23, -v2, v18, v15
	v_fma_f32 v24, -v7, v19, v16
	v_mul_f32_e32 v20, v17, v13
	s_delay_alu instid0(VALU_DEP_2) | instskip(NEXT) | instid1(VALU_DEP_2)
	v_dual_fmac_f32 v18, v23, v11 :: v_dual_fmac_f32 v19, v24, v12
	v_fma_f32 v25, -v9, v20, v17
	s_delay_alu instid0(VALU_DEP_2) | instskip(NEXT) | instid1(VALU_DEP_3)
	v_fma_f32 v2, -v2, v18, v15
	v_fma_f32 v7, -v7, v19, v16
	s_delay_alu instid0(VALU_DEP_3) | instskip(SKIP_1) | instid1(VALU_DEP_3)
	v_fmac_f32_e32 v20, v25, v13
	s_wait_alu 0xfffd
	v_div_fmas_f32 v2, v2, v11, v18
	s_mov_b32 vcc_lo, s3
	s_delay_alu instid0(VALU_DEP_2)
	v_fma_f32 v9, -v9, v20, v17
	s_wait_alu 0xfffe
	v_div_fmas_f32 v7, v7, v12, v19
	s_mov_b32 vcc_lo, s4
	v_div_fixup_f32 v2, v2, v4, v3
	s_wait_alu 0xfffe
	v_div_fmas_f32 v9, v9, v13, v20
	s_mov_b32 vcc_lo, s5
	v_div_fixup_f32 v3, v7, v4, v5
	s_wait_alu 0xfffe
	v_div_fmas_f32 v10, v10, v14, v22
	v_add_co_u32 v0, vcc_lo, s72, v0
	s_wait_alu 0xfffd
	v_add_co_ci_u32_e64 v1, null, s73, v1, vcc_lo
	v_div_fixup_f32 v5, v9, v4, v8
	v_div_fixup_f32 v6, v10, v4, v6
	s_clause 0x1
	global_store_b64 v[0:1], v[2:3], off
	global_store_b64 v[0:1], v[5:6], off offset:256
	s_branch .LBB24_10
.LBB24_268:
	scratch_load_b32 v106, off, off offset:148 ; 4-byte Folded Reload
	v_readlane_b32 s0, v255, 3
	v_readlane_b32 s72, v255, 10
	;; [unrolled: 1-line block ×4, first 2 shown]
	v_lshlrev_b32_e32 v232, 3, v135
	v_add_nc_u32_e32 v99, 14, v135
	v_add_nc_u32_e32 v100, 12, v135
	;; [unrolled: 1-line block ×7, first 2 shown]
	s_mov_b32 s34, s0
	v_readlane_b32 s1, v255, 4
	v_readlane_b32 s51, v255, 7
	s_and_not1_b32 vcc_lo, exec_lo, s3
	s_wait_alu 0xfffe
	s_cbranch_vccnz .LBB24_8
.LBB24_269:
	s_abs_i32 s0, s99
	s_abs_i32 s3, s48
	s_wait_alu 0xfffe
	s_cvt_f32_u32 s1, s0
	s_sub_co_i32 s2, 0, s0
	v_mov_b32_e32 v33, s42
	s_wait_alu 0xfffe
	v_rcp_iflag_f32_e32 v0, s1
	s_delay_alu instid0(TRANS32_DEP_1) | instskip(SKIP_2) | instid1(SALU_CYCLE_2)
	v_readfirstlane_b32 s1, v0
	s_mul_f32 s1, s1, 0x4f7ffffe
	s_wait_alu 0xfffe
	s_cvt_u32_f32 s1, s1
	s_wait_alu 0xfffe
	s_delay_alu instid0(SALU_CYCLE_2)
	s_mul_i32 s2, s2, s1
	s_wait_alu 0xfffe
	s_mul_hi_u32 s2, s1, s2
	s_wait_alu 0xfffe
	s_add_co_i32 s1, s1, s2
	s_xor_b32 s2, s48, s99
	s_wait_alu 0xfffe
	s_mul_hi_u32 s1, s3, s1
	s_ashr_i32 s2, s2, 31
	s_wait_alu 0xfffe
	s_mul_i32 s4, s1, s0
	s_wait_alu 0xfffe
	s_sub_co_i32 s3, s3, s4
	s_add_co_i32 s4, s1, 1
	s_wait_alu 0xfffe
	s_sub_co_i32 s5, s3, s0
	s_cmp_ge_u32 s3, s0
	s_cselect_b32 s1, s4, s1
	s_wait_alu 0xfffe
	s_cselect_b32 s3, s5, s3
	s_add_co_i32 s4, s1, 1
	s_wait_alu 0xfffe
	s_cmp_ge_u32 s3, s0
	s_cselect_b32 s0, s4, s1
	s_abs_i32 s1, s98
	s_wait_alu 0xfffe
	s_xor_b32 s0, s0, s2
	s_cvt_f32_u32 s3, s1
	s_wait_alu 0xfffe
	s_sub_co_i32 s2, s0, s2
	s_sub_co_i32 s0, 0, s1
	s_wait_alu 0xfffe
	s_mul_i32 s4, s2, s99
	v_rcp_iflag_f32_e32 v0, s3
	s_wait_alu 0xfffe
	s_sub_co_i32 s4, s48, s4
	s_wait_alu 0xfffe
	s_abs_i32 s5, s4
	s_delay_alu instid0(TRANS32_DEP_1) | instskip(SKIP_2) | instid1(SALU_CYCLE_2)
	v_readfirstlane_b32 s3, v0
	s_mul_f32 s3, s3, 0x4f7ffffe
	s_wait_alu 0xfffe
	s_cvt_u32_f32 s3, s3
	s_wait_alu 0xfffe
	s_delay_alu instid0(SALU_CYCLE_2)
	s_mul_i32 s0, s0, s3
	s_wait_alu 0xfffe
	s_mul_hi_u32 s0, s3, s0
	s_wait_alu 0xfffe
	s_add_co_i32 s3, s3, s0
	s_wait_alu 0xfffe
	s_mul_hi_u32 s0, s5, s3
	s_xor_b32 s3, s4, s98
	s_wait_alu 0xfffe
	s_mul_i32 s6, s0, s1
	s_ashr_i32 s3, s3, 31
	s_wait_alu 0xfffe
	s_sub_co_i32 s5, s5, s6
	s_add_co_i32 s6, s0, 1
	s_wait_alu 0xfffe
	s_sub_co_i32 s16, s5, s1
	s_cmp_ge_u32 s5, s1
	s_cselect_b32 s0, s6, s0
	s_cselect_b32 s5, s16, s5
	s_wait_alu 0xfffe
	s_add_co_i32 s6, s0, 1
	s_cmp_ge_u32 s5, s1
	s_wait_alu 0xfffe
	s_cselect_b32 s0, s6, s0
	s_abs_i32 s1, s97
	s_wait_alu 0xfffe
	s_xor_b32 s0, s0, s3
	s_cvt_f32_u32 s5, s1
	s_wait_alu 0xfffe
	s_sub_co_i32 s6, s0, s3
	s_sub_co_i32 s0, 0, s1
	s_wait_alu 0xfffe
	s_mul_i32 s3, s6, s98
	v_rcp_iflag_f32_e32 v0, s5
	s_wait_alu 0xfffe
	s_sub_co_i32 s3, s4, s3
	s_wait_alu 0xfffe
	s_abs_i32 s4, s3
	s_delay_alu instid0(TRANS32_DEP_1) | instskip(SKIP_2) | instid1(SALU_CYCLE_2)
	v_readfirstlane_b32 s5, v0
	s_mul_f32 s5, s5, 0x4f7ffffe
	s_wait_alu 0xfffe
	s_cvt_u32_f32 s5, s5
	s_wait_alu 0xfffe
	s_delay_alu instid0(SALU_CYCLE_2)
	s_mul_i32 s0, s0, s5
	s_wait_alu 0xfffe
	s_mul_hi_u32 s0, s5, s0
	s_wait_alu 0xfffe
	s_add_co_i32 s5, s5, s0
	s_wait_alu 0xfffe
	s_mul_hi_u32 s0, s4, s5
	s_xor_b32 s5, s3, s97
	s_wait_alu 0xfffe
	s_mul_i32 s16, s0, s1
	s_ashr_i32 s5, s5, 31
	s_sub_co_i32 s4, s4, s16
	s_add_co_i32 s16, s0, 1
	s_wait_alu 0xfffe
	s_sub_co_i32 s17, s4, s1
	s_cmp_ge_u32 s4, s1
	s_cselect_b32 s0, s16, s0
	s_cselect_b32 s4, s17, s4
	s_wait_alu 0xfffe
	s_add_co_i32 s16, s0, 1
	s_cmp_ge_u32 s4, s1
	s_cselect_b32 s0, s16, s0
	s_wait_alu 0xfffe
	s_xor_b32 s0, s0, s5
	s_wait_alu 0xfffe
	s_sub_co_i32 s0, s0, s5
	s_mov_b32 s5, 0
	s_wait_alu 0xfffe
	s_mul_i32 s1, s0, s97
	s_wait_alu 0xfffe
	s_sub_co_i32 s1, s3, s1
	s_wait_alu 0xfffe
	s_abs_i32 s4, s1
	s_ashr_i32 s1, s1, 31
	s_wait_alu 0xfffe
	s_mul_u64 s[16:17], s[4:5], s[52:53]
	s_xor_b32 s1, s1, s101
	s_mul_i32 s3, s17, s55
	s_wait_alu 0xfffe
	s_sub_co_i32 s3, s4, s3
	s_add_co_i32 s4, s17, 1
	s_wait_alu 0xfffe
	s_sub_co_i32 s16, s3, s55
	s_cmp_ge_u32 s3, s55
	s_cselect_b32 s4, s4, s17
	s_cselect_b32 s3, s16, s3
	s_wait_alu 0xfffe
	s_add_co_i32 s16, s4, 1
	s_cmp_ge_u32 s3, s55
	s_cselect_b32 s3, s16, s4
	s_abs_i32 s20, s50
	s_wait_alu 0xfffe
	s_xor_b32 s3, s3, s1
	s_cvt_f32_u32 s4, s20
	s_wait_alu 0xfffe
	s_sub_co_i32 s1, s3, s1
	s_cmp_eq_u64 s[18:19], 0
	v_rcp_iflag_f32_e32 v0, s4
	s_delay_alu instid0(TRANS32_DEP_1)
	v_readfirstlane_b32 s4, v0
	s_cbranch_scc1 .LBB24_271
; %bb.270:
	v_readlane_b32 s3, v255, 0
	v_mov_b32_e32 v0, 0
	s_mul_i32 s3, s2, s3
	s_wait_alu 0xfffe
	s_add_co_i32 s16, s1, s3
	s_delay_alu instid0(SALU_CYCLE_1) | instskip(NEXT) | instid1(SALU_CYCLE_1)
	s_ashr_i32 s17, s16, 31
	s_lshl_b64 s[16:17], s[16:17], 2
	s_delay_alu instid0(SALU_CYCLE_1) | instskip(SKIP_3) | instid1(VALU_DEP_1)
	s_add_nc_u64 s[16:17], s[18:19], s[16:17]
	global_load_b32 v0, v0, s[16:17]
	s_wait_loadcnt 0x0
	v_ashrrev_i32_e32 v1, 31, v0
	v_lshrrev_b32_e32 v1, 27, v1
	s_delay_alu instid0(VALU_DEP_1) | instskip(NEXT) | instid1(VALU_DEP_1)
	v_add_nc_u32_e32 v0, v0, v1
	v_ashrrev_i32_e32 v0, 5, v0
	s_delay_alu instid0(VALU_DEP_1)
	v_min_i32_e32 v33, s42, v0
.LBB24_271:
	s_wait_loadcnt 0x0
	v_bfe_u32 v138, v106, 1, 9
	s_lshl_b32 s16, s0, 1
	s_wait_alu 0xfffe
	s_lshl_b32 s18, s1, 3
	v_or_b32_e32 v2, s16, v137
	s_mul_i32 s0, s2, s47
	v_add_nc_u32_e32 v1, s18, v138
	s_wait_alu 0xfffe
	s_ashr_i32 s1, s0, 31
	s_mul_i32 s3, s6, s33
	s_wait_alu 0xfffe
	s_add_nc_u64 s[8:9], s[8:9], s[0:1]
	v_cmp_le_i32_e64 s1, s33, v2
	v_cmp_le_i32_e64 s0, s24, v1
	s_add_co_i32 s3, s16, s3
	v_lshl_add_u32 v0, v96, 2, 0
	s_wait_alu 0xfffe
	s_mul_i32 s16, s3, s46
	s_and_b32 s3, 0xffff, s27
	s_wait_alu 0xfffe
	s_ashr_i32 s17, s16, 31
	s_or_b32 s0, s0, s1
	v_cmp_gt_i32_e32 vcc_lo, s33, v2
	s_wait_alu 0xfffe
	s_and_saveexec_b32 s1, s0
	s_wait_alu 0xfffe
	s_xor_b32 s0, exec_lo, s1
; %bb.272:
	v_mad_u32_u24 v1, 0x110, v135, v0
	v_mov_b32_e32 v2, 0
	ds_store_2addr_b32 v1, v2, v2 offset1:32
                                        ; implicit-def: $vgpr1
; %bb.273:
	s_wait_alu 0xfffe
	s_or_saveexec_b32 s1, s0
	s_add_nc_u64 s[8:9], s[8:9], s[16:17]
	s_mul_i32 s16, s3, 0x10001
	s_wait_alu 0xfffe
	s_xor_b32 exec_lo, exec_lo, s1
	s_cbranch_execz .LBB24_275
; %bb.274:
	v_mul_lo_u32 v1, v1, s35
	v_mul_lo_u32 v2, v137, s72
	v_mul_u32_u24_e32 v5, 0x110, v135
	v_lshlrev_b32_e32 v6, 2, v96
	s_delay_alu instid0(VALU_DEP_3) | instskip(NEXT) | instid1(VALU_DEP_1)
	v_add3_u32 v1, v1, v2, v96
	v_ashrrev_i32_e32 v2, 31, v1
	s_delay_alu instid0(VALU_DEP_1) | instskip(NEXT) | instid1(VALU_DEP_1)
	v_lshlrev_b64_e32 v[1:2], 3, v[1:2]
	v_add_co_u32 v1, s0, s8, v1
	s_wait_alu 0xf1ff
	s_delay_alu instid0(VALU_DEP_2)
	v_add_co_ci_u32_e64 v2, null, s9, v2, s0
	s_clause 0x1
	global_load_b64 v[3:4], v[1:2], off
	global_load_b64 v[1:2], v[1:2], off offset:256
	s_wait_loadcnt 0x1
	v_cvt_f16_f32_e32 v3, v3
	v_cvt_f16_f32_e32 v4, v4
	s_wait_loadcnt 0x0
	v_cvt_f16_f32_e32 v1, v1
	v_cvt_f16_f32_e32 v2, v2
	s_delay_alu instid0(VALU_DEP_3) | instskip(NEXT) | instid1(VALU_DEP_2)
	v_pack_b32_f16 v3, v3, v4
	v_pack_b32_f16 v1, v1, v2
	v_add3_u32 v2, 0, v5, v6
	s_delay_alu instid0(VALU_DEP_3) | instskip(NEXT) | instid1(VALU_DEP_3)
	v_pk_mul_f16 v3, v3, s16
	v_pk_mul_f16 v1, v1, s16
	ds_store_2addr_b32 v2, v3, v1 offset1:32
.LBB24_275:
	s_or_b32 exec_lo, exec_lo, s1
	v_lshrrev_b32_e32 v1, 1, v105
	s_xor_b32 s3, vcc_lo, -1
	s_delay_alu instid0(VALU_DEP_1) | instskip(NEXT) | instid1(VALU_DEP_1)
	v_add_nc_u32_e32 v1, s18, v1
	v_cmp_le_i32_e64 s0, s24, v1
	s_wait_alu 0xfffe
	s_or_b32 s0, s0, s3
	s_wait_alu 0xfffe
	s_and_saveexec_b32 s1, s0
	s_wait_alu 0xfffe
	s_xor_b32 s0, exec_lo, s1
; %bb.276:
	v_mad_u32_u24 v1, 0x110, v105, v0
	v_mov_b32_e32 v2, 0
                                        ; implicit-def: $vgpr105
	ds_store_2addr_b32 v1, v2, v2 offset1:32
                                        ; implicit-def: $vgpr1
; %bb.277:
	s_wait_alu 0xfffe
	s_and_not1_saveexec_b32 s0, s0
	s_cbranch_execz .LBB24_279
; %bb.278:
	v_mul_lo_u32 v1, v1, s35
	v_mul_lo_u32 v2, v137, s72
	v_mul_u32_u24_e32 v5, 0x110, v105
	v_lshlrev_b32_e32 v6, 2, v96
	s_delay_alu instid0(VALU_DEP_3) | instskip(NEXT) | instid1(VALU_DEP_1)
	v_add3_u32 v1, v1, v2, v96
	v_ashrrev_i32_e32 v2, 31, v1
	s_delay_alu instid0(VALU_DEP_1) | instskip(NEXT) | instid1(VALU_DEP_1)
	v_lshlrev_b64_e32 v[1:2], 3, v[1:2]
	v_add_co_u32 v1, vcc_lo, s8, v1
	s_wait_alu 0xfffd
	s_delay_alu instid0(VALU_DEP_2)
	v_add_co_ci_u32_e64 v2, null, s9, v2, vcc_lo
	s_clause 0x1
	global_load_b64 v[3:4], v[1:2], off
	global_load_b64 v[1:2], v[1:2], off offset:256
	s_wait_loadcnt 0x1
	v_cvt_f16_f32_e32 v3, v3
	v_cvt_f16_f32_e32 v4, v4
	s_wait_loadcnt 0x0
	v_cvt_f16_f32_e32 v1, v1
	v_cvt_f16_f32_e32 v2, v2
	s_delay_alu instid0(VALU_DEP_3) | instskip(NEXT) | instid1(VALU_DEP_2)
	v_pack_b32_f16 v3, v3, v4
	v_pack_b32_f16 v1, v1, v2
	v_add3_u32 v2, 0, v5, v6
	s_delay_alu instid0(VALU_DEP_3) | instskip(NEXT) | instid1(VALU_DEP_3)
	v_pk_mul_f16 v3, v3, s16
	v_pk_mul_f16 v1, v1, s16
	ds_store_2addr_b32 v2, v3, v1 offset1:32
.LBB24_279:
	s_wait_alu 0xfffe
	s_or_b32 exec_lo, exec_lo, s0
	v_lshrrev_b32_e32 v1, 1, v104
	s_delay_alu instid0(VALU_DEP_1) | instskip(NEXT) | instid1(VALU_DEP_1)
	v_add_nc_u32_e32 v1, s18, v1
	v_cmp_le_i32_e32 vcc_lo, s24, v1
	s_or_b32 s0, vcc_lo, s3
	s_wait_alu 0xfffe
	s_and_saveexec_b32 s1, s0
	s_wait_alu 0xfffe
	s_xor_b32 s0, exec_lo, s1
; %bb.280:
	v_mad_u32_u24 v1, 0x110, v104, v0
	v_mov_b32_e32 v2, 0
                                        ; implicit-def: $vgpr104
	ds_store_2addr_b32 v1, v2, v2 offset1:32
                                        ; implicit-def: $vgpr1
; %bb.281:
	s_wait_alu 0xfffe
	s_and_not1_saveexec_b32 s0, s0
	s_cbranch_execz .LBB24_283
; %bb.282:
	v_mul_lo_u32 v1, v1, s35
	v_mul_lo_u32 v2, v137, s72
	v_mul_u32_u24_e32 v5, 0x110, v104
	v_lshlrev_b32_e32 v6, 2, v96
	s_delay_alu instid0(VALU_DEP_3) | instskip(NEXT) | instid1(VALU_DEP_1)
	v_add3_u32 v1, v1, v2, v96
	v_ashrrev_i32_e32 v2, 31, v1
	s_delay_alu instid0(VALU_DEP_1) | instskip(NEXT) | instid1(VALU_DEP_1)
	v_lshlrev_b64_e32 v[1:2], 3, v[1:2]
	v_add_co_u32 v1, vcc_lo, s8, v1
	s_wait_alu 0xfffd
	s_delay_alu instid0(VALU_DEP_2)
	v_add_co_ci_u32_e64 v2, null, s9, v2, vcc_lo
	s_clause 0x1
	global_load_b64 v[3:4], v[1:2], off
	global_load_b64 v[1:2], v[1:2], off offset:256
	s_wait_loadcnt 0x1
	v_cvt_f16_f32_e32 v3, v3
	v_cvt_f16_f32_e32 v4, v4
	s_wait_loadcnt 0x0
	v_cvt_f16_f32_e32 v1, v1
	v_cvt_f16_f32_e32 v2, v2
	s_delay_alu instid0(VALU_DEP_3) | instskip(NEXT) | instid1(VALU_DEP_2)
	v_pack_b32_f16 v3, v3, v4
	v_pack_b32_f16 v1, v1, v2
	v_add3_u32 v2, 0, v5, v6
	s_delay_alu instid0(VALU_DEP_3) | instskip(NEXT) | instid1(VALU_DEP_3)
	v_pk_mul_f16 v3, v3, s16
	v_pk_mul_f16 v1, v1, s16
	ds_store_2addr_b32 v2, v3, v1 offset1:32
.LBB24_283:
	s_wait_alu 0xfffe
	s_or_b32 exec_lo, exec_lo, s0
	v_lshrrev_b32_e32 v1, 1, v103
	s_delay_alu instid0(VALU_DEP_1) | instskip(NEXT) | instid1(VALU_DEP_1)
	v_add_nc_u32_e32 v1, s18, v1
	v_cmp_le_i32_e32 vcc_lo, s24, v1
	s_or_b32 s0, vcc_lo, s3
	s_wait_alu 0xfffe
	s_and_saveexec_b32 s1, s0
	s_wait_alu 0xfffe
	s_xor_b32 s0, exec_lo, s1
; %bb.284:
	v_mad_u32_u24 v1, 0x110, v103, v0
	v_mov_b32_e32 v2, 0
                                        ; implicit-def: $vgpr103
	ds_store_2addr_b32 v1, v2, v2 offset1:32
                                        ; implicit-def: $vgpr1
; %bb.285:
	s_wait_alu 0xfffe
	s_and_not1_saveexec_b32 s0, s0
	s_cbranch_execz .LBB24_287
; %bb.286:
	v_mul_lo_u32 v1, v1, s35
	v_mul_lo_u32 v2, v137, s72
	v_mul_u32_u24_e32 v5, 0x110, v103
	v_lshlrev_b32_e32 v6, 2, v96
	s_delay_alu instid0(VALU_DEP_3) | instskip(NEXT) | instid1(VALU_DEP_1)
	v_add3_u32 v1, v1, v2, v96
	v_ashrrev_i32_e32 v2, 31, v1
	s_delay_alu instid0(VALU_DEP_1) | instskip(NEXT) | instid1(VALU_DEP_1)
	v_lshlrev_b64_e32 v[1:2], 3, v[1:2]
	v_add_co_u32 v1, vcc_lo, s8, v1
	s_wait_alu 0xfffd
	s_delay_alu instid0(VALU_DEP_2)
	v_add_co_ci_u32_e64 v2, null, s9, v2, vcc_lo
	s_clause 0x1
	global_load_b64 v[3:4], v[1:2], off
	global_load_b64 v[1:2], v[1:2], off offset:256
	s_wait_loadcnt 0x1
	v_cvt_f16_f32_e32 v3, v3
	v_cvt_f16_f32_e32 v4, v4
	s_wait_loadcnt 0x0
	v_cvt_f16_f32_e32 v1, v1
	v_cvt_f16_f32_e32 v2, v2
	s_delay_alu instid0(VALU_DEP_3) | instskip(NEXT) | instid1(VALU_DEP_2)
	v_pack_b32_f16 v3, v3, v4
	v_pack_b32_f16 v1, v1, v2
	v_add3_u32 v2, 0, v5, v6
	s_delay_alu instid0(VALU_DEP_3) | instskip(NEXT) | instid1(VALU_DEP_3)
	v_pk_mul_f16 v3, v3, s16
	v_pk_mul_f16 v1, v1, s16
	ds_store_2addr_b32 v2, v3, v1 offset1:32
.LBB24_287:
	s_wait_alu 0xfffe
	s_or_b32 exec_lo, exec_lo, s0
	v_lshrrev_b32_e32 v1, 1, v102
	s_delay_alu instid0(VALU_DEP_1) | instskip(NEXT) | instid1(VALU_DEP_1)
	v_add_nc_u32_e32 v1, s18, v1
	v_cmp_le_i32_e32 vcc_lo, s24, v1
	s_or_b32 s0, vcc_lo, s3
	s_wait_alu 0xfffe
	s_and_saveexec_b32 s1, s0
	s_wait_alu 0xfffe
	s_xor_b32 s0, exec_lo, s1
; %bb.288:
	v_mad_u32_u24 v1, 0x110, v102, v0
	v_mov_b32_e32 v2, 0
                                        ; implicit-def: $vgpr102
	ds_store_2addr_b32 v1, v2, v2 offset1:32
                                        ; implicit-def: $vgpr1
; %bb.289:
	s_wait_alu 0xfffe
	s_or_saveexec_b32 s1, s0
	s_mul_f32 s0, s4, 0x4f7ffffe
	s_wait_alu 0xfffe
	s_xor_b32 exec_lo, exec_lo, s1
	s_cbranch_execz .LBB24_291
; %bb.290:
	v_mul_lo_u32 v1, v1, s35
	v_mul_lo_u32 v2, v137, s72
	v_mul_u32_u24_e32 v5, 0x110, v102
	v_lshlrev_b32_e32 v6, 2, v96
	s_delay_alu instid0(VALU_DEP_3) | instskip(NEXT) | instid1(VALU_DEP_1)
	v_add3_u32 v1, v1, v2, v96
	v_ashrrev_i32_e32 v2, 31, v1
	s_delay_alu instid0(VALU_DEP_1) | instskip(NEXT) | instid1(VALU_DEP_1)
	v_lshlrev_b64_e32 v[1:2], 3, v[1:2]
	v_add_co_u32 v1, vcc_lo, s8, v1
	s_wait_alu 0xfffd
	s_delay_alu instid0(VALU_DEP_2)
	v_add_co_ci_u32_e64 v2, null, s9, v2, vcc_lo
	s_clause 0x1
	global_load_b64 v[3:4], v[1:2], off
	global_load_b64 v[1:2], v[1:2], off offset:256
	s_wait_loadcnt 0x1
	v_cvt_f16_f32_e32 v3, v3
	v_cvt_f16_f32_e32 v4, v4
	s_wait_loadcnt 0x0
	v_cvt_f16_f32_e32 v1, v1
	v_cvt_f16_f32_e32 v2, v2
	s_delay_alu instid0(VALU_DEP_3) | instskip(NEXT) | instid1(VALU_DEP_2)
	v_pack_b32_f16 v3, v3, v4
	v_pack_b32_f16 v1, v1, v2
	v_add3_u32 v2, 0, v5, v6
	s_delay_alu instid0(VALU_DEP_3) | instskip(NEXT) | instid1(VALU_DEP_3)
	v_pk_mul_f16 v3, v3, s16
	v_pk_mul_f16 v1, v1, s16
	ds_store_2addr_b32 v2, v3, v1 offset1:32
.LBB24_291:
	s_or_b32 exec_lo, exec_lo, s1
	v_lshrrev_b32_e32 v1, 1, v101
	s_cvt_u32_f32 s0, s0
	s_sub_co_i32 s4, 0, s20
	s_delay_alu instid0(VALU_DEP_1) | instskip(NEXT) | instid1(VALU_DEP_1)
	v_add_nc_u32_e32 v1, s18, v1
	v_cmp_le_i32_e32 vcc_lo, s24, v1
	s_or_b32 s1, vcc_lo, s3
	s_wait_alu 0xfffe
	s_and_saveexec_b32 s17, s1
	s_wait_alu 0xfffe
	s_xor_b32 s1, exec_lo, s17
; %bb.292:
	v_mad_u32_u24 v1, 0x110, v101, v0
	v_mov_b32_e32 v2, 0
                                        ; implicit-def: $vgpr101
	ds_store_2addr_b32 v1, v2, v2 offset1:32
                                        ; implicit-def: $vgpr1
; %bb.293:
	s_wait_alu 0xfffe
	s_or_saveexec_b32 s1, s1
	s_mul_i32 s4, s4, s0
	s_wait_alu 0xfffe
	s_xor_b32 exec_lo, exec_lo, s1
	s_cbranch_execz .LBB24_295
; %bb.294:
	v_mul_lo_u32 v1, v1, s35
	v_mul_lo_u32 v2, v137, s72
	v_mul_u32_u24_e32 v5, 0x110, v101
	v_lshlrev_b32_e32 v6, 2, v96
	s_delay_alu instid0(VALU_DEP_3) | instskip(NEXT) | instid1(VALU_DEP_1)
	v_add3_u32 v1, v1, v2, v96
	v_ashrrev_i32_e32 v2, 31, v1
	s_delay_alu instid0(VALU_DEP_1) | instskip(NEXT) | instid1(VALU_DEP_1)
	v_lshlrev_b64_e32 v[1:2], 3, v[1:2]
	v_add_co_u32 v1, vcc_lo, s8, v1
	s_wait_alu 0xfffd
	s_delay_alu instid0(VALU_DEP_2)
	v_add_co_ci_u32_e64 v2, null, s9, v2, vcc_lo
	s_clause 0x1
	global_load_b64 v[3:4], v[1:2], off
	global_load_b64 v[1:2], v[1:2], off offset:256
	s_wait_loadcnt 0x1
	v_cvt_f16_f32_e32 v3, v3
	v_cvt_f16_f32_e32 v4, v4
	s_wait_loadcnt 0x0
	v_cvt_f16_f32_e32 v1, v1
	v_cvt_f16_f32_e32 v2, v2
	s_delay_alu instid0(VALU_DEP_3) | instskip(NEXT) | instid1(VALU_DEP_2)
	v_pack_b32_f16 v3, v3, v4
	v_pack_b32_f16 v1, v1, v2
	v_add3_u32 v2, 0, v5, v6
	s_delay_alu instid0(VALU_DEP_3) | instskip(NEXT) | instid1(VALU_DEP_3)
	v_pk_mul_f16 v3, v3, s16
	v_pk_mul_f16 v1, v1, s16
	ds_store_2addr_b32 v2, v3, v1 offset1:32
.LBB24_295:
	s_or_b32 exec_lo, exec_lo, s1
	v_lshrrev_b32_e32 v1, 1, v100
	s_mul_hi_u32 s17, s0, s4
	s_delay_alu instid0(VALU_DEP_1) | instskip(NEXT) | instid1(VALU_DEP_1)
	v_add_nc_u32_e32 v1, s18, v1
	v_cmp_le_i32_e32 vcc_lo, s24, v1
	s_or_b32 s1, vcc_lo, s3
	s_wait_alu 0xfffe
	s_and_saveexec_b32 s4, s1
	s_wait_alu 0xfffe
	s_xor_b32 s1, exec_lo, s4
; %bb.296:
	v_mad_u32_u24 v1, 0x110, v100, v0
	v_mov_b32_e32 v2, 0
                                        ; implicit-def: $vgpr100
	ds_store_2addr_b32 v1, v2, v2 offset1:32
                                        ; implicit-def: $vgpr1
; %bb.297:
	s_wait_alu 0xfffe
	s_or_saveexec_b32 s1, s1
	s_abs_i32 s4, s2
	s_add_co_i32 s0, s0, s17
	s_wait_alu 0xfffe
	s_xor_b32 exec_lo, exec_lo, s1
	s_cbranch_execz .LBB24_299
; %bb.298:
	v_mul_lo_u32 v1, v1, s35
	v_mul_lo_u32 v2, v137, s72
	v_mul_u32_u24_e32 v5, 0x110, v100
	v_lshlrev_b32_e32 v6, 2, v96
	s_delay_alu instid0(VALU_DEP_3) | instskip(NEXT) | instid1(VALU_DEP_1)
	v_add3_u32 v1, v1, v2, v96
	v_ashrrev_i32_e32 v2, 31, v1
	s_delay_alu instid0(VALU_DEP_1) | instskip(NEXT) | instid1(VALU_DEP_1)
	v_lshlrev_b64_e32 v[1:2], 3, v[1:2]
	v_add_co_u32 v1, vcc_lo, s8, v1
	s_wait_alu 0xfffd
	s_delay_alu instid0(VALU_DEP_2)
	v_add_co_ci_u32_e64 v2, null, s9, v2, vcc_lo
	s_clause 0x1
	global_load_b64 v[3:4], v[1:2], off
	global_load_b64 v[1:2], v[1:2], off offset:256
	s_wait_loadcnt 0x1
	v_cvt_f16_f32_e32 v3, v3
	v_cvt_f16_f32_e32 v4, v4
	s_wait_loadcnt 0x0
	v_cvt_f16_f32_e32 v1, v1
	v_cvt_f16_f32_e32 v2, v2
	s_delay_alu instid0(VALU_DEP_3) | instskip(NEXT) | instid1(VALU_DEP_2)
	v_pack_b32_f16 v3, v3, v4
	v_pack_b32_f16 v1, v1, v2
	v_add3_u32 v2, 0, v5, v6
	s_delay_alu instid0(VALU_DEP_3) | instskip(NEXT) | instid1(VALU_DEP_3)
	v_pk_mul_f16 v3, v3, s16
	v_pk_mul_f16 v1, v1, s16
	ds_store_2addr_b32 v2, v3, v1 offset1:32
.LBB24_299:
	s_or_b32 exec_lo, exec_lo, s1
	v_lshrrev_b32_e32 v1, 1, v99
	s_mov_b32 s1, s5
	s_delay_alu instid0(VALU_DEP_1) | instskip(NEXT) | instid1(VALU_DEP_1)
	v_add_nc_u32_e32 v1, s18, v1
	v_cmp_le_i32_e32 vcc_lo, s24, v1
	s_or_b32 s3, vcc_lo, s3
	s_wait_alu 0xfffe
	s_and_saveexec_b32 s17, s3
	s_wait_alu 0xfffe
	s_xor_b32 s3, exec_lo, s17
; %bb.300:
	v_mad_u32_u24 v0, 0x110, v99, v0
	v_mov_b32_e32 v1, 0
                                        ; implicit-def: $vgpr99
	ds_store_2addr_b32 v0, v1, v1 offset1:32
                                        ; implicit-def: $vgpr1
; %bb.301:
	s_wait_alu 0xfffe
	s_or_saveexec_b32 s17, s3
	s_mul_u64 s[0:1], s[4:5], s[0:1]
	s_ashr_i32 s3, s2, 31
	s_wait_alu 0xfffe
	s_xor_b32 exec_lo, exec_lo, s17
	s_cbranch_execz .LBB24_303
; %bb.302:
	v_mul_lo_u32 v0, v1, s35
	v_mul_lo_u32 v1, v137, s72
	v_mul_u32_u24_e32 v4, 0x110, v99
	v_lshlrev_b32_e32 v5, 2, v96
	s_delay_alu instid0(VALU_DEP_3) | instskip(NEXT) | instid1(VALU_DEP_1)
	v_add3_u32 v0, v0, v1, v96
	v_ashrrev_i32_e32 v1, 31, v0
	s_delay_alu instid0(VALU_DEP_1) | instskip(NEXT) | instid1(VALU_DEP_1)
	v_lshlrev_b64_e32 v[0:1], 3, v[0:1]
	v_add_co_u32 v0, vcc_lo, s8, v0
	s_wait_alu 0xfffd
	s_delay_alu instid0(VALU_DEP_2)
	v_add_co_ci_u32_e64 v1, null, s9, v1, vcc_lo
	s_clause 0x1
	global_load_b64 v[2:3], v[0:1], off
	global_load_b64 v[0:1], v[0:1], off offset:256
	s_wait_loadcnt 0x1
	v_cvt_f16_f32_e32 v2, v2
	v_cvt_f16_f32_e32 v3, v3
	s_wait_loadcnt 0x0
	v_cvt_f16_f32_e32 v0, v0
	v_cvt_f16_f32_e32 v1, v1
	s_delay_alu instid0(VALU_DEP_3) | instskip(NEXT) | instid1(VALU_DEP_2)
	v_pack_b32_f16 v2, v2, v3
	v_pack_b32_f16 v0, v0, v1
	v_add3_u32 v1, 0, v4, v5
	s_delay_alu instid0(VALU_DEP_3) | instskip(NEXT) | instid1(VALU_DEP_3)
	v_pk_mul_f16 v2, v2, s16
	v_pk_mul_f16 v0, v0, s16
	ds_store_2addr_b32 v1, v2, v0 offset1:32
.LBB24_303:
	s_or_b32 exec_lo, exec_lo, s17
	v_lshrrev_b32_e32 v32, 2, v96
	v_dual_mov_b32 v163, 0 :: v_dual_and_b32 v34, 0x1ff0, v232
	v_and_b32_e32 v139, 15, v96
	s_wait_dscnt 0x0
	s_delay_alu instid0(VALU_DEP_3) | instskip(NEXT) | instid1(VALU_DEP_3)
	v_and_b32_e32 v0, 0xfc, v32
	v_mad_u32_u24 v1, 0x110, v34, 0
	s_barrier_signal -1
	v_mul_u32_u24_e32 v142, 0x110, v139
	s_barrier_wait -1
	v_lshlrev_b32_e32 v143, 2, v0
	global_inv scope:SCOPE_SE
	s_mul_i32 s1, s1, s20
	s_mul_i32 s0, s6, s7
	s_wait_alu 0xfffe
	s_sub_co_i32 s4, s4, s1
	v_add3_u32 v0, v1, v142, v143
	s_ashr_i32 s1, s0, 31
	s_wait_alu 0xfffe
	s_sub_co_i32 s5, s4, s20
	s_cmp_ge_u32 s4, s20
	s_mul_u64 s[8:9], s[28:29], s[2:3]
	ds_load_b128 v[28:31], v0
	ds_load_b128 v[24:27], v0 offset:32
	ds_load_b128 v[20:23], v0 offset:64
	ds_load_b128 v[8:11], v0 offset:96
	ds_load_b128 v[12:15], v0 offset:128
	ds_load_b128 v[16:19], v0 offset:160
	ds_load_b128 v[4:7], v0 offset:192
	ds_load_b128 v[0:3], v0 offset:224
	s_wait_alu 0xfffe
	s_cselect_b32 s4, s5, s4
	v_add_nc_u32_e32 v166, -1, v33
	s_wait_alu 0xfffe
	s_sub_co_i32 s5, s4, s20
	s_cmp_ge_u32 s4, s20
	s_add_nc_u64 s[8:9], s[10:11], s[8:9]
	s_wait_alu 0xfffe
	s_cselect_b32 s4, s5, s4
	v_readlane_b32 s10, v255, 1
	v_lshrrev_b32_e32 v33, 4, v96
	v_lshlrev_b32_e32 v35, 1, v96
	v_readlane_b32 s11, v255, 2
	s_wait_alu 0xfffe
	s_xor_b32 s4, s4, s3
	v_cmp_lt_i32_e32 vcc_lo, s96, v166
	s_wait_alu 0xfffe
	s_sub_co_i32 s4, s4, s3
	v_lshl_add_u32 v33, v135, 1, v33
	v_and_b32_e32 v35, 30, v35
	s_wait_alu 0xfffe
	s_ashr_i32 s5, s4, 31
	s_mul_u64 s[10:11], s[10:11], s[2:3]
	s_mul_i32 s2, s6, s31
	s_wait_alu 0xfffe
	s_mul_u64 s[4:5], s[44:45], s[4:5]
	s_add_nc_u64 s[6:7], s[12:13], s[10:11]
	s_ashr_i32 s3, s2, 31
	s_and_b32 vcc_lo, exec_lo, vcc_lo
	s_mov_b32 s10, -1
	s_wait_loadcnt_dscnt 0x0
	s_barrier_signal -1
	s_barrier_wait -1
	global_inv scope:SCOPE_SE
	s_wait_alu 0xfffe
	s_cbranch_vccnz .LBB24_307
; %bb.304:
	s_ashr_i32 s37, s36, 31
	s_wait_alu 0xfffe
	v_dual_mov_b32 v65, s37 :: v_dual_add_nc_u32 v36, s18, v33
	s_movk_i32 s10, 0x140
	v_mul_lo_u32 v115, s26, v33
	s_delay_alu instid0(VALU_DEP_2)
	v_dual_mov_b32 v98, 0 :: v_dual_add_nc_u32 v37, 4, v36
	v_mul_hi_u32 v39, s38, v36
	v_mul_lo_u32 v99, s36, v33
	s_wait_alu 0xfffe
	v_mad_u32_u24 v146, 0x50, v33, s10
	s_movk_i32 s10, 0x1540
	v_mul_hi_u32 v40, s38, v37
	s_wait_alu 0xfffe
	v_mad_u32_u24 v151, 0x110, v33, s10
	v_mov_b32_e32 v156, 32
	s_movk_i32 s10, 0x1980
	v_add_nc_u32_e32 v39, v36, v39
	s_lshl_b32 s12, s26, 2
	s_wait_alu 0xfffe
	v_mad_u32_u24 v155, 0x110, v33, s10
	s_lshl_b32 s10, s36, 2
	v_add_nc_u32_e32 v40, v37, v40
	v_lshrrev_b32_e32 v39, s39, v39
	v_dual_mov_b32 v64, s36 :: v_dual_add_nc_u32 v117, s12, v115
	s_wait_alu 0xfffe
	v_add_nc_u32_e32 v101, s10, v99
	v_lshrrev_b32_e32 v40, s39, v40
	v_mul_lo_u32 v39, v39, s24
	s_ashr_i32 s27, s26, 31
	v_add_nc_u32_e32 v119, s12, v117
	v_add_nc_u32_e32 v103, s10, v101
	v_mul_lo_u32 v40, v40, s24
	s_wait_alu 0xfffe
	v_dual_mov_b32 v67, s27 :: v_dual_lshlrev_b32 v38, 2, v96
	v_lshlrev_b32_e32 v140, 4, v135
	v_sub_nc_u32_e32 v36, v36, v39
	v_dual_mov_b32 v66, s26 :: v_dual_add_nc_u32 v105, s10, v103
	v_add_nc_u32_e32 v121, s12, v119
	v_sub_nc_u32_e32 v37, v37, v40
	s_delay_alu instid0(VALU_DEP_4) | instskip(SKIP_1) | instid1(VALU_DEP_4)
	v_mad_co_i64_i32 v[127:128], null, v36, s40, 0
	v_lshrrev_b32_e32 v36, 1, v96
	v_add_nc_u32_e32 v123, s12, v121
	s_delay_alu instid0(VALU_DEP_4) | instskip(SKIP_1) | instid1(VALU_DEP_4)
	v_mad_co_i64_i32 v[129:130], null, v37, s40, 0
	v_and_b32_e32 v37, 16, v140
	v_and_b32_e32 v141, 0x1f8, v36
	v_and_or_b32 v36, v96, 14, v34
	v_add_nc_u32_e32 v107, s10, v105
	v_and_b32_e32 v97, 60, v38
	v_add_nc_u32_e32 v125, s12, v123
	v_add_nc_u16 v38, v37, v141
	v_lshrrev_b32_e32 v36, 1, v36
	v_add_nc_u32_e32 v109, s10, v107
	v_mbcnt_lo_u32_b32 v153, -1, 0
	v_add_nc_u32_e32 v131, s12, v125
	v_lshrrev_b16 v38, 1, v38
	v_mul_u32_u24_e32 v158, 0x50, v36
	v_add_nc_u32_e32 v111, s10, v109
	v_lshlrev_b32_e32 v36, 1, v32
	v_add_nc_u32_e32 v133, s12, v131
	v_mul_u32_u24_e32 v164, 0x110, v37
	v_and_b32_e32 v157, 0xffff, v38
	v_add_nc_u32_e32 v113, s10, v111
	v_and_b32_e32 v37, 0x1f8, v36
	v_or_b32_e32 v38, 6, v36
	v_or_b32_e32 v36, 7, v36
	s_movk_i32 s11, 0x440
	s_movk_i32 s13, 0x880
	;; [unrolled: 1-line block ×4, first 2 shown]
	s_wait_alu 0xfffe
	v_mad_u32_u24 v147, 0x110, v33, s11
	s_movk_i32 s11, 0x1dc0
	v_mul_u32_u24_e32 v144, 0x50, v33
	v_mul_u32_u24_e32 v145, 0x110, v33
	v_mad_u32_u24 v148, 0x110, v33, s13
	v_mad_u32_u24 v149, 0x110, v33, s16
	v_ashrrev_i32_e32 v116, 31, v115
	v_ashrrev_i32_e32 v118, 31, v117
	;; [unrolled: 1-line block ×4, first 2 shown]
	v_mad_u32_u24 v150, 0x110, v33, s17
	v_ashrrev_i32_e32 v124, 31, v123
	v_ashrrev_i32_e32 v126, 31, v125
	v_ashrrev_i32_e32 v132, 31, v131
	s_wait_alu 0xfffe
	v_mad_u32_u24 v159, 0x110, v33, s11
	v_ashrrev_i32_e32 v134, 31, v133
	v_xor_b32_e32 v154, 16, v153
	v_ashrrev_i32_e32 v100, 31, v99
	v_ashrrev_i32_e32 v102, 31, v101
	;; [unrolled: 1-line block ×8, first 2 shown]
	v_mul_u32_u24_e32 v162, 0x110, v37
	v_mul_u32_u24_e32 v160, 0x110, v38
	;; [unrolled: 1-line block ×3, first 2 shown]
	s_mov_b32 s10, 0
	s_branch .LBB24_308
.LBB24_305:
                                        ; implicit-def: $sgpr48_sgpr49
	s_load_b64 s[46:47], s[0:1], 0x74
	v_cvt_f32_u32_e32 v1, s34
	s_branch .LBB24_2
.LBB24_306:
                                        ; implicit-def: $sgpr54_sgpr55
	s_load_b64 s[38:39], s[0:1], 0x5c
	s_branch .LBB24_5
.LBB24_307:
                                        ; implicit-def: $vgpr144
                                        ; implicit-def: $vgpr127_vgpr128
                                        ; implicit-def: $vgpr146
                                        ; implicit-def: $vgpr129_vgpr130
                                        ; implicit-def: $vgpr66_vgpr67
                                        ; implicit-def: $vgpr145
                                        ; implicit-def: $vgpr97
                                        ; implicit-def: $vgpr115_vgpr116
                                        ; implicit-def: $vgpr147
                                        ; implicit-def: $vgpr117_vgpr118
                                        ; implicit-def: $vgpr148
                                        ; implicit-def: $vgpr119_vgpr120
                                        ; implicit-def: $vgpr149
                                        ; implicit-def: $vgpr121_vgpr122
                                        ; implicit-def: $vgpr150
                                        ; implicit-def: $vgpr123_vgpr124
                                        ; implicit-def: $vgpr151
                                        ; implicit-def: $vgpr125_vgpr126
                                        ; implicit-def: $vgpr155
                                        ; implicit-def: $vgpr131_vgpr132
                                        ; implicit-def: $vgpr159
                                        ; implicit-def: $vgpr133_vgpr134
                                        ; implicit-def: $vgpr140
                                        ; implicit-def: $vgpr164
                                        ; implicit-def: $vgpr141
                                        ; implicit-def: $vgpr158
                                        ; implicit-def: $vgpr157
                                        ; implicit-def: $vgpr153
                                        ; implicit-def: $vgpr154
                                        ; implicit-def: $vgpr156
                                        ; implicit-def: $vgpr64_vgpr65
                                        ; implicit-def: $vgpr99_vgpr100
                                        ; implicit-def: $vgpr101_vgpr102
                                        ; implicit-def: $vgpr103_vgpr104
                                        ; implicit-def: $vgpr105_vgpr106
                                        ; implicit-def: $vgpr107_vgpr108
                                        ; implicit-def: $vgpr109_vgpr110
                                        ; implicit-def: $vgpr111_vgpr112
                                        ; implicit-def: $vgpr113_vgpr114
                                        ; implicit-def: $vgpr162
                                        ; implicit-def: $vgpr160
                                        ; implicit-def: $vgpr161
.LBB24_308:
	v_lshlrev_b32_e32 v165, 1, v35
	v_lshlrev_b32_e32 v152, 2, v139
	s_add_nc_u64 s[12:13], s[8:9], s[0:1]
	s_add_nc_u64 s[14:15], s[14:15], s[4:5]
	s_wait_alu 0xfffe
	s_and_not1_b32 vcc_lo, exec_lo, s10
	s_add_nc_u64 s[10:11], s[6:7], s[2:3]
	s_wait_alu 0xfffe
	s_cbranch_vccnz .LBB24_312
; %bb.309:
	v_dual_mov_b32 v98, 0 :: v_dual_add_nc_u32 v35, s18, v33
	v_add_co_u32 v168, s0, s14, v165
	s_wait_alu 0xf1ff
	v_add_co_ci_u32_e64 v169, null, s15, 0, s0
	s_delay_alu instid0(VALU_DEP_3) | instskip(SKIP_3) | instid1(VALU_DEP_3)
	v_dual_mov_b32 v156, 32 :: v_dual_add_nc_u32 v37, 4, v35
	v_mul_hi_u32 v38, s38, v35
	s_movk_i32 s0, 0x140
	v_lshlrev_b32_e32 v140, 4, v135
	v_mul_hi_u32 v39, s38, v37
	s_wait_alu 0xfffe
	v_mad_u32_u24 v146, 0x50, v33, s0
	v_mov_b32_e32 v163, v98
	s_movk_i32 s0, 0xcc0
	s_movk_i32 s1, 0x440
	v_add_nc_u32_e32 v38, v35, v38
	s_wait_alu 0xfffe
	v_mad_u32_u24 v149, 0x110, v33, s0
	s_movk_i32 s0, 0x1100
	v_add_nc_u32_e32 v39, v37, v39
	s_wait_alu 0xfffe
	v_mad_u32_u24 v150, 0x110, v33, s0
	v_lshrrev_b32_e32 v38, s39, v38
	s_movk_i32 s0, 0x1540
	s_movk_i32 s3, 0x880
	v_lshrrev_b32_e32 v39, s39, v39
	s_wait_alu 0xfffe
	v_mad_u32_u24 v151, 0x110, v33, s0
	v_mul_lo_u32 v38, v38, s24
	s_movk_i32 s0, 0x1980
	v_mul_u32_u24_e32 v144, 0x50, v33
	v_mul_lo_u32 v39, v39, s24
	s_wait_alu 0xfffe
	v_mad_u32_u24 v155, 0x110, v33, s0
	s_movk_i32 s0, 0x1dc0
	v_mul_u32_u24_e32 v145, 0x110, v33
	v_mul_lo_u32 v115, s26, v33
	v_sub_nc_u32_e32 v35, v35, v38
	v_mad_u32_u24 v147, 0x110, v33, s1
	v_mad_u32_u24 v148, 0x110, v33, s3
	v_sub_nc_u32_e32 v37, v37, v39
	v_mov_b32_e32 v39, v98
	v_mad_co_i64_i32 v[127:128], null, v35, s40, 0
	v_lshrrev_b32_e32 v35, 1, v96
	s_delay_alu instid0(VALU_DEP_4) | instskip(SKIP_1) | instid1(VALU_DEP_3)
	v_mad_co_i64_i32 v[129:130], null, v37, s40, 0
	v_dual_mov_b32 v58, v98 :: v_dual_and_b32 v37, 16, v140
	v_dual_mov_b32 v52, v98 :: v_dual_and_b32 v141, 0x1f8, v35
	v_mul_lo_u32 v99, s36, v33
	s_wait_alu 0xfffe
	v_mad_u32_u24 v159, 0x110, v33, s0
	v_mbcnt_lo_u32_b32 v153, -1, 0
	v_add_nc_u16 v33, v37, v141
	v_and_or_b32 v34, v96, 14, v34
	v_dual_mov_b32 v47, v98 :: v_dual_lshlrev_b32 v32, 1, v32
	s_delay_alu instid0(VALU_DEP_4) | instskip(NEXT) | instid1(VALU_DEP_4)
	v_xor_b32_e32 v154, 16, v153
	v_lshrrev_b16 v33, 1, v33
	s_delay_alu instid0(VALU_DEP_4)
	v_lshrrev_b32_e32 v34, 1, v34
	s_lshl_b32 s2, s26, 2
	s_lshl_b32 s0, s36, 2
	v_cmp_gt_i32_e32 vcc_lo, 32, v154
	v_and_b32_e32 v157, 0xffff, v33
	v_add_nc_u32_e32 v36, 0, v165
	v_mul_u32_u24_e32 v158, 0x50, v34
	s_wait_alu 0xfffe
	v_add_nc_u32_e32 v117, s2, v115
	s_wait_alu 0xfffd
	v_dual_cndmask_b32 v35, v153, v154 :: v_dual_lshlrev_b32 v34, 2, v157
	v_mov_b32_e32 v43, v98
	v_dual_mov_b32 v62, v98 :: v_dual_add_nc_u32 v101, s0, v99
	s_delay_alu instid0(VALU_DEP_3) | instskip(NEXT) | instid1(VALU_DEP_4)
	v_dual_mov_b32 v45, v98 :: v_dual_lshlrev_b32 v180, 2, v35
	v_add3_u32 v179, 0, v158, v34
	v_dual_mov_b32 v49, v98 :: v_dual_and_b32 v34, 0x1f8, v32
	v_or_b32_e32 v35, 6, v32
	v_or_b32_e32 v32, 7, v32
	v_dual_mov_b32 v38, v98 :: v_dual_add_nc_u32 v103, s0, v101
	v_dual_mov_b32 v167, 0xfeffffff :: v_dual_lshlrev_b32 v40, 2, v96
	s_delay_alu instid0(VALU_DEP_3) | instskip(SKIP_4) | instid1(VALU_DEP_3)
	v_mul_u32_u24_e32 v161, 0x110, v32
	v_dual_mov_b32 v51, v98 :: v_dual_add_nc_u32 v32, v36, v144
	v_dual_mov_b32 v36, v98 :: v_dual_add_nc_u32 v119, s2, v117
	;; [unrolled: 1-line block ×3, first 2 shown]
	v_dual_mov_b32 v46, v98 :: v_dual_and_b32 v97, 60, v40
	v_add_nc_u32_e32 v121, s2, v119
	s_delay_alu instid0(VALU_DEP_3)
	v_add_nc_u32_e32 v107, s0, v105
	v_mad_u32_u24 v33, 0x110, v37, 0
	v_mul_u32_u24_e32 v162, 0x110, v34
	v_mul_u32_u24_e32 v160, 0x110, v35
	v_add_nc_u32_e32 v123, s2, v121
	v_dual_mov_b32 v34, v98 :: v_dual_add_nc_u32 v109, s0, v107
	v_lshlrev_b32_e32 v40, 2, v97
	s_delay_alu instid0(VALU_DEP_3) | instskip(NEXT) | instid1(VALU_DEP_3)
	v_dual_mov_b32 v48, v98 :: v_dual_add_nc_u32 v125, s2, v123
	v_add_nc_u32_e32 v111, s0, v109
	v_add3_u32 v178, v33, v142, v143
	v_add3_u32 v181, v33, v162, v152
	;; [unrolled: 1-line block ×3, first 2 shown]
	v_dual_mov_b32 v56, v98 :: v_dual_add_nc_u32 v131, s2, v125
	v_add_nc_u32_e32 v113, s0, v111
	v_add3_u32 v183, v33, v161, v152
	v_mov_b32_e32 v33, v98
	v_add3_u32 v170, 0, v145, v40
	v_dual_mov_b32 v54, v98 :: v_dual_add_nc_u32 v133, s2, v131
	v_ashrrev_i32_e32 v116, 31, v115
	v_ashrrev_i32_e32 v118, 31, v117
	s_delay_alu instid0(VALU_DEP_4)
	v_dual_mov_b32 v40, v98 :: v_dual_add_nc_u32 v171, 0x440, v170
	v_dual_mov_b32 v35, v98 :: v_dual_add_nc_u32 v172, 0x880, v170
	v_ashrrev_i32_e32 v120, 31, v119
	v_dual_mov_b32 v44, v98 :: v_dual_add_nc_u32 v173, 0xcc0, v170
	v_ashrrev_i32_e32 v122, 31, v121
	v_add_nc_u32_e32 v174, 0x1100, v170
	v_ashrrev_i32_e32 v124, 31, v123
	v_dual_mov_b32 v50, v98 :: v_dual_add_nc_u32 v175, 0x1540, v170
	v_ashrrev_i32_e32 v126, 31, v125
	v_dual_mov_b32 v41, v98 :: v_dual_add_nc_u32 v176, 0x1980, v170
	v_ashrrev_i32_e32 v132, 31, v131
	v_dual_mov_b32 v60, v98 :: v_dual_add_nc_u32 v177, 0x1dc0, v170
	v_ashrrev_i32_e32 v134, 31, v133
	v_mul_u32_u24_e32 v164, 0x110, v37
	v_ashrrev_i32_e32 v100, 31, v99
	v_ashrrev_i32_e32 v102, 31, v101
	;; [unrolled: 1-line block ×8, first 2 shown]
	v_dual_mov_b32 v57, v98 :: v_dual_lshlrev_b32 v184, 2, v97
	v_dual_mov_b32 v32, v98 :: v_dual_add_nc_u32 v185, 0x2000, v32
	v_mov_b32_e32 v37, v98
	v_mov_b32_e32 v59, v98
	;; [unrolled: 1-line block ×6, first 2 shown]
	s_ashr_i32 s27, s26, 31
	s_ashr_i32 s37, s36, 31
	s_lshl_b32 s16, s96, 5
.LBB24_310:                             ; =>This Inner Loop Header: Depth=1
	s_wait_alu 0xfffe
	s_ashr_i32 s17, s16, 31
	v_lshlrev_b64_e32 v[64:65], 1, v[127:128]
	s_wait_alu 0xfffe
	s_lshl_b64 s[0:1], s[16:17], 1
	v_lshlrev_b64_e32 v[66:67], 1, v[129:130]
	s_wait_alu 0xfffe
	v_add_co_u32 v84, vcc_lo, v168, s0
	s_wait_alu 0xfffd
	v_add_co_ci_u32_e64 v85, null, s1, v169, vcc_lo
	v_lshlrev_b64_e32 v[68:69], 2, v[115:116]
	s_mul_u64 s[2:3], s[16:17], s[26:27]
	v_lshlrev_b64_e32 v[70:71], 2, v[117:118]
	s_wait_alu 0xfffe
	s_lshl_b64 s[0:1], s[2:3], 2
	v_add_co_u32 v64, vcc_lo, v84, v64
	v_lshlrev_b64_e32 v[72:73], 2, v[119:120]
	s_wait_alu 0xfffd
	v_add_co_ci_u32_e64 v65, null, v85, v65, vcc_lo
	v_add_co_u32 v66, vcc_lo, v84, v66
	s_wait_alu 0xfffe
	s_add_nc_u64 s[0:1], s[12:13], s[0:1]
	v_lshlrev_b64_e32 v[74:75], 2, v[121:122]
	s_wait_alu 0xfffd
	v_add_co_ci_u32_e64 v67, null, v85, v67, vcc_lo
	s_wait_alu 0xfffe
	v_add_co_u32 v68, vcc_lo, s0, v68
	v_lshlrev_b64_e32 v[76:77], 2, v[123:124]
	s_wait_alu 0xfffd
	v_add_co_ci_u32_e64 v69, null, s1, v69, vcc_lo
	v_add_co_u32 v70, vcc_lo, s0, v70
	v_lshlrev_b64_e32 v[78:79], 2, v[125:126]
	s_wait_alu 0xfffd
	v_add_co_ci_u32_e64 v71, null, s1, v71, vcc_lo
	;; [unrolled: 4-line block ×4, first 2 shown]
	v_add_co_u32 v84, vcc_lo, s0, v76
	s_wait_alu 0xfffd
	v_add_co_ci_u32_e64 v85, null, s1, v77, vcc_lo
	v_add_co_u32 v78, vcc_lo, s0, v78
	s_wait_alu 0xfffd
	v_add_co_ci_u32_e64 v79, null, s1, v79, vcc_lo
	;; [unrolled: 3-line block ×4, first 2 shown]
	s_clause 0x1
	global_load_b32 v188, v[64:65], off
	global_load_b32 v189, v[66:67], off
	v_add_co_u32 v64, vcc_lo, v68, v184
	s_wait_alu 0xfffd
	v_add_co_ci_u32_e64 v65, null, 0, v69, vcc_lo
	v_add_co_u32 v68, vcc_lo, v70, v184
	s_wait_alu 0xfffd
	v_add_co_ci_u32_e64 v69, null, 0, v71, vcc_lo
	;; [unrolled: 3-line block ×8, first 2 shown]
	s_clause 0x7
	global_load_b128 v[64:67], v[64:65], off
	global_load_b128 v[68:71], v[68:69], off
	;; [unrolled: 1-line block ×8, first 2 shown]
	v_lshlrev_b64_e32 v[190:191], 2, v[99:100]
	s_mul_u64 s[0:1], s[16:17], s[36:37]
	v_lshlrev_b64_e32 v[192:193], 2, v[101:102]
	s_wait_alu 0xfffe
	s_lshl_b64 s[0:1], s[0:1], 2
	v_lshlrev_b64_e32 v[194:195], 2, v[103:104]
	s_wait_alu 0xfffe
	s_add_nc_u64 s[2:3], s[10:11], s[0:1]
	v_lshlrev_b64_e32 v[196:197], 2, v[105:106]
	s_wait_alu 0xfffe
	v_add_co_u32 v190, s0, s2, v190
	v_lshlrev_b64_e32 v[198:199], 2, v[107:108]
	s_wait_alu 0xf1ff
	v_add_co_ci_u32_e64 v191, null, s3, v191, s0
	v_add_co_u32 v192, s0, s2, v192
	v_lshlrev_b64_e32 v[200:201], 2, v[109:110]
	s_wait_alu 0xf1ff
	v_add_co_ci_u32_e64 v193, null, s3, v193, s0
	;; [unrolled: 4-line block ×4, first 2 shown]
	v_add_co_u32 v198, s0, s2, v198
	s_wait_alu 0xf1ff
	v_add_co_ci_u32_e64 v199, null, s3, v199, s0
	v_add_co_u32 v210, s0, s2, v200
	s_wait_alu 0xf1ff
	v_add_co_ci_u32_e64 v211, null, s3, v201, s0
	;; [unrolled: 3-line block ×9, first 2 shown]
	v_add_co_u32 v216, s0, v210, v184
	v_dual_mov_b32 v187, v167 :: v_dual_mov_b32 v186, v163
	s_wait_alu 0xf1ff
	v_add_co_ci_u32_e64 v217, null, 0, v211, s0
	v_add_co_u32 v220, s0, v202, v184
	s_wait_alu 0xf1ff
	v_add_co_ci_u32_e64 v221, null, 0, v203, s0
	v_add_co_u32 v224, s0, v214, v184
	s_wait_alu 0xf1ff
	v_add_co_ci_u32_e64 v225, null, 0, v215, s0
	s_add_co_i32 s96, s96, 1
	s_add_co_i32 s16, s16, 32
	s_wait_alu 0xfffe
	v_cmp_lt_i32_e32 vcc_lo, s96, v166
	s_wait_loadcnt 0x8
	ds_store_2addr_b32 v185, v188, v189 offset0:128 offset1:208
	s_wait_loadcnt 0x7
	ds_store_b128 v170, v[64:67]
	s_wait_loadcnt 0x6
	ds_store_b128 v171, v[68:71]
	;; [unrolled: 2-line block ×8, first 2 shown]
	s_wait_dscnt 0x0
	s_barrier_signal -1
	s_barrier_wait -1
	global_inv scope:SCOPE_SE
	ds_load_b128 v[72:75], v178
	ds_load_b128 v[76:79], v178 offset:32
	ds_load_b128 v[80:83], v178 offset:64
	;; [unrolled: 1-line block ×7, first 2 shown]
	s_wait_loadcnt_dscnt 0x0
	s_barrier_signal -1
	s_barrier_wait -1
	global_inv scope:SCOPE_SE
	s_and_b32 vcc_lo, exec_lo, vcc_lo
	v_wmma_f32_16x16x16_f16 v[64:71], v[72:75], v[28:31], 0
	s_delay_alu instid0(VALU_DEP_1) | instskip(NEXT) | instid1(VALU_DEP_1)
	v_wmma_f32_16x16x16_f16 v[64:71], v[76:79], v[24:27], v[64:71]
	v_wmma_f32_16x16x16_f16 v[64:71], v[80:83], v[20:23], v[64:71]
	s_delay_alu instid0(VALU_DEP_1) | instskip(NEXT) | instid1(VALU_DEP_1)
	v_wmma_f32_16x16x16_f16 v[64:71], v[84:87], v[8:11], v[64:71]
	;; [unrolled: 3-line block ×3, first 2 shown]
	v_wmma_f32_16x16x16_f16 v[64:71], v[188:191], v[4:7], v[64:71]
	s_delay_alu instid0(VALU_DEP_1)
	v_wmma_f32_16x16x16_f16 v[64:71], v[192:195], v[0:3], v[64:71]
	v_add_nc_u32_e32 v163, 0x2200, v179
	v_add_nc_u32_e32 v167, 0x2208, v179
	ds_load_2addr_b32 v[228:229], v163 offset1:1
	ds_load_2addr_b32 v[230:231], v167 offset1:1
	s_clause 0x7
	global_load_b128 v[196:199], v[196:197], off
	global_load_b128 v[200:203], v[200:201], off
	;; [unrolled: 1-line block ×8, first 2 shown]
	s_wait_loadcnt 0x7
	ds_store_b128 v170, v[196:199]
	s_wait_loadcnt 0x6
	ds_store_b128 v171, v[200:203]
	;; [unrolled: 2-line block ×8, first 2 shown]
	s_wait_dscnt 0x9
	v_lshrrev_b32_e32 v73, 16, v228
	v_cvt_f32_f16_e64 v72, v228
	v_lshrrev_b32_e32 v75, 16, v229
	v_cvt_f32_f16_e64 v74, v229
	s_wait_dscnt 0x8
	v_cvt_f32_f16_e64 v163, v230
	v_cvt_f32_f16_e32 v73, v73
	v_lshrrev_b32_e32 v167, 16, v230
	v_cvt_f32_f16_e32 v75, v75
	v_add_f32_e32 v64, v64, v72
	v_add_nc_u32_e32 v136, 0x400, v181
	v_dual_add_f32 v65, v65, v73 :: v_dual_add_f32 v68, v68, v163
	v_lshrrev_b32_e32 v229, 16, v231
	v_cvt_f32_f16_e64 v76, v167
	v_dual_add_f32 v66, v66, v74 :: v_dual_add_f32 v67, v67, v75
	s_delay_alu instid0(VALU_DEP_4) | instskip(SKIP_2) | instid1(VALU_DEP_4)
	v_dual_add_f32 v72, 0x40051340, v64 :: v_dual_add_f32 v73, 0x40051340, v65
	v_cvt_f32_f16_e64 v228, v231
	v_cvt_f32_f16_e64 v77, v229
	v_dual_add_f32 v69, v69, v76 :: v_dual_add_f32 v74, 0x40051340, v66
	v_dual_add_f32 v75, 0x40051340, v67 :: v_dual_add_f32 v76, 0x40051340, v68
	v_max3_num_f32 v72, v187, v72, v73
	s_delay_alu instid0(VALU_DEP_4) | instskip(NEXT) | instid1(VALU_DEP_4)
	v_dual_add_f32 v70, v70, v228 :: v_dual_add_f32 v71, v71, v77
	v_add_f32_e32 v77, 0x40051340, v69
	s_wait_dscnt 0x0
	s_delay_alu instid0(VALU_DEP_3) | instskip(NEXT) | instid1(VALU_DEP_3)
	v_max3_num_f32 v72, v72, v74, v75
	v_dual_add_f32 v78, 0x40051340, v70 :: v_dual_add_f32 v79, 0x40051340, v71
	s_barrier_signal -1
	s_barrier_wait -1
	s_delay_alu instid0(VALU_DEP_2)
	v_max3_num_f32 v72, v72, v76, v77
	global_inv scope:SCOPE_SE
	v_max3_num_f32 v72, v72, v78, v79
	ds_bpermute_b32 v73, v180, v72
	s_wait_dscnt 0x0
	v_max_num_f32_e32 v73, v73, v73
	s_delay_alu instid0(VALU_DEP_1) | instskip(NEXT) | instid1(VALU_DEP_1)
	v_max_num_f32_e32 v167, v72, v73
	v_sub_f32_e32 v67, v67, v167
	s_delay_alu instid0(VALU_DEP_1) | instskip(SKIP_2) | instid1(VALU_DEP_3)
	v_mul_f32_e32 v76, 0x3fb8aa3b, v67
	v_sub_f32_e32 v64, v64, v167
	v_sub_f32_e32 v66, v66, v167
	v_rndne_f32_e32 v89, v76
	s_delay_alu instid0(VALU_DEP_3) | instskip(NEXT) | instid1(VALU_DEP_3)
	v_dual_mul_f32 v73, 0x3fb8aa3b, v64 :: v_dual_sub_f32 v68, v68, v167
	v_dual_mul_f32 v75, 0x3fb8aa3b, v66 :: v_dual_sub_f32 v70, v70, v167
	v_cmp_ngt_f32_e64 s8, 0xc2ce8ed0, v64
	s_delay_alu instid0(VALU_DEP_3) | instskip(SKIP_3) | instid1(VALU_DEP_4)
	v_fma_f32 v82, 0x3fb8aa3b, v64, -v73
	v_sub_f32_e32 v69, v69, v167
	v_dual_mul_f32 v77, 0x3fb8aa3b, v68 :: v_dual_sub_f32 v72, v187, v167
	v_mul_f32_e32 v79, 0x3fb8aa3b, v70
	v_dual_fmac_f32 v82, 0x32a5705f, v64 :: v_dual_sub_f32 v65, v65, v167
	s_delay_alu instid0(VALU_DEP_3) | instskip(SKIP_2) | instid1(VALU_DEP_4)
	v_dual_mul_f32 v78, 0x3fb8aa3b, v69 :: v_dual_mul_f32 v81, 0x3fb8aa3b, v72
	v_rndne_f32_e32 v83, v73
	v_fma_f32 v86, 0x3fb8aa3b, v66, -v75
	v_mul_f32_e32 v74, 0x3fb8aa3b, v65
	v_rndne_f32_e32 v87, v75
	v_fma_f32 v88, 0x3fb8aa3b, v67, -v76
	v_fma_f32 v90, 0x3fb8aa3b, v68, -v77
	v_rndne_f32_e32 v91, v77
	v_fma_f32 v84, 0x3fb8aa3b, v65, -v74
	v_sub_f32_e32 v71, v71, v167
	v_rndne_f32_e32 v85, v74
	v_fma_f32 v188, 0x3fb8aa3b, v72, -v81
	v_rndne_f32_e32 v189, v81
	v_fmac_f32_e32 v84, 0x32a5705f, v65
	v_mul_f32_e32 v80, 0x3fb8aa3b, v71
	v_dual_sub_f32 v73, v73, v83 :: v_dual_fmac_f32 v86, 0x32a5705f, v66
	v_sub_f32_e32 v74, v74, v85
	v_fma_f32 v92, 0x3fb8aa3b, v69, -v78
	s_delay_alu instid0(VALU_DEP_4)
	v_rndne_f32_e32 v187, v80
	v_fma_f32 v94, 0x3fb8aa3b, v70, -v79
	v_rndne_f32_e32 v95, v79
	v_fma_f32 v163, 0x3fb8aa3b, v71, -v80
	v_dual_sub_f32 v75, v75, v87 :: v_dual_sub_f32 v76, v76, v89
	v_dual_fmac_f32 v88, 0x32a5705f, v67 :: v_dual_sub_f32 v81, v81, v189
	v_dual_fmac_f32 v90, 0x32a5705f, v68 :: v_dual_sub_f32 v77, v77, v91
	v_dual_sub_f32 v80, v80, v187 :: v_dual_add_f32 v73, v73, v82
	s_delay_alu instid0(VALU_DEP_4) | instskip(NEXT) | instid1(VALU_DEP_3)
	v_dual_fmac_f32 v188, 0x32a5705f, v72 :: v_dual_add_f32 v75, v75, v86
	v_dual_add_f32 v74, v74, v84 :: v_dual_add_f32 v77, v77, v90
	v_dual_fmac_f32 v92, 0x32a5705f, v69 :: v_dual_sub_f32 v79, v79, v95
	s_delay_alu instid0(VALU_DEP_3)
	v_dual_fmac_f32 v94, 0x32a5705f, v70 :: v_dual_add_f32 v81, v81, v188
	v_add_f32_e32 v76, v76, v88
	v_exp_f32_e32 v73, v73
	v_exp_f32_e32 v74, v74
	v_cvt_i32_f32_e32 v83, v83
	v_cvt_i32_f32_e32 v85, v85
	v_add_f32_e32 v79, v79, v94
	v_exp_f32_e32 v75, v75
	v_exp_f32_e32 v76, v76
	;; [unrolled: 1-line block ×3, first 2 shown]
	v_rndne_f32_e32 v93, v78
	v_cvt_i32_f32_e32 v87, v87
	v_cvt_i32_f32_e32 v89, v89
	;; [unrolled: 1-line block ×3, first 2 shown]
	v_ldexp_f32 v73, v73, v83
	v_ldexp_f32 v74, v74, v85
	v_cmp_ngt_f32_e64 s0, 0xc2ce8ed0, v65
	v_dual_sub_f32 v78, v78, v93 :: v_dual_fmac_f32 v163, 0x32a5705f, v71
	v_ldexp_f32 v75, v75, v87
	v_cmp_ngt_f32_e64 s1, 0xc2ce8ed0, v66
	v_ldexp_f32 v76, v76, v89
	v_cmp_ngt_f32_e64 s2, 0xc2ce8ed0, v67
	v_ldexp_f32 v77, v77, v91
	v_cmp_ngt_f32_e64 s3, 0xc2ce8ed0, v68
	s_wait_alu 0xf1ff
	v_cndmask_b32_e64 v73, 0, v73, s8
	v_cndmask_b32_e64 v74, 0, v74, s0
	v_cmp_nlt_f32_e64 s0, 0x42b17218, v65
	v_cmp_nlt_f32_e64 s8, 0x42b17218, v64
	v_add_f32_e32 v80, v80, v163
	v_cndmask_b32_e64 v65, 0, v75, s1
	v_cmp_nlt_f32_e64 s1, 0x42b17218, v66
	v_cndmask_b32_e64 v66, 0, v76, s2
	v_cmp_nlt_f32_e64 s2, 0x42b17218, v67
	;; [unrolled: 2-line block ×3, first 2 shown]
	s_wait_alu 0xf1ff
	v_cndmask_b32_e64 v64, 0x7f800000, v73, s8
	v_cndmask_b32_e64 v73, 0x7f800000, v74, s0
	v_add_f32_e32 v78, v78, v92
	v_exp_f32_e32 v79, v79
	v_exp_f32_e32 v80, v80
	v_cndmask_b32_e64 v75, 0x7f800000, v67, s3
	v_add_f32_e32 v67, v64, v73
	v_exp_f32_e32 v78, v78
	v_cvt_i32_f32_e32 v93, v93
	v_cvt_i32_f32_e32 v95, v95
	;; [unrolled: 1-line block ×3, first 2 shown]
	v_exp_f32_e32 v81, v81
	v_cvt_i32_f32_e32 v189, v189
	v_cmp_ngt_f32_e64 s4, 0xc2ce8ed0, v69
	v_ldexp_f32 v79, v79, v95
	v_cmp_ngt_f32_e64 s5, 0xc2ce8ed0, v70
	v_ldexp_f32 v80, v80, v187
	v_ldexp_f32 v78, v78, v93
	v_cmp_ngt_f32_e64 s6, 0xc2ce8ed0, v71
	v_cmp_ngt_f32_e64 s7, 0xc2ce8ed0, v72
	v_cndmask_b32_e64 v65, 0x7f800000, v65, s1
	v_ldexp_f32 v81, v81, v189
	s_wait_alu 0xf1ff
	v_cndmask_b32_e64 v68, 0, v78, s4
	v_cmp_nlt_f32_e64 s4, 0x42b17218, v69
	v_cndmask_b32_e64 v69, 0, v79, s5
	v_cmp_nlt_f32_e64 s5, 0x42b17218, v70
	;; [unrolled: 2-line block ×3, first 2 shown]
	v_cndmask_b32_e64 v74, 0x7f800000, v66, s2
	v_cndmask_b32_e64 v71, 0, v81, s7
	v_cmp_nlt_f32_e64 s7, 0x42b17218, v72
	v_cmp_le_f32_e64 s0, 0xc1a00000, v72
	s_wait_alu 0xf1ff
	v_cndmask_b32_e64 v70, 0x7f800000, v70, s6
	v_cvt_f16_f32_e32 v72, v65
	v_cvt_f16_f32_e32 v76, v74
	v_add_f32_e32 v80, v65, v67
	v_cndmask_b32_e64 v66, 0x7f800000, v71, s7
	v_cndmask_b32_e64 v68, 0x7f800000, v68, s4
	;; [unrolled: 1-line block ×3, first 2 shown]
	v_perm_b32 v65, v76, v72, 0x5040100
	v_add_f32_e32 v72, v74, v80
	v_cndmask_b32_e64 v71, 0, v66, s0
	v_cvt_f16_f32_e32 v77, v68
	v_cvt_f16_f32_e32 v78, v69
	;; [unrolled: 1-line block ×3, first 2 shown]
	v_add_f32_e32 v72, v75, v72
	v_cvt_f16_f32_e32 v64, v64
	v_cvt_f16_f32_e32 v73, v73
	v_cvt_f16_f32_e32 v81, v71
	v_perm_b32 v67, v79, v78, 0x5040100
	v_add_f32_e32 v68, v68, v72
	v_cvt_f16_f32_e32 v66, v75
	v_perm_b32 v64, v73, v64, 0x5040100
	s_delay_alu instid0(VALU_DEP_3) | instskip(NEXT) | instid1(VALU_DEP_3)
	v_dual_add_f32 v68, v69, v68 :: v_dual_and_b32 v73, 0xffff, v81
	v_perm_b32 v66, v77, v66, 0x5040100
	s_delay_alu instid0(VALU_DEP_2) | instskip(NEXT) | instid1(VALU_DEP_3)
	v_mul_u32_u24_e32 v73, 0x10001, v73
	v_add_f32_e32 v163, v70, v68
	s_delay_alu instid0(VALU_DEP_2) | instskip(SKIP_1) | instid1(VALU_DEP_3)
	v_pk_mul_f16 v60, v60, v73
	v_pk_mul_f16 v61, v61, v73
	v_fmac_f32_e32 v163, v186, v71
	ds_load_2addr_b32 v[79:80], v181 offset1:16
	ds_load_2addr_b32 v[83:84], v181 offset0:68 offset1:84
	ds_load_2addr_b32 v[85:86], v181 offset0:136 offset1:152
	;; [unrolled: 1-line block ×5, first 2 shown]
	ds_load_2addr_b32 v[91:92], v182 offset1:16
	ds_load_2addr_b32 v[93:94], v183 offset1:16
	ds_load_2addr_b32 v[189:190], v181 offset0:32 offset1:48
	ds_load_2addr_b32 v[191:192], v181 offset0:100 offset1:116
	ds_load_2addr_b32 v[186:187], v181 offset0:168 offset1:184
	ds_load_2addr_b32 v[193:194], v181 offset0:236 offset1:252
	ds_load_2addr_b32 v[195:196], v136 offset0:48 offset1:64
	ds_load_2addr_b32 v[197:198], v136 offset0:116 offset1:132
	ds_load_2addr_b32 v[199:200], v182 offset0:32 offset1:48
	ds_load_2addr_b32 v[201:202], v183 offset0:32 offset1:48
	v_pk_mul_f16 v62, v62, v73
	v_pk_mul_f16 v63, v63, v73
	;; [unrolled: 1-line block ×30, first 2 shown]
	s_wait_dscnt 0xe
	v_perm_b32 v68, v83, v79, 0x7060302
	s_wait_dscnt 0xc
	v_perm_b32 v69, v87, v85, 0x7060302
	;; [unrolled: 2-line block ×4, first 2 shown]
	v_perm_b32 v75, v93, v91, 0x5040100
	v_perm_b32 v74, v89, v81, 0x5040100
	;; [unrolled: 1-line block ×12, first 2 shown]
	s_wait_dscnt 0x6
	v_perm_b32 v84, v191, v189, 0x7060302
	s_wait_dscnt 0x4
	v_perm_b32 v85, v193, v186, 0x7060302
	;; [unrolled: 2-line block ×4, first 2 shown]
	v_perm_b32 v91, v201, v199, 0x5040100
	v_perm_b32 v90, v197, v195, 0x5040100
	;; [unrolled: 1-line block ×12, first 2 shown]
	v_wmma_f16_16x16x16_f16 v[60:63], v[72:75], v[64:67], v[60:63]
	v_wmma_f16_16x16x16_f16 v[52:55], v[68:71], v[64:67], v[52:55]
	;; [unrolled: 1-line block ×8, first 2 shown]
	s_wait_loadcnt 0x0
	s_barrier_signal -1
	s_barrier_wait -1
	global_inv scope:SCOPE_SE
	s_wait_alu 0xfffe
	s_cbranch_vccnz .LBB24_310
; %bb.311:
	v_dual_mov_b32 v65, s37 :: v_dual_mov_b32 v64, s36
	v_dual_mov_b32 v67, s27 :: v_dual_mov_b32 v66, s26
	s_branch .LBB24_313
.LBB24_312:
	v_mov_b32_e32 v55, 0
	s_delay_alu instid0(VALU_DEP_1) | instskip(NEXT) | instid1(VALU_DEP_1)
	v_dual_mov_b32 v63, 0 :: v_dual_mov_b32 v54, v55
	v_dual_mov_b32 v167, 0xfeffffff :: v_dual_mov_b32 v60, v63
	;; [unrolled: 1-line block ×16, first 2 shown]
.LBB24_313:
	s_lshl_b32 s0, s96, 5
	v_lshlrev_b64_e32 v[69:70], 1, v[129:130]
	s_wait_alu 0xfffe
	s_ashr_i32 s1, s0, 31
	v_mul_lo_u32 v71, s0, v67
	s_wait_alu 0xfffe
	v_mul_lo_u32 v72, s1, v66
	s_lshl_b64 s[2:3], s[0:1], 1
	v_mul_hi_u32 v75, s0, v66
	s_wait_alu 0xfffe
	s_add_nc_u64 s[2:3], s[14:15], s[2:3]
	v_lshlrev_b64_e32 v[67:68], 1, v[127:128]
	s_wait_alu 0xfffe
	v_add_co_u32 v73, s2, s2, v165
	v_mul_lo_u32 v66, s0, v66
	v_add_nc_u32_e32 v76, v71, v72
	s_wait_alu 0xf1ff
	v_add_co_ci_u32_e64 v74, null, s3, 0, s2
	v_add_co_u32 v71, vcc_lo, v73, v67
	s_delay_alu instid0(VALU_DEP_3) | instskip(SKIP_1) | instid1(VALU_DEP_3)
	v_add_nc_u32_e32 v67, v76, v75
	s_wait_alu 0xfffd
	v_add_co_ci_u32_e64 v72, null, v74, v68, vcc_lo
	v_add_co_u32 v68, vcc_lo, v73, v69
	s_delay_alu instid0(VALU_DEP_3)
	v_lshlrev_b64_e32 v[66:67], 2, v[66:67]
	s_wait_alu 0xfffd
	v_add_co_ci_u32_e64 v69, null, v74, v70, vcc_lo
	s_clause 0x1
	global_load_b32 v127, v[71:72], off
	global_load_b32 v128, v[68:69], off
	v_lshlrev_b64_e32 v[68:69], 2, v[115:116]
	v_add_co_u32 v76, vcc_lo, s12, v66
	s_wait_alu 0xfffd
	v_add_co_ci_u32_e64 v77, null, s13, v67, vcc_lo
	v_lshlrev_b64_e32 v[94:95], 2, v[97:98]
	s_delay_alu instid0(VALU_DEP_3) | instskip(SKIP_3) | instid1(VALU_DEP_3)
	v_add_co_u32 v68, vcc_lo, v76, v68
	v_lshlrev_b64_e32 v[66:67], 2, v[117:118]
	s_wait_alu 0xfffd
	v_add_co_ci_u32_e64 v69, null, v77, v69, vcc_lo
	v_add_co_u32 v68, vcc_lo, v68, v94
	v_mul_lo_u32 v65, s0, v65
	s_wait_alu 0xfffd
	s_delay_alu instid0(VALU_DEP_3) | instskip(SKIP_4) | instid1(VALU_DEP_3)
	v_add_co_ci_u32_e64 v69, null, v69, v95, vcc_lo
	v_add_co_u32 v70, vcc_lo, v76, v66
	s_wait_alu 0xfffd
	v_add_co_ci_u32_e64 v71, null, v77, v67, vcc_lo
	v_lshlrev_b64_e32 v[66:67], 2, v[119:120]
	v_add_co_u32 v70, vcc_lo, v70, v94
	s_wait_alu 0xfffd
	s_delay_alu instid0(VALU_DEP_3) | instskip(SKIP_1) | instid1(VALU_DEP_4)
	v_add_co_ci_u32_e64 v71, null, v71, v95, vcc_lo
	v_lshlrev_b32_e32 v120, 2, v97
	v_add_co_u32 v72, vcc_lo, v76, v66
	s_wait_alu 0xfffd
	v_add_co_ci_u32_e64 v73, null, v77, v67, vcc_lo
	v_lshlrev_b64_e32 v[66:67], 2, v[121:122]
	s_delay_alu instid0(VALU_DEP_3) | instskip(SKIP_1) | instid1(VALU_DEP_3)
	v_add_co_u32 v74, vcc_lo, v72, v94
	s_wait_alu 0xfffd
	v_add_co_ci_u32_e64 v75, null, v73, v95, vcc_lo
	v_mul_lo_u32 v121, s1, v64
	s_delay_alu instid0(VALU_DEP_4) | instskip(SKIP_3) | instid1(VALU_DEP_3)
	v_add_co_u32 v72, vcc_lo, v76, v66
	s_wait_alu 0xfffd
	v_add_co_ci_u32_e64 v73, null, v77, v67, vcc_lo
	v_lshlrev_b64_e32 v[66:67], 2, v[123:124]
	v_add_co_u32 v78, vcc_lo, v72, v94
	s_wait_alu 0xfffd
	s_delay_alu instid0(VALU_DEP_3) | instskip(SKIP_1) | instid1(VALU_DEP_4)
	v_add_co_ci_u32_e64 v79, null, v73, v95, vcc_lo
	v_mul_hi_u32 v122, s0, v64
	v_add_co_u32 v72, vcc_lo, v76, v66
	s_wait_alu 0xfffd
	v_add_co_ci_u32_e64 v73, null, v77, v67, vcc_lo
	v_lshlrev_b64_e32 v[66:67], 2, v[125:126]
	s_delay_alu instid0(VALU_DEP_3) | instskip(SKIP_1) | instid1(VALU_DEP_3)
	v_add_co_u32 v82, vcc_lo, v72, v94
	s_wait_alu 0xfffd
	v_add_co_ci_u32_e64 v83, null, v73, v95, vcc_lo
	v_add_nc_u32_e32 v65, v65, v121
	s_delay_alu instid0(VALU_DEP_4) | instskip(SKIP_3) | instid1(VALU_DEP_3)
	v_add_co_u32 v72, vcc_lo, v76, v66
	s_wait_alu 0xfffd
	v_add_co_ci_u32_e64 v73, null, v77, v67, vcc_lo
	v_lshlrev_b64_e32 v[66:67], 2, v[131:132]
	v_add_co_u32 v86, vcc_lo, v72, v94
	s_wait_alu 0xfffd
	s_delay_alu instid0(VALU_DEP_3) | instskip(SKIP_1) | instid1(VALU_DEP_4)
	v_add_co_ci_u32_e64 v87, null, v73, v95, vcc_lo
	v_lshlrev_b64_e32 v[72:73], 2, v[133:134]
	v_add_co_u32 v66, vcc_lo, v76, v66
	s_wait_alu 0xfffd
	v_add_co_ci_u32_e64 v67, null, v77, v67, vcc_lo
	v_mul_lo_u32 v64, s0, v64
	s_delay_alu instid0(VALU_DEP_4)
	v_add_co_u32 v72, vcc_lo, v76, v72
	s_wait_alu 0xfffd
	v_add_co_ci_u32_e64 v73, null, v77, v73, vcc_lo
	v_add_co_u32 v90, vcc_lo, v66, v94
	s_wait_alu 0xfffd
	v_add_co_ci_u32_e64 v91, null, v67, v95, vcc_lo
	;; [unrolled: 3-line block ×3, first 2 shown]
	s_clause 0x7
	global_load_b128 v[66:69], v[68:69], off
	global_load_b128 v[70:73], v[70:71], off
	;; [unrolled: 1-line block ×8, first 2 shown]
	v_add_nc_u32_e32 v65, v65, v122
	v_lshlrev_b64_e32 v[97:98], 2, v[99:100]
	v_lshlrev_b64_e32 v[99:100], 2, v[101:102]
	;; [unrolled: 1-line block ×9, first 2 shown]
	v_add_nc_u32_e32 v119, 0, v165
	v_add_co_u32 v64, vcc_lo, s10, v64
	s_wait_alu 0xfffd
	v_add_co_ci_u32_e64 v65, null, s11, v65, vcc_lo
	v_add_nc_u32_e32 v136, 0, v164
	s_delay_alu instid0(VALU_DEP_3) | instskip(SKIP_1) | instid1(VALU_DEP_3)
	v_add_co_u32 v97, vcc_lo, v64, v97
	s_wait_alu 0xfffd
	v_add_co_ci_u32_e64 v98, null, v65, v98, vcc_lo
	v_add_co_u32 v99, vcc_lo, v64, v99
	s_wait_alu 0xfffd
	v_add_co_ci_u32_e64 v100, null, v65, v100, vcc_lo
	;; [unrolled: 3-line block ×10, first 2 shown]
	v_add_co_u32 v113, vcc_lo, v101, v94
	v_add_nc_u32_e32 v123, v119, v144
	v_add_nc_u32_e32 v124, v119, v146
	s_wait_alu 0xfffd
	v_add_co_ci_u32_e64 v114, null, v102, v95, vcc_lo
	v_add_co_u32 v119, vcc_lo, v103, v94
	v_add3_u32 v146, 0, v145, v120
	v_add3_u32 v147, 0, v147, v120
	;; [unrolled: 1-line block ×8, first 2 shown]
	s_wait_alu 0xfffd
	v_add_co_ci_u32_e64 v120, null, v104, v95, vcc_lo
	v_add_co_u32 v121, vcc_lo, v105, v94
	s_wait_alu 0xfffd
	v_add_co_ci_u32_e64 v122, null, v106, v95, vcc_lo
	v_add_co_u32 v125, vcc_lo, v107, v94
	v_add3_u32 v131, v136, v142, v143
	s_wait_alu 0xfffd
	v_add_co_ci_u32_e64 v126, null, v108, v95, vcc_lo
	v_add_co_u32 v129, vcc_lo, v129, v94
	s_wait_alu 0xfffd
	v_add_co_ci_u32_e64 v130, null, v130, v95, vcc_lo
	v_add_co_u32 v133, vcc_lo, v111, v94
	s_wait_alu 0xfffd
	v_add_co_ci_u32_e64 v134, null, v112, v95, vcc_lo
	v_cmp_lt_i32_e32 vcc_lo, v154, v156
	v_cmp_gt_u32_e64 s0, 16, v96
	s_wait_loadcnt 0x9
	ds_store_b32 v123, v127 offset:8704
	s_wait_loadcnt 0x8
	ds_store_b32 v124, v128 offset:8704
	s_wait_loadcnt 0x7
	ds_store_b128 v146, v[66:69]
	s_wait_loadcnt 0x6
	ds_store_b128 v147, v[70:73]
	s_wait_loadcnt 0x5
	ds_store_b128 v148, v[74:77]
	s_wait_loadcnt 0x4
	ds_store_b128 v149, v[78:81]
	s_wait_loadcnt 0x3
	ds_store_b128 v150, v[82:85]
	s_wait_loadcnt 0x2
	ds_store_b128 v151, v[86:89]
	s_wait_loadcnt 0x1
	ds_store_b128 v155, v[90:93]
	s_wait_loadcnt 0x0
	ds_store_b128 v159, v[115:118]
	s_wait_dscnt 0x0
	s_barrier_signal -1
	s_barrier_wait -1
	global_inv scope:SCOPE_SE
	ds_load_b128 v[72:75], v131
	ds_load_b128 v[76:79], v131 offset:32
	ds_load_b128 v[80:83], v131 offset:64
	;; [unrolled: 1-line block ×7, first 2 shown]
	s_wait_loadcnt_dscnt 0x0
	s_barrier_signal -1
	s_barrier_wait -1
	global_inv scope:SCOPE_SE
	s_clause 0x7
	global_load_b128 v[105:108], v[64:65], off
	global_load_b128 v[109:112], v[109:110], off
	;; [unrolled: 1-line block ×8, first 2 shown]
	v_lshlrev_b32_e32 v64, 2, v157
	s_delay_alu instid0(VALU_DEP_1) | instskip(SKIP_1) | instid1(VALU_DEP_2)
	v_add3_u32 v133, 0, v158, v64
	v_wmma_f32_16x16x16_f16 v[64:71], v[72:75], v[28:31], 0
	v_add_nc_u32_e32 v28, 0x2200, v133
	s_delay_alu instid0(VALU_DEP_2)
	v_wmma_f32_16x16x16_f16 v[64:71], v[76:79], v[24:27], v[64:71]
	v_add_nc_u32_e32 v26, 0x2208, v133
	ds_load_2addr_b32 v[24:25], v28 offset1:1
	v_wmma_f32_16x16x16_f16 v[64:71], v[80:83], v[20:23], v[64:71]
	ds_load_2addr_b32 v[20:21], v26 offset1:1
	s_wait_loadcnt 0x7
	ds_store_b128 v146, v[105:108]
	s_wait_loadcnt 0x6
	ds_store_b128 v147, v[109:112]
	;; [unrolled: 2-line block ×8, first 2 shown]
	v_wmma_f32_16x16x16_f16 v[64:71], v[84:87], v[8:11], v[64:71]
	s_wait_dscnt 0x9
	v_lshrrev_b32_e32 v9, 16, v24
	v_cvt_f32_f16_e32 v8, v24
	v_cvt_f32_f16_e32 v10, v25
	s_wait_dscnt 0x0
	v_wmma_f32_16x16x16_f16 v[64:71], v[88:91], v[12:15], v[64:71]
	s_barrier_signal -1
	s_barrier_wait -1
	global_inv scope:SCOPE_SE
	v_wmma_f32_16x16x16_f16 v[64:71], v[92:95], v[16:19], v[64:71]
	s_delay_alu instid0(VALU_DEP_1)
	v_wmma_f32_16x16x16_f16 v[64:71], v[97:100], v[4:7], v[64:71]
	v_lshrrev_b32_e32 v4, 16, v25
	v_cvt_f32_f16_e32 v5, v20
	v_lshrrev_b32_e32 v6, 16, v20
	v_cvt_f32_f16_e32 v7, v21
	v_wmma_f32_16x16x16_f16 v[64:71], v[101:104], v[0:3], v[64:71]
	v_cvt_f32_f16_e32 v0, v9
	v_cvt_f32_f16_e32 v2, v4
	v_lshrrev_b32_e32 v1, 16, v21
	v_cvt_f32_f16_e32 v3, v6
	v_add_f32_e32 v4, v64, v8
	v_add_f32_e32 v0, v65, v0
	v_dual_add_f32 v6, v66, v10 :: v_dual_add_f32 v5, v68, v5
	v_add_f32_e32 v2, v67, v2
	s_delay_alu instid0(VALU_DEP_4) | instskip(NEXT) | instid1(VALU_DEP_4)
	v_add_f32_e32 v8, 0x40051340, v4
	v_add_f32_e32 v9, 0x40051340, v0
	v_cvt_f32_f16_e32 v1, v1
	v_dual_add_f32 v3, v69, v3 :: v_dual_add_f32 v10, 0x40051340, v6
	v_add_f32_e32 v7, v70, v7
	s_delay_alu instid0(VALU_DEP_4)
	v_max3_num_f32 v8, v167, v8, v9
	v_add_f32_e32 v9, 0x40051340, v5
	v_add_f32_e32 v11, 0x40051340, v2
	v_dual_add_f32 v1, v71, v1 :: v_dual_add_f32 v12, 0x40051340, v3
	v_add3_u32 v78, v136, v162, v152
	v_add3_u32 v82, v136, v160, v152
	s_delay_alu instid0(VALU_DEP_4)
	v_max3_num_f32 v8, v8, v10, v11
	s_wait_alu 0xfffd
	v_dual_cndmask_b32 v10, v153, v154 :: v_dual_add_f32 v11, 0x40051340, v7
	v_add_f32_e32 v13, 0x40051340, v1
	v_add_nc_u32_e32 v80, 0x400, v78
	v_max3_num_f32 v8, v8, v9, v12
	s_delay_alu instid0(VALU_DEP_4) | instskip(SKIP_1) | instid1(VALU_DEP_3)
	v_lshlrev_b32_e32 v68, 2, v10
	v_add3_u32 v84, v136, v161, v152
	v_max3_num_f32 v8, v8, v11, v13
	ds_bpermute_b32 v9, v68, v8
	s_wait_dscnt 0x0
	v_max_num_f32_e32 v9, v9, v9
	s_delay_alu instid0(VALU_DEP_1) | instskip(NEXT) | instid1(VALU_DEP_1)
	v_max_num_f32_e32 v69, v8, v9
	v_sub_f32_e32 v0, v0, v69
	s_delay_alu instid0(VALU_DEP_1) | instskip(SKIP_3) | instid1(VALU_DEP_4)
	v_dual_mul_f32 v10, 0x3fb8aa3b, v0 :: v_dual_sub_f32 v7, v7, v69
	v_sub_f32_e32 v6, v6, v69
	v_sub_f32_e32 v8, v167, v69
	;; [unrolled: 1-line block ×3, first 2 shown]
	v_rndne_f32_e32 v21, v10
	v_dual_mul_f32 v15, 0x3fb8aa3b, v7 :: v_dual_sub_f32 v4, v4, v69
	v_mul_f32_e32 v11, 0x3fb8aa3b, v6
	v_mul_f32_e32 v17, 0x3fb8aa3b, v8
	v_dual_sub_f32 v5, v5, v69 :: v_dual_mul_f32 v12, 0x3fb8aa3b, v2
	s_delay_alu instid0(VALU_DEP_4)
	v_mul_f32_e32 v9, 0x3fb8aa3b, v4
	v_fma_f32 v20, 0x3fb8aa3b, v0, -v10
	v_sub_f32_e32 v1, v1, v69
	v_fma_f32 v22, 0x3fb8aa3b, v6, -v11
	v_rndne_f32_e32 v25, v12
	v_fma_f32 v18, 0x3fb8aa3b, v4, -v9
	v_rndne_f32_e32 v19, v9
	v_sub_f32_e32 v3, v3, v69
	v_fma_f32 v24, 0x3fb8aa3b, v2, -v12
	v_rndne_f32_e32 v23, v11
	s_delay_alu instid0(VALU_DEP_4) | instskip(SKIP_3) | instid1(VALU_DEP_4)
	v_dual_fmac_f32 v18, 0x32a5705f, v4 :: v_dual_sub_f32 v9, v9, v19
	v_sub_f32_e32 v12, v12, v25
	v_rndne_f32_e32 v67, v17
	v_cvt_i32_f32_e32 v19, v19
	v_dual_fmac_f32 v20, 0x32a5705f, v0 :: v_dual_add_f32 v9, v9, v18
	v_sub_f32_e32 v10, v10, v21
	v_mul_f32_e32 v13, 0x3fb8aa3b, v5
	v_sub_f32_e32 v11, v11, v23
	v_cmp_ngt_f32_e32 vcc_lo, 0xc2ce8ed0, v4
	v_exp_f32_e32 v9, v9
	v_add_f32_e32 v10, v10, v20
	v_fma_f32 v26, 0x3fb8aa3b, v5, -v13
	v_cvt_i32_f32_e32 v21, v21
	v_cvt_i32_f32_e32 v23, v23
	v_mul_f32_e32 v14, 0x3fb8aa3b, v3
	v_exp_f32_e32 v10, v10
	v_rndne_f32_e32 v27, v13
	v_cvt_i32_f32_e32 v25, v25
	v_fma_f32 v30, 0x3fb8aa3b, v7, -v15
	v_ldexp_f32 v9, v9, v19
	v_fmac_f32_e32 v22, 0x32a5705f, v6
	v_fma_f32 v28, 0x3fb8aa3b, v3, -v14
	v_sub_f32_e32 v13, v13, v27
	v_fma_f32 v66, 0x3fb8aa3b, v8, -v17
	s_wait_alu 0xfffd
	v_cndmask_b32_e32 v9, 0, v9, vcc_lo
	v_dual_fmac_f32 v26, 0x32a5705f, v5 :: v_dual_add_f32 v11, v11, v22
	v_ldexp_f32 v10, v10, v21
	v_cmp_ngt_f32_e32 vcc_lo, 0xc2ce8ed0, v0
	s_delay_alu instid0(VALU_DEP_3) | instskip(NEXT) | instid1(VALU_DEP_4)
	v_dual_fmac_f32 v28, 0x32a5705f, v3 :: v_dual_add_f32 v13, v13, v26
	v_exp_f32_e32 v11, v11
	v_cvt_i32_f32_e32 v27, v27
	s_wait_alu 0xfffd
	v_cndmask_b32_e32 v10, 0, v10, vcc_lo
	v_cmp_ngt_f32_e32 vcc_lo, 0xc2ce8ed0, v6
	v_exp_f32_e32 v13, v13
	v_rndne_f32_e32 v29, v14
	v_rndne_f32_e32 v31, v15
	v_dual_sub_f32 v17, v17, v67 :: v_dual_mul_f32 v16, 0x3fb8aa3b, v1
	v_cvt_i32_f32_e32 v18, v67
	v_ldexp_f32 v11, v11, v23
	s_delay_alu instid0(VALU_DEP_4) | instskip(NEXT) | instid1(VALU_DEP_4)
	v_dual_fmac_f32 v24, 0x32a5705f, v2 :: v_dual_sub_f32 v15, v15, v31
	v_fma_f32 v64, 0x3fb8aa3b, v1, -v16
	s_delay_alu instid0(TRANS32_DEP_1) | instskip(SKIP_1) | instid1(VALU_DEP_3)
	v_ldexp_f32 v13, v13, v27
	s_wait_alu 0xfffd
	v_dual_cndmask_b32 v11, 0, v11 :: v_dual_add_f32 v12, v12, v24
	v_cmp_ngt_f32_e32 vcc_lo, 0xc2ce8ed0, v2
	v_rndne_f32_e32 v65, v16
	v_cvt_i32_f32_e32 v31, v31
	s_delay_alu instid0(VALU_DEP_4) | instskip(NEXT) | instid1(TRANS32_DEP_1)
	v_exp_f32_e32 v12, v12
	v_ldexp_f32 v12, v12, v25
	s_wait_alu 0xfffd
	s_delay_alu instid0(VALU_DEP_1) | instskip(SKIP_3) | instid1(VALU_DEP_1)
	v_cndmask_b32_e32 v12, 0, v12, vcc_lo
	v_cmp_ngt_f32_e32 vcc_lo, 0xc2ce8ed0, v5
	s_wait_alu 0xfffd
	v_dual_fmac_f32 v66, 0x32a5705f, v8 :: v_dual_cndmask_b32 v13, 0, v13
	v_dual_fmac_f32 v30, 0x32a5705f, v7 :: v_dual_add_f32 v17, v17, v66
	v_sub_f32_e32 v14, v14, v29
	v_cvt_i32_f32_e32 v29, v29
	v_cmp_ngt_f32_e32 vcc_lo, 0xc2ce8ed0, v3
	s_delay_alu instid0(VALU_DEP_4) | instskip(SKIP_2) | instid1(VALU_DEP_2)
	v_add_f32_e32 v15, v15, v30
	v_exp_f32_e32 v17, v17
	v_add_f32_e32 v14, v14, v28
	v_exp_f32_e32 v15, v15
	s_delay_alu instid0(VALU_DEP_1) | instskip(NEXT) | instid1(TRANS32_DEP_3)
	v_exp_f32_e32 v14, v14
	v_ldexp_f32 v17, v17, v18
	s_delay_alu instid0(TRANS32_DEP_2) | instskip(NEXT) | instid1(TRANS32_DEP_1)
	v_ldexp_f32 v15, v15, v31
	v_ldexp_f32 v14, v14, v29
	s_wait_alu 0xfffd
	s_delay_alu instid0(VALU_DEP_1)
	v_cndmask_b32_e32 v14, 0, v14, vcc_lo
	v_sub_f32_e32 v16, v16, v65
	v_cmp_ngt_f32_e32 vcc_lo, 0xc2ce8ed0, v7
	v_fmac_f32_e32 v64, 0x32a5705f, v1
	v_cvt_i32_f32_e32 v65, v65
	s_wait_alu 0xfffd
	s_delay_alu instid0(VALU_DEP_2) | instskip(SKIP_1) | instid1(VALU_DEP_2)
	v_dual_cndmask_b32 v15, 0, v15 :: v_dual_add_f32 v16, v16, v64
	v_cmp_ngt_f32_e32 vcc_lo, 0xc2ce8ed0, v1
	v_exp_f32_e32 v16, v16
	s_delay_alu instid0(TRANS32_DEP_1) | instskip(SKIP_1) | instid1(VALU_DEP_1)
	v_ldexp_f32 v16, v16, v65
	s_wait_alu 0xfffd
	v_cndmask_b32_e32 v16, 0, v16, vcc_lo
	v_cmp_ngt_f32_e32 vcc_lo, 0xc2ce8ed0, v8
	s_wait_alu 0xfffd
	v_cndmask_b32_e32 v17, 0, v17, vcc_lo
	v_cmp_nlt_f32_e32 vcc_lo, 0x42b17218, v4
	s_wait_alu 0xfffd
	v_cndmask_b32_e32 v4, 0x7f800000, v9, vcc_lo
	v_cmp_nlt_f32_e32 vcc_lo, 0x42b17218, v0
	;; [unrolled: 3-line block ×6, first 2 shown]
	s_delay_alu instid0(VALU_DEP_2) | instskip(SKIP_3) | instid1(VALU_DEP_2)
	v_cvt_f16_f32_e32 v9, v5
	s_wait_alu 0xfffd
	v_cndmask_b32_e32 v3, 0x7f800000, v14, vcc_lo
	v_cmp_nlt_f32_e32 vcc_lo, 0x42b17218, v7
	v_cvt_f16_f32_e32 v11, v3
	s_wait_alu 0xfffd
	v_cndmask_b32_e32 v10, 0x7f800000, v15, vcc_lo
	v_cmp_nlt_f32_e32 vcc_lo, 0x42b17218, v8
	s_delay_alu instid0(VALU_DEP_3) | instskip(NEXT) | instid1(VALU_DEP_3)
	v_perm_b32 v66, v11, v9, 0x5040100
	v_cvt_f16_f32_e32 v12, v10
	s_wait_alu 0xfffd
	v_cndmask_b32_e32 v7, 0x7f800000, v17, vcc_lo
	v_cmp_nlt_f32_e32 vcc_lo, 0x42b17218, v1
	v_add_f32_e32 v1, v4, v0
	v_cvt_f16_f32_e32 v4, v4
	s_delay_alu instid0(VALU_DEP_2) | instskip(SKIP_1) | instid1(VALU_DEP_1)
	v_add_f32_e32 v1, v6, v1
	s_wait_alu 0xfffd
	v_dual_add_f32 v1, v2, v1 :: v_dual_cndmask_b32 v28, 0x7f800000, v16
	v_cmp_le_f32_e32 vcc_lo, 0xc1a00000, v8
	v_cvt_f16_f32_e32 v8, v2
	s_delay_alu instid0(VALU_DEP_3)
	v_add_f32_e32 v1, v5, v1
	v_cvt_f16_f32_e32 v0, v0
	s_wait_alu 0xfffd
	v_cndmask_b32_e32 v29, 0, v7, vcc_lo
	v_cvt_f16_f32_e32 v7, v6
	v_cvt_f16_f32_e32 v13, v28
	v_perm_b32 v64, v0, v4, 0x5040100
	s_delay_alu instid0(VALU_DEP_4) | instskip(SKIP_1) | instid1(VALU_DEP_4)
	v_cvt_f16_f32_e32 v6, v29
	v_add_f32_e32 v0, v3, v1
	v_perm_b32 v67, v13, v12, 0x5040100
	v_perm_b32 v65, v8, v7, 0x5040100
	s_delay_alu instid0(VALU_DEP_4) | instskip(NEXT) | instid1(VALU_DEP_1)
	v_and_b32_e32 v2, 0xffff, v6
	v_mul_u32_u24_e32 v31, 0x10001, v2
	v_add_f32_e32 v2, v10, v0
	s_delay_alu instid0(VALU_DEP_2) | instskip(NEXT) | instid1(VALU_DEP_2)
	v_pk_mul_f16 v20, v60, v31
	v_add_f32_e32 v70, v28, v2
	v_pk_mul_f16 v21, v61, v31
	v_pk_mul_f16 v22, v62, v31
	v_pk_mul_f16 v24, v52, v31
	v_pk_mul_f16 v25, v53, v31
	v_pk_mul_f16 v26, v54, v31
	v_pk_mul_f16 v27, v55, v31
	v_pk_mul_f16 v12, v56, v31
	v_pk_mul_f16 v13, v57, v31
	v_pk_mul_f16 v14, v58, v31
	v_pk_mul_f16 v15, v59, v31
	v_pk_mul_f16 v16, v48, v31
	v_pk_mul_f16 v17, v49, v31
	v_pk_mul_f16 v19, v51, v31
	v_pk_mul_f16 v4, v44, v31
	v_pk_mul_f16 v5, v45, v31
	v_pk_mul_f16 v6, v46, v31
	v_pk_mul_f16 v7, v47, v31
	ds_load_2addr_b32 v[44:45], v78 offset1:16
	ds_load_2addr_b32 v[46:47], v78 offset0:68 offset1:84
	ds_load_2addr_b32 v[48:49], v78 offset0:136 offset1:152
	;; [unrolled: 1-line block ×5, first 2 shown]
	ds_load_2addr_b32 v[57:58], v82 offset1:16
	ds_load_2addr_b32 v[59:60], v84 offset1:16
	v_fmac_f32_e32 v70, v163, v29
	ds_load_2addr_b32 v[72:73], v78 offset0:32 offset1:48
	ds_load_2addr_b32 v[74:75], v78 offset0:100 offset1:116
	;; [unrolled: 1-line block ×8, first 2 shown]
	v_pk_mul_f16 v23, v63, v31
	v_pk_mul_f16 v18, v50, v31
	;; [unrolled: 1-line block ×3, first 2 shown]
	ds_bpermute_b32 v71, v68, v70
	v_pk_mul_f16 v9, v41, v31
	v_pk_mul_f16 v10, v42, v31
	;; [unrolled: 1-line block ×11, first 2 shown]
	s_wait_dscnt 0xf
	v_perm_b32 v32, v46, v44, 0x7060302
	s_wait_dscnt 0xd
	v_perm_b32 v33, v51, v48, 0x7060302
	;; [unrolled: 2-line block ×4, first 2 shown]
	v_perm_b32 v43, v59, v57, 0x5040100
	v_perm_b32 v42, v55, v53, 0x5040100
	;; [unrolled: 1-line block ×12, first 2 shown]
	s_wait_dscnt 0x7
	v_perm_b32 v44, v74, v72, 0x7060302
	s_wait_dscnt 0x5
	v_perm_b32 v45, v78, v76, 0x7060302
	;; [unrolled: 2-line block ×4, first 2 shown]
	v_perm_b32 v59, v84, v82, 0x5040100
	v_perm_b32 v58, v80, v61, 0x5040100
	;; [unrolled: 1-line block ×12, first 2 shown]
	s_wait_loadcnt_dscnt 0x0
	s_barrier_signal -1
	s_barrier_wait -1
	global_inv scope:SCOPE_SE
	s_and_saveexec_b32 s1, s0
	s_cbranch_execz .LBB24_315
; %bb.314:
	v_or_b32_e32 v72, v140, v96
	v_add_f32_e32 v70, v70, v71
	s_delay_alu instid0(VALU_DEP_2)
	v_mad_i32_i24 v71, 0x110, v72, 0
	ds_store_2addr_b32 v71, v69, v70 offset0:64 offset1:65
.LBB24_315:
	s_wait_alu 0xfffe
	s_or_b32 exec_lo, exec_lo, s1
	v_cmp_ne_u32_e64 s1, 0, v137
	v_cmp_eq_u32_e32 vcc_lo, 0, v137
	s_wait_loadcnt_dscnt 0x0
	s_barrier_signal -1
	s_barrier_wait -1
	global_inv scope:SCOPE_SE
	s_and_saveexec_b32 s2, s1
	s_wait_alu 0xfffe
	s_xor_b32 s1, exec_lo, s2
	s_cbranch_execz .LBB24_317
; %bb.316:
	s_wait_loadcnt 0x0
	s_barrier_signal -1
	s_barrier_wait -1
	global_inv scope:SCOPE_SE
                                        ; implicit-def: $vgpr68
                                        ; implicit-def: $vgpr232
.LBB24_317:
	s_wait_alu 0xfffe
	s_or_saveexec_b32 s2, s1
	v_wmma_f16_16x16x16_f16 v[20:23], v[40:43], v[64:67], v[20:23]
	v_wmma_f16_16x16x16_f16 v[24:27], v[32:35], v[64:67], v[24:27]
	;; [unrolled: 1-line block ×8, first 2 shown]
	s_wait_alu 0xfffe
	s_xor_b32 exec_lo, exec_lo, s2
	s_cbranch_execz .LBB24_321
; %bb.318:
	v_add_nc_u32_e32 v32, v140, v96
	s_delay_alu instid0(VALU_DEP_1)
	v_mad_i32_i24 v36, 0x110, v32, 0
	ds_load_b64 v[34:35], v36 offset:256
	s_wait_loadcnt_dscnt 0x0
	s_barrier_signal -1
	s_barrier_wait -1
	global_inv scope:SCOPE_SE
	ds_bpermute_b32 v32, v68, v34
	s_wait_dscnt 0x0
	v_dual_max_num_f32 v33, v34, v34 :: v_dual_max_num_f32 v32, v32, v32
	s_delay_alu instid0(VALU_DEP_1) | instskip(NEXT) | instid1(VALU_DEP_1)
	v_max_num_f32_e32 v32, v33, v32
	v_sub_f32_e32 v33, v34, v32
	s_delay_alu instid0(VALU_DEP_1) | instskip(SKIP_1) | instid1(VALU_DEP_2)
	v_mul_f32_e32 v34, 0x3fb8aa3b, v33
	v_cmp_ngt_f32_e64 s1, 0xc2ce8ed0, v33
	v_fma_f32 v37, 0x3fb8aa3b, v33, -v34
	v_rndne_f32_e32 v38, v34
	s_delay_alu instid0(VALU_DEP_1) | instskip(NEXT) | instid1(VALU_DEP_1)
	v_dual_fmamk_f32 v37, v33, 0x32a5705f, v37 :: v_dual_sub_f32 v34, v34, v38
	v_add_f32_e32 v34, v34, v37
	v_cvt_i32_f32_e32 v37, v38
	s_delay_alu instid0(VALU_DEP_2) | instskip(NEXT) | instid1(TRANS32_DEP_1)
	v_exp_f32_e32 v34, v34
	v_ldexp_f32 v34, v34, v37
	s_wait_alu 0xf1ff
	s_delay_alu instid0(VALU_DEP_1) | instskip(SKIP_2) | instid1(VALU_DEP_1)
	v_cndmask_b32_e64 v34, 0, v34, s1
	v_cmp_nlt_f32_e64 s1, 0x42b17218, v33
	s_wait_alu 0xf1ff
	v_cndmask_b32_e64 v33, 0x7f800000, v34, s1
	s_mov_b32 s1, 0
	s_delay_alu instid0(VALU_DEP_1)
	v_mul_f32_e32 v34, v35, v33
	ds_bpermute_b32 v34, v68, v34
	s_wait_dscnt 0x0
	v_fmac_f32_e32 v34, v35, v33
	ds_store_b64 v36, v[33:34] offset:256
	s_and_saveexec_b32 s3, s0
	s_cbranch_execz .LBB24_320
; %bb.319:
	v_or_b32_e32 v33, v232, v96
	s_add_co_i32 s0, s34, ttmp9
	s_wait_alu 0xfffe
	s_lshl_b32 s0, s0, 4
	s_wait_alu 0xfffe
	s_lshl_b64 s[0:1], s[0:1], 3
	v_lshlrev_b32_e32 v35, 3, v33
	v_mov_b32_e32 v33, v34
	s_wait_alu 0xfffe
	s_add_nc_u64 s[0:1], s[22:23], s[0:1]
	global_store_b64 v35, v[32:33], s[0:1]
.LBB24_320:
	s_wait_alu 0xfffe
	s_or_b32 exec_lo, exec_lo, s3
.LBB24_321:
	s_delay_alu instid0(SALU_CYCLE_1)
	s_or_b32 exec_lo, exec_lo, s2
	v_or_b32_e32 v32, v140, v139
	v_lshlrev_b32_e32 v33, 2, v141
	v_perm_b32 v34, v24, v20, 0x5040100
	v_perm_b32 v20, v24, v20, 0x7060302
	s_mov_b32 s1, 0
	v_mul_i32_i24_e32 v24, 0x110, v32
	v_perm_b32 v32, v25, v21, 0x5040100
	v_perm_b32 v21, v25, v21, 0x7060302
	;; [unrolled: 1-line block ×4, first 2 shown]
	v_add3_u32 v24, 0, v33, v24
	v_perm_b32 v26, v27, v23, 0x5040100
	v_perm_b32 v23, v27, v23, 0x7060302
	;; [unrolled: 1-line block ×10, first 2 shown]
	ds_store_2addr_b32 v24, v34, v20 offset1:1
	ds_store_2addr_b32 v24, v32, v21 offset0:2 offset1:3
	ds_store_2addr_b32 v24, v25, v22 offset0:4 offset1:5
	;; [unrolled: 1-line block ×7, first 2 shown]
	v_perm_b32 v12, v8, v4, 0x5040100
	v_perm_b32 v4, v8, v4, 0x7060302
	;; [unrolled: 1-line block ×16, first 2 shown]
	ds_store_2addr_b32 v24, v12, v4 offset0:32 offset1:33
	ds_store_2addr_b32 v24, v8, v5 offset0:34 offset1:35
	;; [unrolled: 1-line block ×8, first 2 shown]
	s_wait_storecnt 0x0
	s_wait_loadcnt_dscnt 0x0
	s_barrier_signal -1
	s_barrier_wait -1
	global_inv scope:SCOPE_SE
	s_and_saveexec_b32 s2, vcc_lo
	s_cbranch_execz .LBB24_323
; %bb.322:
	v_bfe_u32 v0, v135, 1, 4
	v_add_nc_u32_e32 v17, 1, v138
	v_add_nc_u32_e32 v18, 2, v138
	v_lshlrev_b32_e32 v11, 5, v135
	s_lshl_b32 s0, ttmp9, 10
	v_and_or_b32 v1, 0x3e0, v135, v0
	v_lshlrev_b32_e32 v2, 1, v17
	v_and_b32_e32 v3, 15, v17
	v_lshlrev_b32_e32 v0, 2, v96
	v_lshlrev_b32_e32 v8, 1, v18
	v_mad_u32_u24 v1, 0x110, v1, 0
	v_and_b32_e32 v9, 15, v18
	v_and_or_b32 v3, 0x7e0, v2, v3
	v_add_lshl_u32 v19, v96, v11, 3
	s_wait_alu 0xfffe
	s_lshl_b64 s[4:5], s[0:1], 3
	v_add_nc_u32_e32 v5, v1, v0
	ds_load_2addr_stride64_b32 v[1:2], v1 offset0:1 offset1:18
	v_mad_u32_u24 v7, 0x110, v3, 0
	v_and_or_b32 v13, 0x7e0, v8, v9
	s_lshl_b32 s0, s34, 5
	ds_load_2addr_b32 v[3:4], v5 offset1:32
	v_add_nc_u32_e32 v5, 0x1000, v5
	v_add_nc_u32_e32 v12, v7, v0
	v_mad_u32_u24 v15, 0x110, v13, 0
	v_add_nc_u32_e32 v23, 3, v138
	s_wait_alu 0xfffe
	s_add_nc_u64 s[4:5], s[22:23], s[4:5]
	ds_load_2addr_b32 v[5:6], v5 offset0:64 offset1:96
	ds_load_2addr_stride64_b32 v[7:8], v7 offset0:1 offset1:18
	ds_load_2addr_b32 v[9:10], v12 offset1:32
	v_add_nc_u32_e32 v12, 0x1000, v12
	ds_load_2addr_stride64_b32 v[13:14], v15 offset0:1 offset1:18
	v_add_nc_u32_e32 v22, v15, v0
	s_lshl_b64 s[0:1], s[0:1], 3
	v_lshlrev_b32_e32 v20, 1, v23
	ds_load_2addr_b32 v[11:12], v12 offset0:64 offset1:96
	s_wait_alu 0xfffe
	s_add_nc_u64 s[0:1], s[4:5], s[0:1]
	v_and_b32_e32 v21, 15, v23
	v_add_nc_u32_e32 v27, 5, v138
	s_wait_dscnt 0x5
	v_fma_mix_f32 v15, v1, v3, 0 op_sel_hi:[0,1,0]
	v_fma_mix_f32 v16, v1, v3, 0 op_sel:[0,1,0] op_sel_hi:[0,1,0]
	v_fma_mix_f32 v24, v1, v4, 0 op_sel_hi:[0,1,0]
	v_fma_mix_f32 v25, v1, v4, 0 op_sel:[0,1,0] op_sel_hi:[0,1,0]
	ds_load_2addr_b32 v[3:4], v22 offset1:32
	v_and_b32_e32 v28, 15, v27
	s_wait_dscnt 0x5
	v_fma_mix_f32 v15, v2, v5, v15 op_sel_hi:[0,1,0]
	v_fma_mix_f32 v16, v2, v5, v16 op_sel:[0,1,0] op_sel_hi:[0,1,0]
	v_fma_mix_f32 v1, v2, v6, v24 op_sel_hi:[0,1,0]
	v_fma_mix_f32 v2, v2, v6, v25 op_sel:[0,1,0] op_sel_hi:[0,1,0]
	v_add_nc_u32_e32 v5, 0x1000, v22
	s_wait_dscnt 0x3
	v_fma_mix_f32 v6, v7, v9, 0 op_sel_hi:[0,1,0]
	s_clause 0x1
	global_store_b64 v19, v[15:16], s[0:1]
	global_store_b64 v19, v[1:2], s[0:1] offset:256
	v_lshlrev_b32_e32 v16, 6, v17
	v_add_nc_u32_e32 v24, 4, v138
	s_wait_dscnt 0x1
	v_fma_mix_f32 v1, v8, v11, v6 op_sel_hi:[0,1,0]
	ds_load_2addr_b32 v[5:6], v5 offset0:64 offset1:96
	v_fma_mix_f32 v9, v7, v9, 0 op_sel:[0,1,0] op_sel_hi:[0,1,0]
	v_and_or_b32 v15, 0x7e0, v20, v21
	v_add_lshl_u32 v25, v96, v16, 3
	v_lshlrev_b32_e32 v16, 1, v24
	v_and_b32_e32 v17, 15, v24
	v_fma_mix_f32 v2, v8, v11, v9 op_sel:[0,1,0] op_sel_hi:[0,1,0]
	v_mad_u32_u24 v9, 0x110, v15, 0
	v_fma_mix_f32 v11, v7, v10, 0 op_sel_hi:[0,1,0]
	v_fma_mix_f32 v10, v7, v10, 0 op_sel:[0,1,0] op_sel_hi:[0,1,0]
	v_and_or_b32 v16, 0x7e0, v16, v17
	s_wait_dscnt 0x1
	v_fma_mix_f32 v17, v13, v3, 0 op_sel_hi:[0,1,0]
	v_add_nc_u32_e32 v15, v9, v0
	v_fma_mix_f32 v3, v13, v3, 0 op_sel:[0,1,0] op_sel_hi:[0,1,0]
	v_fma_mix_f32 v7, v8, v12, v11 op_sel_hi:[0,1,0]
	v_mad_u32_u24 v20, 0x110, v16, 0
	v_fma_mix_f32 v8, v8, v12, v10 op_sel:[0,1,0] op_sel_hi:[0,1,0]
	ds_load_2addr_stride64_b32 v[9:10], v9 offset0:1 offset1:18
	ds_load_2addr_b32 v[11:12], v15 offset1:32
	v_lshlrev_b32_e32 v19, 6, v18
	v_add_nc_u32_e32 v18, 0x1000, v15
	s_wait_dscnt 0x2
	v_fma_mix_f32 v15, v14, v5, v17 op_sel_hi:[0,1,0]
	v_fma_mix_f32 v16, v14, v5, v3 op_sel:[0,1,0] op_sel_hi:[0,1,0]
	v_add_nc_u32_e32 v5, v20, v0
	v_fma_mix_f32 v21, v13, v4, 0 op_sel_hi:[0,1,0]
	ds_load_2addr_b32 v[17:18], v18 offset0:64 offset1:96
	v_fma_mix_f32 v4, v13, v4, 0 op_sel:[0,1,0] op_sel_hi:[0,1,0]
	v_add_lshl_u32 v26, v96, v19, 3
	v_add_nc_u32_e32 v13, 0x1000, v5
	v_fma_mix_f32 v3, v14, v6, v21 op_sel_hi:[0,1,0]
	ds_load_2addr_stride64_b32 v[19:20], v20 offset0:1 offset1:18
	ds_load_2addr_b32 v[21:22], v5 offset1:32
	v_fma_mix_f32 v4, v14, v6, v4 op_sel:[0,1,0] op_sel_hi:[0,1,0]
	ds_load_2addr_b32 v[5:6], v13 offset0:64 offset1:96
	v_lshlrev_b32_e32 v13, 1, v27
	s_clause 0x2
	global_store_b64 v25, v[1:2], s[0:1]
	global_store_b64 v25, v[7:8], s[0:1] offset:256
	global_store_b64 v26, v[3:4], s[0:1] offset:256
	v_lshlrev_b32_e32 v3, 6, v23
	v_add_nc_u32_e32 v23, 6, v138
	s_wait_dscnt 0x4
	v_fma_mix_f32 v14, v9, v11, 0 op_sel_hi:[0,1,0]
	v_and_or_b32 v4, 0x7e0, v13, v28
	v_fma_mix_f32 v2, v9, v11, 0 op_sel:[0,1,0] op_sel_hi:[0,1,0]
	v_fma_mix_f32 v7, v9, v12, 0 op_sel_hi:[0,1,0]
	v_fma_mix_f32 v8, v9, v12, 0 op_sel:[0,1,0] op_sel_hi:[0,1,0]
	v_add_nc_u32_e32 v25, 7, v138
	v_mad_u32_u24 v9, 0x110, v4, 0
	s_wait_dscnt 0x3
	v_fma_mix_f32 v1, v10, v17, v14 op_sel_hi:[0,1,0]
	v_fma_mix_f32 v2, v10, v17, v2 op_sel:[0,1,0] op_sel_hi:[0,1,0]
	v_fma_mix_f32 v4, v10, v18, v8 op_sel:[0,1,0] op_sel_hi:[0,1,0]
	v_add_lshl_u32 v17, v96, v3, 3
	v_add_nc_u32_e32 v8, v9, v0
	v_fma_mix_f32 v3, v10, v18, v7 op_sel_hi:[0,1,0]
	s_wait_dscnt 0x1
	v_fma_mix_f32 v7, v19, v21, 0 op_sel_hi:[0,1,0]
	v_lshlrev_b32_e32 v18, 6, v24
	v_fma_mix_f32 v13, v19, v21, 0 op_sel:[0,1,0] op_sel_hi:[0,1,0]
	ds_load_2addr_stride64_b32 v[9:10], v9 offset0:1 offset1:18
	ds_load_2addr_b32 v[11:12], v8 offset1:32
	v_lshlrev_b32_e32 v14, 1, v23
	v_and_b32_e32 v21, 15, v23
	v_add_nc_u32_e32 v24, 0x1000, v8
	s_wait_dscnt 0x2
	v_fma_mix_f32 v8, v20, v5, v13 op_sel:[0,1,0] op_sel_hi:[0,1,0]
	v_fma_mix_f32 v7, v20, v5, v7 op_sel_hi:[0,1,0]
	v_fma_mix_f32 v5, v19, v22, 0 op_sel_hi:[0,1,0]
	v_and_or_b32 v21, 0x7e0, v14, v21
	ds_load_2addr_b32 v[13:14], v24 offset0:64 offset1:96
	v_fma_mix_f32 v19, v19, v22, 0 op_sel:[0,1,0] op_sel_hi:[0,1,0]
	v_add_lshl_u32 v24, v96, v18, 3
	v_fma_mix_f32 v5, v20, v6, v5 op_sel_hi:[0,1,0]
	v_mad_u32_u24 v18, 0x110, v21, 0
	s_delay_alu instid0(VALU_DEP_4)
	v_fma_mix_f32 v6, v20, v6, v19 op_sel:[0,1,0] op_sel_hi:[0,1,0]
	s_clause 0x3
	global_store_b64 v26, v[15:16], s[0:1]
	global_store_b64 v17, v[1:2], s[0:1]
	global_store_b64 v17, v[3:4], s[0:1] offset:256
	global_store_b64 v24, v[5:6], s[0:1] offset:256
	v_add_nc_u32_e32 v5, v18, v0
	v_lshlrev_b32_e32 v6, 1, v25
	v_and_b32_e32 v15, 15, v25
	s_wait_dscnt 0x1
	v_fma_mix_f32 v16, v9, v11, 0 op_sel_hi:[0,1,0]
	ds_load_2addr_stride64_b32 v[1:2], v18 offset0:1 offset1:18
	ds_load_2addr_b32 v[3:4], v5 offset1:32
	v_add_nc_u32_e32 v17, 0x1000, v5
	v_fma_mix_f32 v11, v9, v11, 0 op_sel:[0,1,0] op_sel_hi:[0,1,0]
	v_and_or_b32 v6, 0x7e0, v6, v15
	v_add_nc_u32_e32 v26, 8, v138
	v_lshlrev_b32_e32 v18, 6, v27
	v_fma_mix_f32 v20, v9, v12, 0 op_sel:[0,1,0] op_sel_hi:[0,1,0]
	s_wait_dscnt 0x2
	v_fma_mix_f32 v5, v10, v13, v16 op_sel_hi:[0,1,0]
	ds_load_2addr_b32 v[15:16], v17 offset0:64 offset1:96
	v_mad_u32_u24 v17, 0x110, v6, 0
	v_fma_mix_f32 v6, v10, v13, v11 op_sel:[0,1,0] op_sel_hi:[0,1,0]
	v_fma_mix_f32 v13, v9, v12, 0 op_sel_hi:[0,1,0]
	v_lshlrev_b32_e32 v21, 1, v26
	v_and_b32_e32 v22, 15, v26
	v_add_nc_u32_e32 v19, v17, v0
	v_add_lshl_u32 v27, v96, v18, 3
	v_fma_mix_f32 v9, v10, v14, v13 op_sel_hi:[0,1,0]
	ds_load_2addr_stride64_b32 v[11:12], v17 offset0:1 offset1:18
	ds_load_2addr_b32 v[17:18], v19 offset1:32
	v_and_or_b32 v13, 0x7e0, v21, v22
	v_fma_mix_f32 v10, v10, v14, v20 op_sel:[0,1,0] op_sel_hi:[0,1,0]
	s_wait_dscnt 0x3
	v_fma_mix_f32 v14, v1, v3, 0 op_sel_hi:[0,1,0]
	v_add_nc_u32_e32 v19, 0x1000, v19
	v_fma_mix_f32 v21, v1, v3, 0 op_sel:[0,1,0] op_sel_hi:[0,1,0]
	v_mad_u32_u24 v22, 0x110, v13, 0
	v_lshlrev_b32_e32 v20, 6, v23
	v_fma_mix_f32 v23, v1, v4, 0 op_sel_hi:[0,1,0]
	v_fma_mix_f32 v28, v1, v4, 0 op_sel:[0,1,0] op_sel_hi:[0,1,0]
	s_wait_dscnt 0x2
	v_fma_mix_f32 v3, v2, v15, v14 op_sel_hi:[0,1,0]
	ds_load_2addr_b32 v[13:14], v19 offset0:64 offset1:96
	v_add_nc_u32_e32 v19, v22, v0
	v_fma_mix_f32 v4, v2, v15, v21 op_sel:[0,1,0] op_sel_hi:[0,1,0]
	v_fma_mix_f32 v1, v2, v16, v23 op_sel_hi:[0,1,0]
	v_add_nc_u32_e32 v23, 9, v138
	v_add_lshl_u32 v29, v96, v20, 3
	v_add_nc_u32_e32 v21, 0x1000, v19
	v_fma_mix_f32 v2, v2, v16, v28 op_sel:[0,1,0] op_sel_hi:[0,1,0]
	ds_load_2addr_stride64_b32 v[15:16], v22 offset0:1 offset1:18
	ds_load_2addr_b32 v[19:20], v19 offset1:32
	ds_load_2addr_b32 v[21:22], v21 offset0:64 offset1:96
	v_lshlrev_b32_e32 v30, 1, v23
	v_and_b32_e32 v31, 15, v23
	s_clause 0x3
	global_store_b64 v24, v[7:8], s[0:1]
	global_store_b64 v27, v[5:6], s[0:1]
	global_store_b64 v27, v[9:10], s[0:1] offset:256
	global_store_b64 v29, v[1:2], s[0:1] offset:256
	s_wait_dscnt 0x4
	v_fma_mix_f32 v28, v11, v17, 0 op_sel_hi:[0,1,0]
	v_lshlrev_b32_e32 v5, 6, v25
	v_fma_mix_f32 v2, v11, v17, 0 op_sel:[0,1,0] op_sel_hi:[0,1,0]
	v_and_or_b32 v6, 0x7e0, v30, v31
	v_fma_mix_f32 v7, v11, v18, 0 op_sel_hi:[0,1,0]
	v_fma_mix_f32 v8, v11, v18, 0 op_sel:[0,1,0] op_sel_hi:[0,1,0]
	v_add_nc_u32_e32 v24, 10, v138
	s_wait_dscnt 0x3
	v_fma_mix_f32 v1, v12, v13, v28 op_sel_hi:[0,1,0]
	v_mad_u32_u24 v9, 0x110, v6, 0
	v_fma_mix_f32 v2, v12, v13, v2 op_sel:[0,1,0] op_sel_hi:[0,1,0]
	v_add_lshl_u32 v17, v96, v5, 3
	v_fma_mix_f32 v5, v12, v14, v7 op_sel_hi:[0,1,0]
	v_fma_mix_f32 v6, v12, v14, v8 op_sel:[0,1,0] op_sel_hi:[0,1,0]
	v_add_nc_u32_e32 v12, v9, v0
	v_lshlrev_b32_e32 v14, 1, v24
	s_wait_dscnt 0x1
	v_fma_mix_f32 v11, v15, v19, 0 op_sel_hi:[0,1,0]
	v_fma_mix_f32 v13, v15, v19, 0 op_sel:[0,1,0] op_sel_hi:[0,1,0]
	v_and_b32_e32 v19, 15, v24
	v_lshlrev_b32_e32 v18, 6, v26
	ds_load_2addr_stride64_b32 v[7:8], v9 offset0:1 offset1:18
	ds_load_2addr_b32 v[9:10], v12 offset1:32
	v_add_nc_u32_e32 v25, 0x1000, v12
	s_wait_dscnt 0x2
	v_fma_mix_f32 v11, v16, v21, v11 op_sel_hi:[0,1,0]
	v_and_or_b32 v19, 0x7e0, v14, v19
	v_fma_mix_f32 v12, v16, v21, v13 op_sel:[0,1,0] op_sel_hi:[0,1,0]
	v_fma_mix_f32 v21, v15, v20, 0 op_sel_hi:[0,1,0]
	v_fma_mix_f32 v20, v15, v20, 0 op_sel:[0,1,0] op_sel_hi:[0,1,0]
	ds_load_2addr_b32 v[13:14], v25 offset0:64 offset1:96
	v_add_lshl_u32 v25, v96, v18, 3
	v_mad_u32_u24 v18, 0x110, v19, 0
	v_fma_mix_f32 v15, v16, v22, v21 op_sel_hi:[0,1,0]
	v_fma_mix_f32 v16, v16, v22, v20 op_sel:[0,1,0] op_sel_hi:[0,1,0]
	v_add_nc_u32_e32 v26, 11, v138
	s_clause 0x3
	global_store_b64 v29, v[3:4], s[0:1]
	global_store_b64 v17, v[1:2], s[0:1]
	global_store_b64 v17, v[5:6], s[0:1] offset:256
	global_store_b64 v25, v[15:16], s[0:1] offset:256
	v_add_nc_u32_e32 v5, v18, v0
	ds_load_2addr_stride64_b32 v[1:2], v18 offset0:1 offset1:18
	ds_load_2addr_b32 v[3:4], v5 offset1:32
	v_lshlrev_b32_e32 v15, 1, v26
	v_and_b32_e32 v16, 15, v26
	v_add_nc_u32_e32 v17, 0x1000, v5
	s_wait_dscnt 0x3
	v_fma_mix_f32 v6, v7, v9, 0 op_sel_hi:[0,1,0]
	v_fma_mix_f32 v9, v7, v9, 0 op_sel:[0,1,0] op_sel_hi:[0,1,0]
	v_lshlrev_b32_e32 v19, 6, v23
	v_and_or_b32 v18, 0x7e0, v15, v16
	ds_load_2addr_b32 v[15:16], v17 offset0:64 offset1:96
	v_add_nc_u32_e32 v23, 12, v138
	s_wait_dscnt 0x3
	v_fma_mix_f32 v5, v8, v13, v6 op_sel_hi:[0,1,0]
	v_fma_mix_f32 v6, v8, v13, v9 op_sel:[0,1,0] op_sel_hi:[0,1,0]
	v_fma_mix_f32 v13, v7, v10, 0 op_sel_hi:[0,1,0]
	v_mad_u32_u24 v9, 0x110, v18, 0
	v_lshlrev_b32_e32 v21, 1, v23
	v_and_b32_e32 v22, 15, v23
	v_add_lshl_u32 v27, v96, v19, 3
	v_fma_mix_f32 v19, v7, v10, 0 op_sel:[0,1,0] op_sel_hi:[0,1,0]
	v_fma_mix_f32 v7, v8, v14, v13 op_sel_hi:[0,1,0]
	v_add_nc_u32_e32 v20, v9, v0
	v_and_or_b32 v13, 0x7e0, v21, v22
	ds_load_2addr_stride64_b32 v[9:10], v9 offset0:1 offset1:18
	ds_load_2addr_b32 v[17:18], v20 offset1:32
	v_fma_mix_f32 v8, v8, v14, v19 op_sel:[0,1,0] op_sel_hi:[0,1,0]
	s_wait_dscnt 0x3
	v_fma_mix_f32 v14, v1, v3, 0 op_sel_hi:[0,1,0]
	v_fma_mix_f32 v3, v1, v3, 0 op_sel:[0,1,0] op_sel_hi:[0,1,0]
	v_mad_u32_u24 v22, 0x110, v13, 0
	v_add_nc_u32_e32 v19, 0x1000, v20
	v_lshlrev_b32_e32 v21, 6, v24
	s_wait_dscnt 0x2
	v_fma_mix_f32 v13, v2, v15, v14 op_sel_hi:[0,1,0]
	v_fma_mix_f32 v24, v1, v4, 0 op_sel_hi:[0,1,0]
	v_fma_mix_f32 v14, v2, v15, v3 op_sel:[0,1,0] op_sel_hi:[0,1,0]
	v_add_nc_u32_e32 v15, v22, v0
	ds_load_2addr_b32 v[19:20], v19 offset0:64 offset1:96
	v_add_lshl_u32 v28, v96, v21, 3
	v_fma_mix_f32 v29, v1, v4, 0 op_sel:[0,1,0] op_sel_hi:[0,1,0]
	v_fma_mix_f32 v1, v2, v16, v24 op_sel_hi:[0,1,0]
	ds_load_2addr_stride64_b32 v[3:4], v22 offset0:1 offset1:18
	v_add_nc_u32_e32 v24, 0x1000, v15
	ds_load_2addr_b32 v[21:22], v15 offset1:32
	v_fma_mix_f32 v2, v2, v16, v29 op_sel:[0,1,0] op_sel_hi:[0,1,0]
	s_wait_dscnt 0x3
	v_fma_mix_f32 v29, v9, v17, 0 op_sel_hi:[0,1,0]
	ds_load_2addr_b32 v[15:16], v24 offset0:64 offset1:96
	v_add_nc_u32_e32 v24, 13, v138
	v_fma_mix_f32 v17, v9, v17, 0 op_sel:[0,1,0] op_sel_hi:[0,1,0]
	s_clause 0x3
	global_store_b64 v25, v[11:12], s[0:1]
	global_store_b64 v27, v[5:6], s[0:1]
	global_store_b64 v27, v[7:8], s[0:1] offset:256
	global_store_b64 v28, v[1:2], s[0:1] offset:256
	v_fma_mix_f32 v6, v9, v18, 0 op_sel_hi:[0,1,0]
	v_fma_mix_f32 v7, v9, v18, 0 op_sel:[0,1,0] op_sel_hi:[0,1,0]
	v_lshlrev_b32_e32 v8, 1, v24
	v_and_b32_e32 v9, 15, v24
	v_lshlrev_b32_e32 v5, 6, v26
	v_add_nc_u32_e32 v26, 14, v138
	s_wait_dscnt 0x3
	v_fma_mix_f32 v1, v10, v19, v29 op_sel_hi:[0,1,0]
	v_fma_mix_f32 v2, v10, v19, v17 op_sel:[0,1,0] op_sel_hi:[0,1,0]
	v_and_or_b32 v8, 0x7e0, v8, v9
	v_add_lshl_u32 v25, v96, v5, 3
	v_fma_mix_f32 v5, v10, v20, v6 op_sel_hi:[0,1,0]
	v_fma_mix_f32 v6, v10, v20, v7 op_sel:[0,1,0] op_sel_hi:[0,1,0]
	s_wait_dscnt 0x1
	v_fma_mix_f32 v7, v3, v21, 0 op_sel_hi:[0,1,0]
	v_fma_mix_f32 v10, v3, v21, 0 op_sel:[0,1,0] op_sel_hi:[0,1,0]
	v_mad_u32_u24 v11, 0x110, v8, 0
	v_lshlrev_b32_e32 v9, 6, v23
	v_lshlrev_b32_e32 v12, 1, v26
	s_wait_dscnt 0x0
	v_fma_mix_f32 v7, v4, v15, v7 op_sel_hi:[0,1,0]
	v_and_b32_e32 v17, 15, v26
	v_fma_mix_f32 v8, v4, v15, v10 op_sel:[0,1,0] op_sel_hi:[0,1,0]
	v_add_nc_u32_e32 v15, v11, v0
	v_add_nc_u32_e32 v23, 15, v138
	v_add_lshl_u32 v21, v96, v9, 3
	v_and_or_b32 v17, 0x7e0, v12, v17
	ds_load_2addr_stride64_b32 v[9:10], v11 offset0:1 offset1:18
	ds_load_2addr_b32 v[11:12], v15 offset1:32
	v_add_nc_u32_e32 v15, 0x1000, v15
	v_lshlrev_b32_e32 v27, 1, v23
	v_and_b32_e32 v29, 15, v23
	v_mad_u32_u24 v20, 0x110, v17, 0
	v_fma_mix_f32 v19, v3, v22, 0 op_sel_hi:[0,1,0]
	ds_load_2addr_b32 v[17:18], v15 offset0:64 offset1:96
	v_fma_mix_f32 v22, v3, v22, 0 op_sel:[0,1,0] op_sel_hi:[0,1,0]
	v_and_or_b32 v27, 0x7e0, v27, v29
	v_add_nc_u32_e32 v30, v20, v0
	v_fma_mix_f32 v3, v4, v16, v19 op_sel_hi:[0,1,0]
	s_delay_alu instid0(VALU_DEP_4) | instskip(NEXT) | instid1(VALU_DEP_4)
	v_fma_mix_f32 v4, v4, v16, v22 op_sel:[0,1,0] op_sel_hi:[0,1,0]
	v_mad_u32_u24 v27, 0x110, v27, 0
	ds_load_2addr_stride64_b32 v[15:16], v20 offset0:1 offset1:18
	ds_load_2addr_b32 v[19:20], v30 offset1:32
	v_add_nc_u32_e32 v22, 0x1000, v30
	s_clause 0x3
	global_store_b64 v28, v[13:14], s[0:1]
	global_store_b64 v25, v[1:2], s[0:1]
	global_store_b64 v25, v[5:6], s[0:1] offset:256
	global_store_b64 v21, v[3:4], s[0:1] offset:256
	v_add_nc_u32_e32 v6, v27, v0
	ds_load_2addr_b32 v[0:1], v22 offset0:64 offset1:96
	s_wait_dscnt 0x4
	v_fma_mix_f32 v13, v9, v11, 0 op_sel_hi:[0,1,0]
	ds_load_2addr_stride64_b32 v[2:3], v27 offset0:1 offset1:18
	ds_load_2addr_b32 v[4:5], v6 offset1:32
	v_add_nc_u32_e32 v6, 0x1000, v6
	v_lshlrev_b32_e32 v22, 6, v24
	v_fma_mix_f32 v24, v9, v11, 0 op_sel:[0,1,0] op_sel_hi:[0,1,0]
	s_wait_dscnt 0x5
	v_fma_mix_f32 v11, v10, v17, v13 op_sel_hi:[0,1,0]
	v_fma_mix_f32 v25, v9, v12, 0 op_sel_hi:[0,1,0]
	ds_load_2addr_b32 v[13:14], v6 offset0:64 offset1:96
	v_fma_mix_f32 v27, v9, v12, 0 op_sel:[0,1,0] op_sel_hi:[0,1,0]
	v_fma_mix_f32 v12, v10, v17, v24 op_sel:[0,1,0] op_sel_hi:[0,1,0]
	v_add_lshl_u32 v6, v96, v22, 3
	v_fma_mix_f32 v9, v10, v18, v25 op_sel_hi:[0,1,0]
	s_delay_alu instid0(VALU_DEP_4)
	v_fma_mix_f32 v10, v10, v18, v27 op_sel:[0,1,0] op_sel_hi:[0,1,0]
	s_wait_dscnt 0x4
	v_fma_mix_f32 v17, v15, v19, 0 op_sel_hi:[0,1,0]
	v_fma_mix_f32 v18, v15, v19, 0 op_sel:[0,1,0] op_sel_hi:[0,1,0]
	v_fma_mix_f32 v22, v15, v20, 0 op_sel_hi:[0,1,0]
	v_fma_mix_f32 v15, v15, v20, 0 op_sel:[0,1,0] op_sel_hi:[0,1,0]
	v_lshlrev_b32_e32 v19, 6, v26
	s_wait_dscnt 0x3
	v_fma_mix_f32 v17, v16, v0, v17 op_sel_hi:[0,1,0]
	v_fma_mix_f32 v18, v16, v0, v18 op_sel:[0,1,0] op_sel_hi:[0,1,0]
	v_fma_mix_f32 v0, v16, v1, v22 op_sel_hi:[0,1,0]
	v_fma_mix_f32 v1, v16, v1, v15 op_sel:[0,1,0] op_sel_hi:[0,1,0]
	s_wait_dscnt 0x1
	v_fma_mix_f32 v15, v2, v4, 0 op_sel_hi:[0,1,0]
	v_fma_mix_f32 v16, v2, v4, 0 op_sel:[0,1,0] op_sel_hi:[0,1,0]
	v_lshlrev_b32_e32 v20, 6, v23
	v_fma_mix_f32 v22, v2, v5, 0 op_sel_hi:[0,1,0]
	v_fma_mix_f32 v23, v2, v5, 0 op_sel:[0,1,0] op_sel_hi:[0,1,0]
	v_add_lshl_u32 v19, v96, v19, 3
	s_wait_dscnt 0x0
	v_fma_mix_f32 v4, v3, v13, v15 op_sel_hi:[0,1,0]
	v_fma_mix_f32 v5, v3, v13, v16 op_sel:[0,1,0] op_sel_hi:[0,1,0]
	v_add_lshl_u32 v13, v96, v20, 3
	v_fma_mix_f32 v2, v3, v14, v22 op_sel_hi:[0,1,0]
	v_fma_mix_f32 v3, v3, v14, v23 op_sel:[0,1,0] op_sel_hi:[0,1,0]
	s_clause 0x6
	global_store_b64 v21, v[7:8], s[0:1]
	global_store_b64 v6, v[11:12], s[0:1]
	global_store_b64 v6, v[9:10], s[0:1] offset:256
	global_store_b64 v19, v[0:1], s[0:1] offset:256
	global_store_b64 v19, v[17:18], s[0:1]
	global_store_b64 v13, v[4:5], s[0:1]
	global_store_b64 v13, v[2:3], s[0:1] offset:256
.LBB24_323:
	s_wait_alu 0xfffe
	s_or_b32 exec_lo, exec_lo, s2
	s_wait_loadcnt 0x0
	s_wait_storecnt 0x0
	s_barrier_signal -1
	s_barrier_wait -1
	global_inv scope:SCOPE_SE
	s_endpgm
	.section	.rodata,"a",@progbits
	.p2align	6, 0x0
	.amdhsa_kernel _ZL18flash_attn_ext_f16ILi128ELi128ELi8ELi2ELb0ELb0EEvPKcS1_S1_S1_S1_PKiPfP15HIP_vector_typeIfLj2EEffffjfiS5_IjLj3EEiiiiiiiiiiiliiliiiiil
		.amdhsa_group_segment_fixed_size 0
		.amdhsa_private_segment_fixed_size 344
		.amdhsa_kernarg_size 464
		.amdhsa_user_sgpr_count 2
		.amdhsa_user_sgpr_dispatch_ptr 0
		.amdhsa_user_sgpr_queue_ptr 0
		.amdhsa_user_sgpr_kernarg_segment_ptr 1
		.amdhsa_user_sgpr_dispatch_id 0
		.amdhsa_user_sgpr_private_segment_size 0
		.amdhsa_wavefront_size32 1
		.amdhsa_uses_dynamic_stack 0
		.amdhsa_enable_private_segment 1
		.amdhsa_system_sgpr_workgroup_id_x 1
		.amdhsa_system_sgpr_workgroup_id_y 0
		.amdhsa_system_sgpr_workgroup_id_z 0
		.amdhsa_system_sgpr_workgroup_info 0
		.amdhsa_system_vgpr_workitem_id 1
		.amdhsa_next_free_vgpr 256
		.amdhsa_next_free_sgpr 105
		.amdhsa_reserve_vcc 1
		.amdhsa_float_round_mode_32 0
		.amdhsa_float_round_mode_16_64 0
		.amdhsa_float_denorm_mode_32 3
		.amdhsa_float_denorm_mode_16_64 3
		.amdhsa_fp16_overflow 0
		.amdhsa_workgroup_processor_mode 1
		.amdhsa_memory_ordered 1
		.amdhsa_forward_progress 1
		.amdhsa_inst_pref_size 255
		.amdhsa_round_robin_scheduling 0
		.amdhsa_exception_fp_ieee_invalid_op 0
		.amdhsa_exception_fp_denorm_src 0
		.amdhsa_exception_fp_ieee_div_zero 0
		.amdhsa_exception_fp_ieee_overflow 0
		.amdhsa_exception_fp_ieee_underflow 0
		.amdhsa_exception_fp_ieee_inexact 0
		.amdhsa_exception_int_div_zero 0
	.end_amdhsa_kernel
	.section	.text._ZL18flash_attn_ext_f16ILi128ELi128ELi8ELi2ELb0ELb0EEvPKcS1_S1_S1_S1_PKiPfP15HIP_vector_typeIfLj2EEffffjfiS5_IjLj3EEiiiiiiiiiiiliiliiiiil,"axG",@progbits,_ZL18flash_attn_ext_f16ILi128ELi128ELi8ELi2ELb0ELb0EEvPKcS1_S1_S1_S1_PKiPfP15HIP_vector_typeIfLj2EEffffjfiS5_IjLj3EEiiiiiiiiiiiliiliiiiil,comdat
.Lfunc_end24:
	.size	_ZL18flash_attn_ext_f16ILi128ELi128ELi8ELi2ELb0ELb0EEvPKcS1_S1_S1_S1_PKiPfP15HIP_vector_typeIfLj2EEffffjfiS5_IjLj3EEiiiiiiiiiiiliiliiiiil, .Lfunc_end24-_ZL18flash_attn_ext_f16ILi128ELi128ELi8ELi2ELb0ELb0EEvPKcS1_S1_S1_S1_PKiPfP15HIP_vector_typeIfLj2EEffffjfiS5_IjLj3EEiiiiiiiiiiiliiliiiiil
                                        ; -- End function
	.set _ZL18flash_attn_ext_f16ILi128ELi128ELi8ELi2ELb0ELb0EEvPKcS1_S1_S1_S1_PKiPfP15HIP_vector_typeIfLj2EEffffjfiS5_IjLj3EEiiiiiiiiiiiliiliiiiil.num_vgpr, 256
	.set _ZL18flash_attn_ext_f16ILi128ELi128ELi8ELi2ELb0ELb0EEvPKcS1_S1_S1_S1_PKiPfP15HIP_vector_typeIfLj2EEffffjfiS5_IjLj3EEiiiiiiiiiiiliiliiiiil.num_agpr, 0
	.set _ZL18flash_attn_ext_f16ILi128ELi128ELi8ELi2ELb0ELb0EEvPKcS1_S1_S1_S1_PKiPfP15HIP_vector_typeIfLj2EEffffjfiS5_IjLj3EEiiiiiiiiiiiliiliiiiil.numbered_sgpr, 105
	.set _ZL18flash_attn_ext_f16ILi128ELi128ELi8ELi2ELb0ELb0EEvPKcS1_S1_S1_S1_PKiPfP15HIP_vector_typeIfLj2EEffffjfiS5_IjLj3EEiiiiiiiiiiiliiliiiiil.num_named_barrier, 0
	.set _ZL18flash_attn_ext_f16ILi128ELi128ELi8ELi2ELb0ELb0EEvPKcS1_S1_S1_S1_PKiPfP15HIP_vector_typeIfLj2EEffffjfiS5_IjLj3EEiiiiiiiiiiiliiliiiiil.private_seg_size, 344
	.set _ZL18flash_attn_ext_f16ILi128ELi128ELi8ELi2ELb0ELb0EEvPKcS1_S1_S1_S1_PKiPfP15HIP_vector_typeIfLj2EEffffjfiS5_IjLj3EEiiiiiiiiiiiliiliiiiil.uses_vcc, 1
	.set _ZL18flash_attn_ext_f16ILi128ELi128ELi8ELi2ELb0ELb0EEvPKcS1_S1_S1_S1_PKiPfP15HIP_vector_typeIfLj2EEffffjfiS5_IjLj3EEiiiiiiiiiiiliiliiiiil.uses_flat_scratch, 1
	.set _ZL18flash_attn_ext_f16ILi128ELi128ELi8ELi2ELb0ELb0EEvPKcS1_S1_S1_S1_PKiPfP15HIP_vector_typeIfLj2EEffffjfiS5_IjLj3EEiiiiiiiiiiiliiliiiiil.has_dyn_sized_stack, 0
	.set _ZL18flash_attn_ext_f16ILi128ELi128ELi8ELi2ELb0ELb0EEvPKcS1_S1_S1_S1_PKiPfP15HIP_vector_typeIfLj2EEffffjfiS5_IjLj3EEiiiiiiiiiiiliiliiiiil.has_recursion, 0
	.set _ZL18flash_attn_ext_f16ILi128ELi128ELi8ELi2ELb0ELb0EEvPKcS1_S1_S1_S1_PKiPfP15HIP_vector_typeIfLj2EEffffjfiS5_IjLj3EEiiiiiiiiiiiliiliiiiil.has_indirect_call, 0
	.section	.AMDGPU.csdata,"",@progbits
; Kernel info:
; codeLenInByte = 64836
; TotalNumSgprs: 107
; NumVgprs: 256
; ScratchSize: 344
; MemoryBound: 0
; FloatMode: 240
; IeeeMode: 1
; LDSByteSize: 0 bytes/workgroup (compile time only)
; SGPRBlocks: 0
; VGPRBlocks: 31
; NumSGPRsForWavesPerEU: 107
; NumVGPRsForWavesPerEU: 256
; Occupancy: 5
; WaveLimiterHint : 1
; COMPUTE_PGM_RSRC2:SCRATCH_EN: 1
; COMPUTE_PGM_RSRC2:USER_SGPR: 2
; COMPUTE_PGM_RSRC2:TRAP_HANDLER: 0
; COMPUTE_PGM_RSRC2:TGID_X_EN: 1
; COMPUTE_PGM_RSRC2:TGID_Y_EN: 0
; COMPUTE_PGM_RSRC2:TGID_Z_EN: 0
; COMPUTE_PGM_RSRC2:TIDIG_COMP_CNT: 1
	.section	.text._ZL18flash_attn_ext_f16ILi128ELi128ELi8ELi2ELb1ELb0EEvPKcS1_S1_S1_S1_PKiPfP15HIP_vector_typeIfLj2EEffffjfiS5_IjLj3EEiiiiiiiiiiiliiliiiiil,"axG",@progbits,_ZL18flash_attn_ext_f16ILi128ELi128ELi8ELi2ELb1ELb0EEvPKcS1_S1_S1_S1_PKiPfP15HIP_vector_typeIfLj2EEffffjfiS5_IjLj3EEiiiiiiiiiiiliiliiiiil,comdat
	.globl	_ZL18flash_attn_ext_f16ILi128ELi128ELi8ELi2ELb1ELb0EEvPKcS1_S1_S1_S1_PKiPfP15HIP_vector_typeIfLj2EEffffjfiS5_IjLj3EEiiiiiiiiiiiliiliiiiil ; -- Begin function _ZL18flash_attn_ext_f16ILi128ELi128ELi8ELi2ELb1ELb0EEvPKcS1_S1_S1_S1_PKiPfP15HIP_vector_typeIfLj2EEffffjfiS5_IjLj3EEiiiiiiiiiiiliiliiiiil
	.p2align	8
	.type	_ZL18flash_attn_ext_f16ILi128ELi128ELi8ELi2ELb1ELb0EEvPKcS1_S1_S1_S1_PKiPfP15HIP_vector_typeIfLj2EEffffjfiS5_IjLj3EEiiiiiiiiiiiliiliiiiil,@function
_ZL18flash_attn_ext_f16ILi128ELi128ELi8ELi2ELb1ELb0EEvPKcS1_S1_S1_S1_PKiPfP15HIP_vector_typeIfLj2EEffffjfiS5_IjLj3EEiiiiiiiiiiiliiliiiiil: ; @_ZL18flash_attn_ext_f16ILi128ELi128ELi8ELi2ELb1ELb0EEvPKcS1_S1_S1_S1_PKiPfP15HIP_vector_typeIfLj2EEffffjfiS5_IjLj3EEiiiiiiiiiiiliiliiiiil
; %bb.0:
	s_clause 0x1
	s_load_b64 s[2:3], s[0:1], 0x80
	s_load_b128 s[24:27], s[0:1], 0x64
	s_mov_b32 s34, ttmp9
	s_mov_b32 s35, 0
                                        ; implicit-def: $vgpr255 : SGPR spill to VGPR lane
	s_wait_kmcnt 0x0
	s_abs_i32 s4, s3
	s_abs_i32 s7, s25
	s_cvt_f32_u32 s5, s4
	s_sub_co_i32 s6, 0, s4
	s_delay_alu instid0(SALU_CYCLE_2) | instskip(NEXT) | instid1(TRANS32_DEP_1)
	v_rcp_iflag_f32_e32 v1, s5
	v_readfirstlane_b32 s5, v1
	s_mul_f32 s5, s5, 0x4f7ffffe
	s_wait_alu 0xfffe
	s_delay_alu instid0(SALU_CYCLE_2) | instskip(SKIP_1) | instid1(SALU_CYCLE_2)
	s_cvt_u32_f32 s5, s5
	s_wait_alu 0xfffe
	s_mul_i32 s6, s6, s5
	s_delay_alu instid0(SALU_CYCLE_1) | instskip(NEXT) | instid1(SALU_CYCLE_1)
	s_mul_hi_u32 s6, s5, s6
	s_add_co_i32 s5, s5, s6
	s_xor_b32 s6, s25, s3
	s_wait_alu 0xfffe
	s_mul_hi_u32 s5, s7, s5
	s_ashr_i32 s6, s6, 31
	s_wait_alu 0xfffe
	s_mul_i32 s8, s5, s4
	s_delay_alu instid0(SALU_CYCLE_1)
	s_sub_co_i32 s7, s7, s8
	s_add_co_i32 s8, s5, 1
	s_sub_co_i32 s9, s7, s4
	s_cmp_ge_u32 s7, s4
	s_cselect_b32 s5, s8, s5
	s_cselect_b32 s7, s9, s7
	s_wait_alu 0xfffe
	s_add_co_i32 s8, s5, 1
	s_cmp_ge_u32 s7, s4
	s_cselect_b32 s4, s8, s5
	s_add_co_i32 s2, s2, 31
	s_wait_alu 0xfffe
	s_xor_b32 s4, s4, s6
	s_add_co_i32 s5, s24, 7
	s_ashr_i32 s7, s2, 31
	s_wait_alu 0xfffe
	s_sub_co_i32 s96, s4, s6
	s_lshr_b32 s8, s5, 3
	s_lshr_b32 s4, s7, 27
	s_add_co_i32 s5, s96, 1
	s_wait_alu 0xfffe
	s_add_co_i32 s2, s2, s4
	s_lshr_b32 s4, s5, 31
	s_ashr_i32 s101, s2, 5
	s_wait_alu 0xfffe
	s_add_co_i32 s5, s5, s4
	s_mul_i32 s98, s8, s101
	s_wait_alu 0xfffe
	s_ashr_i32 s2, s5, 1
	v_writelane_b32 v255, s8, 0
	s_mul_i32 s99, s98, s2
	s_mov_b32 s4, s35
	s_mul_i32 s100, s99, s3
	s_delay_alu instid0(SALU_CYCLE_1) | instskip(NEXT) | instid1(SALU_CYCLE_1)
	s_mul_i32 s2, s100, s26
	s_ashr_i32 s3, s2, 31
	s_delay_alu instid0(SALU_CYCLE_1)
	s_mul_u64 s[6:7], s[2:3], s[34:35]
	s_load_b32 s34, s[0:1], 0xd0
	s_mov_b32 s5, s7
	s_wait_alu 0xfffe
	s_cmp_lg_u64 s[4:5], 0
	s_wait_kmcnt 0x0
	s_add_nc_u64 s[4:5], s[34:35], 0
	s_cbranch_scc0 .LBB25_435
; %bb.1:
	s_wait_alu 0xfffe
	s_xor_b64 s[8:9], s[4:5], 0
	s_mov_b32 s15, s35
	s_wait_alu 0xfffe
	s_cvt_f32_u32 s10, s8
	s_cvt_f32_u32 s11, s9
	s_sub_nc_u64 s[12:13], 0, s[8:9]
	s_mov_b32 s19, s35
	s_delay_alu instid0(SALU_CYCLE_1) | instskip(NEXT) | instid1(SALU_CYCLE_3)
	s_fmamk_f32 s10, s11, 0x4f800000, s10
	v_s_rcp_f32 s10, s10
	s_delay_alu instid0(TRANS32_DEP_1) | instskip(SKIP_1) | instid1(SALU_CYCLE_2)
	s_mul_f32 s10, s10, 0x5f7ffffc
	s_wait_alu 0xfffe
	s_mul_f32 s11, s10, 0x2f800000
	s_wait_alu 0xfffe
	s_delay_alu instid0(SALU_CYCLE_2) | instskip(SKIP_1) | instid1(SALU_CYCLE_2)
	s_trunc_f32 s11, s11
	s_wait_alu 0xfffe
	s_fmamk_f32 s10, s11, 0xcf800000, s10
	s_cvt_u32_f32 s11, s11
	s_wait_alu 0xfffe
	s_delay_alu instid0(SALU_CYCLE_1) | instskip(SKIP_1) | instid1(SALU_CYCLE_2)
	s_cvt_u32_f32 s10, s10
	s_wait_alu 0xfffe
	s_mul_u64 s[16:17], s[12:13], s[10:11]
	s_delay_alu instid0(SALU_CYCLE_1)
	s_mul_hi_u32 s21, s10, s17
	s_mul_i32 s20, s10, s17
	s_mul_hi_u32 s14, s10, s16
	s_mul_i32 s22, s11, s16
	s_add_nc_u64 s[14:15], s[14:15], s[20:21]
	s_mul_hi_u32 s18, s11, s16
	s_mul_hi_u32 s23, s11, s17
	s_add_co_u32 s14, s14, s22
	s_add_co_ci_u32 s18, s15, s18
	s_mul_i32 s16, s11, s17
	s_add_co_ci_u32 s17, s23, 0
	s_delay_alu instid0(SALU_CYCLE_1) | instskip(SKIP_3) | instid1(SALU_CYCLE_1)
	s_add_nc_u64 s[14:15], s[18:19], s[16:17]
	s_mov_b32 s17, s35
	s_add_co_u32 s10, s10, s14
	s_cselect_b32 s14, -1, 0
	s_cmp_lg_u32 s14, 0
	s_add_co_ci_u32 s11, s11, s15
	s_mov_b32 s15, s35
	s_wait_alu 0xfffe
	s_mul_u64 s[12:13], s[12:13], s[10:11]
	s_delay_alu instid0(SALU_CYCLE_1)
	s_mul_hi_u32 s19, s10, s13
	s_mul_i32 s18, s10, s13
	s_mul_hi_u32 s14, s10, s12
	s_mul_i32 s20, s11, s12
	s_add_nc_u64 s[14:15], s[14:15], s[18:19]
	s_mul_hi_u32 s16, s11, s12
	s_mul_hi_u32 s21, s11, s13
	s_mul_i32 s12, s11, s13
	s_add_co_u32 s13, s14, s20
	s_add_co_ci_u32 s16, s15, s16
	s_add_co_ci_u32 s13, s21, 0
	s_mov_b32 s15, s35
	s_add_nc_u64 s[12:13], s[16:17], s[12:13]
	s_delay_alu instid0(SALU_CYCLE_1)
	s_add_co_u32 s16, s10, s12
	s_cselect_b32 s10, -1, 0
	s_wait_alu 0xfffe
	s_cmp_lg_u32 s10, 0
	s_add_co_ci_u32 s20, s11, s13
	s_ashr_i32 s10, s7, 31
	s_wait_alu 0xfffe
	s_mov_b32 s11, s10
	s_wait_alu 0xfffe
	s_add_nc_u64 s[12:13], s[6:7], s[10:11]
	s_delay_alu instid0(SALU_CYCLE_1) | instskip(NEXT) | instid1(SALU_CYCLE_1)
	s_xor_b64 s[12:13], s[12:13], s[10:11]
	s_mul_hi_u32 s19, s12, s20
	s_mul_i32 s18, s12, s20
	s_mul_hi_u32 s14, s12, s16
	s_mul_hi_u32 s21, s13, s16
	s_mul_i32 s16, s13, s16
	s_add_nc_u64 s[14:15], s[14:15], s[18:19]
	s_mul_hi_u32 s7, s13, s20
	s_add_co_u32 s14, s14, s16
	s_add_co_ci_u32 s16, s15, s21
	s_mul_i32 s18, s13, s20
	s_add_co_ci_u32 s19, s7, 0
	s_delay_alu instid0(SALU_CYCLE_1) | instskip(NEXT) | instid1(SALU_CYCLE_1)
	s_add_nc_u64 s[14:15], s[16:17], s[18:19]
	s_mul_u64 s[16:17], s[8:9], s[14:15]
	s_delay_alu instid0(SALU_CYCLE_1)
	s_sub_co_u32 s7, s12, s16
	s_cselect_b32 s12, -1, 0
	s_sub_co_i32 s16, s13, s17
	s_cmp_lg_u32 s12, 0
	s_sub_co_ci_u32 s16, s16, s9
	s_sub_co_u32 s18, s7, s8
	s_cselect_b32 s19, -1, 0
	s_delay_alu instid0(SALU_CYCLE_1) | instskip(SKIP_1) | instid1(SALU_CYCLE_1)
	s_cmp_lg_u32 s19, 0
	s_sub_co_ci_u32 s16, s16, 0
	s_cmp_ge_u32 s16, s9
	s_cselect_b32 s20, -1, 0
	s_cmp_ge_u32 s18, s8
	s_add_nc_u64 s[18:19], s[14:15], 1
	s_cselect_b32 s21, -1, 0
	s_cmp_eq_u32 s16, s9
	s_cselect_b32 s16, s21, s20
	s_add_nc_u64 s[20:21], s[14:15], 2
	s_cmp_lg_u32 s16, 0
	s_cselect_b32 s16, s20, s18
	s_cselect_b32 s18, s21, s19
	s_cmp_lg_u32 s12, 0
	s_sub_co_ci_u32 s12, s13, s17
	s_delay_alu instid0(SALU_CYCLE_1)
	s_cmp_ge_u32 s12, s9
	s_cselect_b32 s13, -1, 0
	s_cmp_ge_u32 s7, s8
	s_cselect_b32 s7, -1, 0
	s_cmp_eq_u32 s12, s9
	s_cselect_b32 s7, s7, s13
	s_delay_alu instid0(SALU_CYCLE_1)
	s_cmp_lg_u32 s7, 0
	s_cselect_b32 s9, s18, s15
	s_cselect_b32 s8, s16, s14
	s_xor_b64 s[10:11], s[10:11], 0
	s_wait_alu 0xfffe
	s_xor_b64 s[8:9], s[8:9], s[10:11]
	s_wait_alu 0xfffe
	s_sub_nc_u64 s[48:49], s[8:9], s[10:11]
	s_load_b64 s[46:47], s[0:1], 0x74
	v_cvt_f32_u32_e32 v1, s34
	s_and_not1_b32 vcc_lo, exec_lo, s35
	s_cbranch_vccnz .LBB25_3
.LBB25_2:
	s_delay_alu instid0(VALU_DEP_1) | instskip(SKIP_1) | instid1(TRANS32_DEP_1)
	v_rcp_iflag_f32_e32 v2, v1
	s_sub_co_i32 s8, 0, s34
	v_mul_f32_e32 v2, 0x4f7ffffe, v2
	s_delay_alu instid0(VALU_DEP_1) | instskip(NEXT) | instid1(VALU_DEP_1)
	v_cvt_u32_f32_e32 v2, v2
	v_readfirstlane_b32 s7, v2
	s_wait_alu 0xfffe
	s_mul_i32 s8, s8, s7
	s_wait_alu 0xfffe
	s_mul_hi_u32 s8, s7, s8
	s_wait_alu 0xfffe
	s_add_co_i32 s7, s7, s8
	s_delay_alu instid0(SALU_CYCLE_1) | instskip(NEXT) | instid1(SALU_CYCLE_1)
	s_mul_hi_u32 s7, s6, s7
	s_mul_i32 s8, s7, s34
	s_wait_alu 0xfffe
	s_sub_co_i32 s6, s6, s8
	s_add_co_i32 s8, s7, 1
	s_sub_co_i32 s9, s6, s34
	s_cmp_ge_u32 s6, s34
	s_wait_alu 0xfffe
	s_cselect_b32 s7, s8, s7
	s_cselect_b32 s6, s9, s6
	s_add_co_i32 s8, s7, 1
	s_cmp_ge_u32 s6, s34
	s_wait_alu 0xfffe
	s_cselect_b32 s48, s8, s7
.LBB25_3:
	s_add_co_i32 s6, ttmp9, 1
	s_mov_b32 s7, 0
	s_delay_alu instid0(SALU_CYCLE_1)
	s_mul_u64 s[2:3], s[2:3], s[6:7]
	s_mov_b32 s8, s7
	s_mov_b32 s9, s3
	s_wait_alu 0xfffe
	s_cmp_lg_u64 s[8:9], 0
	s_cbranch_scc0 .LBB25_436
; %bb.4:
	s_xor_b64 s[4:5], s[4:5], 0
	s_wait_alu 0xfffe
	s_cvt_f32_u32 s6, s4
	s_cvt_f32_u32 s8, s5
	s_sub_nc_u64 s[10:11], 0, s[4:5]
	s_wait_alu 0xfffe
	s_delay_alu instid0(SALU_CYCLE_1) | instskip(NEXT) | instid1(SALU_CYCLE_3)
	s_fmamk_f32 s6, s8, 0x4f800000, s6
	v_s_rcp_f32 s6, s6
	s_delay_alu instid0(TRANS32_DEP_1) | instskip(SKIP_1) | instid1(SALU_CYCLE_2)
	s_mul_f32 s6, s6, 0x5f7ffffc
	s_wait_alu 0xfffe
	s_mul_f32 s8, s6, 0x2f800000
	s_wait_alu 0xfffe
	s_delay_alu instid0(SALU_CYCLE_2) | instskip(SKIP_1) | instid1(SALU_CYCLE_2)
	s_trunc_f32 s8, s8
	s_wait_alu 0xfffe
	s_fmamk_f32 s6, s8, 0xcf800000, s6
	s_cvt_u32_f32 s9, s8
	s_wait_alu 0xfffe
	s_delay_alu instid0(SALU_CYCLE_1) | instskip(SKIP_1) | instid1(SALU_CYCLE_2)
	s_cvt_u32_f32 s8, s6
	s_wait_alu 0xfffe
	s_mul_u64 s[12:13], s[10:11], s[8:9]
	s_delay_alu instid0(SALU_CYCLE_1)
	s_mul_hi_u32 s15, s8, s13
	s_mul_i32 s14, s8, s13
	s_mul_hi_u32 s6, s8, s12
	s_mul_i32 s17, s9, s12
	s_wait_alu 0xfffe
	s_add_nc_u64 s[14:15], s[6:7], s[14:15]
	s_mul_hi_u32 s16, s9, s12
	s_mul_hi_u32 s18, s9, s13
	s_add_co_u32 s6, s14, s17
	s_add_co_ci_u32 s6, s15, s16
	s_mul_i32 s12, s9, s13
	s_add_co_ci_u32 s13, s18, 0
	s_wait_alu 0xfffe
	s_add_nc_u64 s[12:13], s[6:7], s[12:13]
	s_delay_alu instid0(SALU_CYCLE_1)
	s_add_co_u32 s8, s8, s12
	s_cselect_b32 s6, -1, 0
	s_wait_alu 0xfffe
	s_cmp_lg_u32 s6, 0
	s_add_co_ci_u32 s9, s9, s13
	s_wait_alu 0xfffe
	s_mul_u64 s[10:11], s[10:11], s[8:9]
	s_wait_alu 0xfffe
	s_mul_hi_u32 s13, s8, s11
	s_mul_i32 s12, s8, s11
	s_mul_hi_u32 s6, s8, s10
	s_mul_i32 s15, s9, s10
	s_wait_alu 0xfffe
	s_add_nc_u64 s[12:13], s[6:7], s[12:13]
	s_mul_hi_u32 s14, s9, s10
	s_mul_hi_u32 s16, s9, s11
	s_add_co_u32 s6, s12, s15
	s_add_co_ci_u32 s6, s13, s14
	s_mul_i32 s10, s9, s11
	s_add_co_ci_u32 s11, s16, 0
	s_wait_alu 0xfffe
	s_add_nc_u64 s[10:11], s[6:7], s[10:11]
	s_wait_alu 0xfffe
	s_add_co_u32 s14, s8, s10
	s_cselect_b32 s6, -1, 0
	s_wait_alu 0xfffe
	s_cmp_lg_u32 s6, 0
	s_add_co_ci_u32 s15, s9, s11
	s_ashr_i32 s8, s3, 31
	s_wait_alu 0xfffe
	s_mov_b32 s9, s8
	s_wait_alu 0xfffe
	s_add_nc_u64 s[10:11], s[2:3], s[8:9]
	s_wait_alu 0xfffe
	s_xor_b64 s[10:11], s[10:11], s[8:9]
	s_wait_alu 0xfffe
	s_mul_hi_u32 s13, s10, s15
	s_mul_i32 s12, s10, s15
	s_mul_hi_u32 s6, s10, s14
	s_mul_i32 s17, s11, s14
	s_wait_alu 0xfffe
	s_add_nc_u64 s[12:13], s[6:7], s[12:13]
	s_mul_hi_u32 s16, s11, s14
	s_mul_hi_u32 s3, s11, s15
	s_add_co_u32 s6, s12, s17
	s_add_co_ci_u32 s6, s13, s16
	s_mul_i32 s14, s11, s15
	s_add_co_ci_u32 s15, s3, 0
	s_wait_alu 0xfffe
	s_add_nc_u64 s[12:13], s[6:7], s[14:15]
	s_delay_alu instid0(SALU_CYCLE_1) | instskip(NEXT) | instid1(SALU_CYCLE_1)
	s_mul_u64 s[14:15], s[4:5], s[12:13]
	s_sub_co_u32 s3, s10, s14
	s_cselect_b32 s6, -1, 0
	s_sub_co_i32 s10, s11, s15
	s_wait_alu 0xfffe
	s_cmp_lg_u32 s6, 0
	s_sub_co_ci_u32 s10, s10, s5
	s_sub_co_u32 s14, s3, s4
	s_cselect_b32 s16, -1, 0
	s_delay_alu instid0(SALU_CYCLE_1)
	s_cmp_lg_u32 s16, 0
	s_add_nc_u64 s[16:17], s[12:13], 1
	s_wait_alu 0xfffe
	s_sub_co_ci_u32 s10, s10, 0
	s_wait_alu 0xfffe
	s_cmp_ge_u32 s10, s5
	s_cselect_b32 s18, -1, 0
	s_cmp_ge_u32 s14, s4
	s_cselect_b32 s14, -1, 0
	s_cmp_eq_u32 s10, s5
	s_cselect_b32 s10, s14, s18
	s_add_nc_u64 s[18:19], s[12:13], 2
	s_wait_alu 0xfffe
	s_cmp_lg_u32 s10, 0
	s_cselect_b32 s10, s18, s16
	s_cselect_b32 s14, s19, s17
	s_cmp_lg_u32 s6, 0
	s_sub_co_ci_u32 s6, s11, s15
	s_wait_alu 0xfffe
	s_cmp_ge_u32 s6, s5
	s_cselect_b32 s11, -1, 0
	s_cmp_ge_u32 s3, s4
	s_cselect_b32 s3, -1, 0
	s_cmp_eq_u32 s6, s5
	s_wait_alu 0xfffe
	s_cselect_b32 s3, s3, s11
	s_delay_alu instid0(SALU_CYCLE_1)
	s_cmp_lg_u32 s3, 0
	s_cselect_b32 s5, s14, s13
	s_cselect_b32 s4, s10, s12
	s_xor_b64 s[8:9], s[8:9], 0
	s_wait_alu 0xfffe
	s_xor_b64 s[4:5], s[4:5], s[8:9]
	s_wait_alu 0xfffe
	s_sub_nc_u64 s[54:55], s[4:5], s[8:9]
	s_load_b64 s[38:39], s[0:1], 0x5c
	s_and_not1_b32 vcc_lo, exec_lo, s7
	s_cbranch_vccnz .LBB25_6
.LBB25_5:
	v_rcp_iflag_f32_e32 v1, v1
	s_sub_co_i32 s4, 0, s34
	s_delay_alu instid0(TRANS32_DEP_1) | instskip(NEXT) | instid1(VALU_DEP_1)
	v_mul_f32_e32 v1, 0x4f7ffffe, v1
	v_cvt_u32_f32_e32 v1, v1
	s_delay_alu instid0(VALU_DEP_1)
	v_readfirstlane_b32 s3, v1
	s_wait_alu 0xfffe
	s_mul_i32 s4, s4, s3
	s_wait_alu 0xfffe
	s_mul_hi_u32 s4, s3, s4
	s_wait_alu 0xfffe
	s_add_co_i32 s3, s3, s4
	s_delay_alu instid0(SALU_CYCLE_1) | instskip(NEXT) | instid1(SALU_CYCLE_1)
	s_mul_hi_u32 s3, s2, s3
	s_mul_i32 s4, s3, s34
	s_wait_alu 0xfffe
	s_sub_co_i32 s2, s2, s4
	s_add_co_i32 s4, s3, 1
	s_sub_co_i32 s5, s2, s34
	s_cmp_ge_u32 s2, s34
	s_wait_alu 0xfffe
	s_cselect_b32 s3, s4, s3
	s_cselect_b32 s2, s5, s2
	s_add_co_i32 s4, s3, 1
	s_cmp_ge_u32 s2, s34
	s_wait_alu 0xfffe
	s_cselect_b32 s54, s4, s3
.LBB25_6:
	s_load_b64 s[4:5], s[0:1], 0xa8
	s_abs_i32 s55, s101
	s_ashr_i32 s35, s27, 3
	s_cvt_f32_u32 s2, s55
	s_wait_kmcnt 0x0
	s_ashr_i32 s45, s46, 3
	s_ashr_i32 s102, s101, 31
	v_bfe_u32 v121, v0, 10, 10
	v_rcp_iflag_f32_e32 v1, s2
	s_clause 0x6
	s_load_b512 s[8:23], s[0:1], 0x0
	s_load_b32 s2, s[0:1], 0x40
	s_load_b32 s33, s[0:1], 0x54
	s_load_b64 s[6:7], s[0:1], 0x8c
	s_load_b128 s[28:31], s[0:1], 0x98
	s_load_b64 s[58:59], s[0:1], 0xb8
	s_load_b64 s[0:1], s[0:1], 0xc8
	v_bfe_u32 v123, v0, 10, 1
	v_and_b32_e32 v72, 0x3ff, v0
	v_lshrrev_b32_e32 v110, 10, v0
	v_lshlrev_b32_e32 v226, 3, v121
	v_add_nc_u32_e32 v109, 2, v121
	v_add_nc_u32_e32 v108, 4, v121
	;; [unrolled: 1-line block ×3, first 2 shown]
	v_readfirstlane_b32 s3, v1
	v_add_nc_u32_e32 v74, 8, v121
	v_add_nc_u32_e32 v73, 10, v121
	v_writelane_b32 v255, s4, 1
	v_add_nc_u32_e32 v71, 12, v121
	v_add_nc_u32_e32 v70, 14, v121
	v_mbcnt_lo_u32_b32 v124, -1, 0
	s_mov_b32 s57, 0
	v_writelane_b32 v255, s5, 2
	s_sub_co_i32 s4, 0, s55
	s_wait_kmcnt 0x0
	s_ashr_i32 s36, s6, 2
	s_ashr_i32 s40, s59, 1
	;; [unrolled: 1-line block ×3, first 2 shown]
	v_writelane_b32 v255, s0, 3
	s_cvt_f16_f32 s27, s2
	s_mov_b32 s53, s57
	v_writelane_b32 v255, s1, 4
	s_mul_f32 s0, s3, 0x4f7ffffe
	s_abs_i32 s3, s48
	s_ashr_i32 s1, s48, 31
	s_wait_alu 0xfffe
	s_cvt_u32_f32 s0, s0
	s_wait_alu 0xfffe
	s_delay_alu instid0(SALU_CYCLE_2) | instskip(SKIP_4) | instid1(SALU_CYCLE_1)
	s_mul_i32 s4, s4, s0
	s_wait_alu 0xfffe
	s_mul_hi_u32 s4, s0, s4
	s_wait_alu 0xfffe
	s_add_co_i32 s52, s0, s4
	s_mul_hi_u32 s0, s3, s52
	s_wait_alu 0xfffe
	s_mul_i32 s0, s0, s55
	s_wait_alu 0xfffe
	s_sub_co_i32 s0, s3, s0
	s_wait_alu 0xfffe
	s_sub_co_i32 s3, s0, s55
	s_cmp_ge_u32 s0, s55
	s_wait_alu 0xfffe
	s_cselect_b32 s0, s3, s0
	s_wait_alu 0xfffe
	s_sub_co_i32 s3, s0, s55
	s_cmp_ge_u32 s0, s55
	s_wait_alu 0xfffe
	s_cselect_b32 s3, s3, s0
	s_sub_co_i32 s4, s54, s48
	s_wait_alu 0xfffe
	s_xor_b32 s3, s3, s1
	v_cmp_eq_u32_e64 s0, 0, v123
	s_wait_alu 0xfffe
	s_sub_co_i32 s42, s3, s1
	s_delay_alu instid0(SALU_CYCLE_1)
	s_add_co_i32 s4, s4, s42
	s_wait_alu 0xfffe
	s_min_i32 s44, s101, s4
	s_cmp_gt_i32 s54, s48
	s_cselect_b32 s3, -1, 0
	s_cmp_le_i32 s54, s48
	s_cselect_b32 s1, -1, 0
	s_cmp_gt_i32 s101, s4
	s_cselect_b32 s4, -1, 0
	s_wait_alu 0xfffe
	s_or_b32 s1, s4, s1
	s_wait_alu 0xfffe
	s_and_b32 vcc_lo, exec_lo, s1
	s_cbranch_vccz .LBB25_9
; %bb.7:
	s_and_not1_b32 vcc_lo, exec_lo, s3
	s_cbranch_vccz .LBB25_399
.LBB25_8:
	s_endpgm
.LBB25_9:
	v_lshlrev_b32_e32 v4, 1, v72
	v_lshlrev_b32_e32 v36, 4, v121
	v_bfe_u32 v21, v0, 1, 9
	v_bfe_u32 v1, v0, 4, 6
	v_and_b32_e32 v2, 0x1f0, v226
	v_and_b32_e32 v5, 15, v0
	;; [unrolled: 1-line block ×5, first 2 shown]
	v_lshl_add_u32 v133, v121, 1, v1
	v_and_b32_e32 v15, 48, v0
	v_mad_u32_u24 v9, 0x110, v2, 0
	v_mul_u32_u24_e32 v24, 0x110, v5
	v_add_nc_u16 v11, v4, v37
	v_mul_lo_u32 v1, s36, v133
	s_cmp_eq_u64 s[16:17], 0
	v_and_or_b32 v2, v0, 14, v2
	v_add3_u32 v135, v9, v24, v15
	v_lshrrev_b16 v9, 1, v11
	s_cselect_b32 s51, -1, 0
	s_cmp_lg_u64 s[18:19], 0
	v_lshrrev_b32_e32 v2, 1, v2
	s_cselect_b32 s103, -1, 0
	s_lshl_b32 s1, s36, 2
	v_and_b32_e32 v9, 0xffff, v9
	s_wait_alu 0xfffe
	v_add_nc_u32_e32 v3, s1, v1
	s_abs_i32 s30, s99
	s_abs_i32 s49, s58
	s_cvt_f32_u32 s4, s30
	v_mul_u32_u24_e32 v28, 0x50, v2
	v_add_nc_u32_e32 v8, s1, v3
	v_lshlrev_b32_e32 v29, 2, v9
	s_wait_alu 0xfffe
	v_rcp_iflag_f32_e32 v34, s4
	s_cvt_f32_u32 s4, s49
	v_bfe_u32 v139, v110, 1, 9
	v_add_nc_u32_e32 v10, s1, v8
	v_add3_u32 v138, 0, v28, v29
	v_and_b32_e32 v28, 30, v21
	s_wait_alu 0xfffe
	v_rcp_iflag_f32_e32 v67, s4
	v_mad_u32_u24 v27, 0x110, v4, 0
	v_add_nc_u32_e32 v12, s1, v10
	v_mul_u32_u24_e32 v30, 0x110, v37
	v_or_b32_e32 v29, 6, v28
	v_or_b32_e32 v31, 7, v28
	v_lshlrev_b32_e32 v32, 2, v5
	v_add_nc_u32_e32 v16, s1, v12
	v_add_nc_u32_e32 v38, 1, v139
	v_mul_u32_u24_e32 v29, 0x110, v29
	v_readfirstlane_b32 s43, v67
	v_or_b32_e32 v67, v226, v72
	s_lshl_b32 s56, ttmp9, 4
	v_add_nc_u32_e32 v18, s1, v16
	v_mul_u32_u24_e32 v31, 0x110, v31
	v_add3_u32 v140, v27, v30, v32
	v_add3_u32 v141, v27, v29, v32
	v_and_b32_e32 v29, 0x400, v0
	v_lshlrev_b32_e32 v30, 1, v38
	v_and_b32_e32 v33, 15, v38
	v_add_nc_u32_e32 v39, 2, v139
	v_add_nc_u32_e32 v42, 4, v139
	v_and_b32_e32 v143, 1, v0
	v_lshlrev_b32_e32 v0, 3, v67
	s_lshl_b64 s[4:5], s[56:57], 3
	v_add_nc_u32_e32 v22, s1, v18
	s_wait_alu 0xfffe
	s_add_nc_u64 s[4:5], s[22:23], s[4:5]
	v_add3_u32 v137, v27, v24, v15
	v_add3_u32 v142, v27, v31, v32
	v_cmp_ne_u32_e64 s1, 0, v29
	v_add_nc_u32_e32 v40, 3, v139
	v_and_or_b32 v41, 0x60, v30, v33
	v_lshlrev_b32_e32 v27, 1, v39
	v_and_b32_e32 v29, 15, v39
	v_lshlrev_b32_e32 v32, 1, v42
	v_and_b32_e32 v33, 15, v42
	v_add_nc_u32_e32 v48, 7, v139
	s_wait_alu 0xfffe
	v_add_co_u32 v75, s4, s4, v0
	v_or_b32_e32 v0, v36, v72
	v_add_nc_u32_e32 v69, v36, v72
	v_or_b32_e32 v36, v36, v5
	v_lshlrev_b32_e32 v30, 1, v40
	v_and_b32_e32 v31, 15, v40
	v_and_or_b32 v43, 0x60, v27, v29
	v_add_nc_u32_e32 v44, 5, v139
	v_and_or_b32 v47, 0x60, v32, v33
	v_lshlrev_b32_e32 v32, 1, v48
	v_and_b32_e32 v33, 15, v48
	s_wait_alu 0xf1ff
	v_add_co_ci_u32_e64 v76, null, s5, 0, s4
	v_mul_u32_u24_e32 v147, 0x110, v36
	v_lshrrev_b32_e32 v36, 1, v39
	v_dual_mov_b32 v190, 0 :: v_dual_lshlrev_b32 v7, 2, v72
	v_and_or_b32 v45, 0x60, v30, v31
	v_add_nc_u32_e32 v46, 6, v139
	v_lshlrev_b32_e32 v27, 1, v44
	v_and_b32_e32 v29, 15, v44
	v_add_nc_u32_e32 v50, 8, v139
	v_and_or_b32 v53, 0x60, v32, v33
	v_add_nc_u32_e32 v54, 10, v139
	v_add_nc_u32_e32 v58, 12, v139
	;; [unrolled: 1-line block ×3, first 2 shown]
	v_mul_u32_u24_e32 v145, 0x110, v0
	v_mad_u32_u24 v0, 0x110, v41, 0
	scratch_store_b64 off, v[75:76], off offset:96 ; 8-byte Folded Spill
	v_lshrrev_b32_e32 v39, 1, v42
	scratch_store_b32 off, v36, off offset:108 ; 4-byte Folded Spill
	v_mad_u32_u24 v36, 0x110, v43, 0
	v_and_or_b32 v49, 0x60, v27, v29
	v_lshlrev_b32_e32 v27, 1, v50
	v_and_b32_e32 v29, 15, v50
	v_lshl_add_u32 v144, v37, 2, 0
	v_mad_u32_u24 v37, 0x110, v45, 0
	v_lshrrev_b32_e32 v42, 1, v46
	v_mad_u32_u24 v43, 0x110, v53, 0
	v_lshrrev_b32_e32 v45, 1, v50
	s_clause 0x1
	scratch_store_b32 off, v39, off offset:136
	scratch_store_b32 off, v0, off offset:104
	v_mad_u32_u24 v39, 0x110, v47, 0
	v_lshrrev_b32_e32 v47, 1, v54
	v_lshrrev_b32_e32 v50, 1, v58
	;; [unrolled: 1-line block ×3, first 2 shown]
	v_add_nc_u32_e32 v173, v0, v7
	v_add_nc_u32_e32 v0, v36, v7
	v_lshlrev_b32_e32 v30, 1, v46
	v_and_b32_e32 v31, 15, v46
	s_clause 0x7
	scratch_store_b32 off, v42, off offset:172
	scratch_store_b32 off, v47, off offset:236
	scratch_store_b32 off, v53, off offset:300
	scratch_store_b32 off, v36, off offset:120
	scratch_store_b32 off, v45, off offset:204
	scratch_store_b32 off, v50, off offset:268
	scratch_store_b32 off, v0, off offset:124
	scratch_store_b32 off, v37, off offset:132
	v_add_nc_u32_e32 v0, v37, v7
	v_and_or_b32 v51, 0x60, v30, v31
	v_mad_u32_u24 v41, 0x110, v49, 0
	s_clause 0x1
	scratch_store_b32 off, v0, off offset:140
	scratch_store_b32 off, v39, off offset:156
	v_add_nc_u32_e32 v0, v39, v7
	v_add_nc_u32_e32 v52, 9, v139
	v_mad_u32_u24 v42, 0x110, v51, 0
	s_clause 0x1
	scratch_store_b32 off, v0, off offset:160
	scratch_store_b32 off, v41, off offset:168
	v_add_nc_u32_e32 v0, v41, v7
	v_lshlrev_b32_e32 v30, 1, v52
	v_and_b32_e32 v31, 15, v52
	v_and_or_b32 v55, 0x60, v27, v29
	s_clause 0x1
	scratch_store_b32 off, v0, off offset:176
	scratch_store_b32 off, v42, off offset:188
	v_add_nc_u32_e32 v0, v42, v7
	v_lshlrev_b32_e32 v32, 1, v54
	v_and_b32_e32 v33, 15, v54
	v_add_nc_u32_e32 v56, 11, v139
	v_and_or_b32 v57, 0x60, v30, v31
	v_mad_u32_u24 v45, 0x110, v55, 0
	s_clause 0x1
	scratch_store_b32 off, v0, off offset:192
	scratch_store_b32 off, v43, off offset:200
	v_add_nc_u32_e32 v0, v43, v7
	v_and_or_b32 v59, 0x60, v32, v33
	v_lshlrev_b32_e32 v27, 1, v56
	v_and_b32_e32 v29, 15, v56
	v_mad_u32_u24 v46, 0x110, v57, 0
	s_clause 0x1
	scratch_store_b32 off, v0, off offset:208
	scratch_store_b32 off, v45, off offset:220
	v_add_nc_u32_e32 v0, v45, v7
	v_add_nc_u32_e32 v60, 13, v139
	v_lshlrev_b32_e32 v30, 1, v58
	v_and_b32_e32 v31, 15, v58
	v_and_or_b32 v62, 0x60, v27, v29
	v_mad_u32_u24 v47, 0x110, v59, 0
	s_clause 0x1
	scratch_store_b32 off, v0, off offset:224
	scratch_store_b32 off, v46, off offset:232
	v_add_nc_u32_e32 v0, v46, v7
	v_lshlrev_b32_e32 v32, 1, v60
	v_and_b32_e32 v33, 15, v60
	v_and_or_b32 v63, 0x60, v30, v31
	v_mad_u32_u24 v49, 0x110, v62, 0
	s_clause 0x1
	scratch_store_b32 off, v0, off offset:240
	scratch_store_b32 off, v47, off offset:252
	v_add_nc_u32_e32 v0, v47, v7
	v_add_nc_u32_e32 v64, 15, v139
	v_and_or_b32 v65, 0x60, v32, v33
	v_lshlrev_b32_e32 v27, 1, v61
	v_and_b32_e32 v29, 15, v61
	v_mad_u32_u24 v50, 0x110, v63, 0
	s_clause 0x1
	scratch_store_b32 off, v0, off offset:256
	scratch_store_b32 off, v49, off offset:264
	v_add_nc_u32_e32 v0, v49, v7
	v_lshlrev_b32_e32 v31, 1, v64
	v_and_b32_e32 v32, 15, v64
	v_and_or_b32 v66, 0x60, v27, v29
	v_mad_u32_u24 v51, 0x110, v65, 0
	s_clause 0x1
	scratch_store_b32 off, v0, off offset:272
	scratch_store_b32 off, v50, off offset:284
	v_add_nc_u32_e32 v0, v50, v7
	v_and_or_b32 v68, 0x60, v31, v32
	v_mad_u32_u24 v53, 0x110, v66, 0
	s_clause 0x1
	scratch_store_b32 off, v0, off offset:288
	scratch_store_b32 off, v51, off offset:296
	v_add_nc_u32_e32 v0, v51, v7
	v_mad_u32_u24 v54, 0x110, v68, 0
	s_clause 0x1
	scratch_store_b32 off, v0, off offset:304
	scratch_store_b32 off, v53, off offset:316
	v_add_nc_u32_e32 v0, v53, v7
	s_clause 0x1
	scratch_store_b32 off, v0, off offset:320
	scratch_store_b32 off, v54, off offset:328
	v_add_nc_u32_e32 v0, v54, v7
	v_mul_lo_u32 v14, s26, v133
	s_lshl_b32 s2, s26, 2
	v_and_b32_e32 v6, 60, v7
	v_mul_u32_u24_e32 v25, 0x110, v133
	scratch_store_b32 off, v0, off offset:332 ; 4-byte Folded Spill
	v_lshrrev_b32_e32 v0, 1, v40
	s_abs_i32 vcc_hi, s100
	v_lshlrev_b32_e32 v26, 2, v6
	v_ashrrev_i32_e32 v15, 31, v14
	s_wait_alu 0xfffe
	v_add_nc_u32_e32 v20, s2, v14
	scratch_store_b32 off, v0, off offset:128 ; 4-byte Folded Spill
	v_and_b32_e32 v0, 1, v40
	v_add3_u32 v136, 0, v25, v26
	v_lshlrev_b64_e32 v[75:76], 2, v[14:15]
	v_ashrrev_i32_e32 v21, 31, v20
	v_add_nc_u32_e32 v24, s2, v20
	scratch_store_b64 off, v[0:1], off offset:112 ; 8-byte Folded Spill
	v_lshrrev_b32_e32 v0, 1, v44
	v_writelane_b32 v255, s34, 5
	v_lshlrev_b64_e32 v[77:78], 2, v[20:21]
	v_ashrrev_i32_e32 v25, 31, v24
	v_add_nc_u32_e32 v26, s2, v24
	scratch_store_b32 off, v0, off offset:164 ; 4-byte Folded Spill
	v_and_b32_e32 v0, 1, v44
	s_cvt_f32_u32 s3, vcc_hi
	v_lshlrev_b64_e32 v[79:80], 2, v[24:25]
	v_ashrrev_i32_e32 v27, 31, v26
	v_add_nc_u32_e32 v28, s2, v26
	scratch_store_b64 off, v[0:1], off offset:148 ; 8-byte Folded Spill
	v_lshrrev_b32_e32 v0, 1, v48
	v_writelane_b32 v255, s35, 6
	v_lshlrev_b64_e32 v[81:82], 2, v[26:27]
	v_ashrrev_i32_e32 v29, 31, v28
	v_add_nc_u32_e32 v30, s2, v28
	scratch_store_b32 off, v0, off offset:196 ; 4-byte Folded Spill
	v_and_b32_e32 v0, 1, v48
	s_wait_alu 0xfffe
	v_rcp_iflag_f32_e32 v33, s3
	v_lshlrev_b64_e32 v[83:84], 2, v[28:29]
	v_ashrrev_i32_e32 v31, 31, v30
	s_abs_i32 s50, s98
	scratch_store_b64 off, v[0:1], off offset:180 ; 8-byte Folded Spill
	v_lshrrev_b32_e32 v0, 1, v52
	v_writelane_b32 v255, s27, 7
	v_add_nc_u32_e32 v32, s2, v30
	v_lshlrev_b64_e32 v[85:86], 2, v[30:31]
	s_cvt_f32_u32 s3, s50
	scratch_store_b32 off, v0, off offset:228 ; 4-byte Folded Spill
	v_and_b32_e32 v0, 1, v52
	s_mov_b32 s6, s58
	s_wait_alu 0xfffe
	v_rcp_iflag_f32_e32 v35, s3
	v_writelane_b32 v255, s6, 8
	v_readfirstlane_b32 s3, v33
	scratch_store_b64 off, v[0:1], off offset:212 ; 8-byte Folded Spill
	v_lshrrev_b32_e32 v0, 1, v56
	v_ashrrev_i32_e32 v33, 31, v32
	v_writelane_b32 v255, s7, 9
	v_readfirstlane_b32 s6, v34
	v_add_nc_u32_e32 v34, s2, v32
	scratch_store_b32 off, v0, off offset:260 ; 4-byte Folded Spill
	v_and_b32_e32 v0, 1, v56
	v_lshlrev_b64_e32 v[87:88], 2, v[32:33]
	v_readfirstlane_b32 s34, v35
	v_ashrrev_i32_e32 v35, 31, v34
	v_ashrrev_i32_e32 v2, 31, v1
	scratch_store_b64 off, v[0:1], off offset:244 ; 8-byte Folded Spill
	v_lshrrev_b32_e32 v0, 1, v60
	v_ashrrev_i32_e32 v4, 31, v3
	v_lshlrev_b64_e32 v[89:90], 2, v[34:35]
	v_lshlrev_b64_e32 v[91:92], 2, v[1:2]
	s_mul_f32 s3, s3, 0x4f7ffffe
	scratch_store_b32 off, v0, off offset:292 ; 4-byte Folded Spill
	v_and_b32_e32 v0, 1, v60
	v_lshlrev_b64_e32 v[93:94], 2, v[3:4]
	s_wait_alu 0xfffe
	s_cvt_u32_f32 s3, s3
	s_sub_co_i32 s4, 0, vcc_hi
	s_mul_f32 s5, s6, 0x4f7ffffe
	scratch_store_b64 off, v[0:1], off offset:276 ; 8-byte Folded Spill
	v_lshrrev_b32_e32 v0, 1, v64
	v_ashrrev_i32_e32 v9, 31, v8
	s_wait_alu 0xfffe
	s_mul_i32 s4, s4, s3
	s_cvt_u32_f32 s5, s5
	s_wait_alu 0xfffe
	s_mul_hi_u32 s4, s3, s4
	scratch_store_b32 off, v0, off offset:324 ; 4-byte Folded Spill
	v_and_b32_e32 v0, 1, v64
	s_wait_alu 0xfffe
	s_add_co_i32 s58, s3, s4
	s_sub_co_i32 s3, 0, s30
	v_lshlrev_b64_e32 v[95:96], 2, v[8:9]
	s_wait_alu 0xfffe
	s_mul_i32 s3, s3, s5
	scratch_store_b64 off, v[0:1], off offset:308 ; 8-byte Folded Spill
	v_add_co_u32 v0, vcc_lo, s12, v75
	scratch_store_b32 off, v110, off offset:144 ; 4-byte Folded Spill
	s_wait_alu 0xfffe
	s_mul_hi_u32 s3, s5, s3
	s_mul_f32 s4, s34, 0x4f7ffffe
	scratch_store_b32 off, v0, off          ; 4-byte Folded Spill
	v_add_co_ci_u32_e64 v0, null, s13, v76, vcc_lo
	v_ashrrev_i32_e32 v11, 31, v10
	s_wait_alu 0xfffe
	s_add_co_i32 s60, s5, s3
	s_mul_f32 s3, s43, 0x4f7ffffe
	scratch_store_b32 off, v0, off offset:4 ; 4-byte Folded Spill
	v_add_co_u32 v0, vcc_lo, s12, v77
	s_cvt_u32_f32 s4, s4
	s_sub_co_i32 s5, 0, s50
	s_wait_alu 0xfffe
	s_cvt_u32_f32 s3, s3
	scratch_store_b32 off, v0, off offset:8 ; 4-byte Folded Spill
	s_wait_alu 0xfffd
	v_add_co_ci_u32_e64 v0, null, s13, v78, vcc_lo
	v_ashrrev_i32_e32 v13, 31, v12
	v_lshlrev_b64_e32 v[97:98], 2, v[10:11]
	s_mul_i32 s5, s5, s4
	scratch_store_b32 off, v0, off offset:12 ; 4-byte Folded Spill
	v_add_co_u32 v0, vcc_lo, s12, v79
	s_sub_co_i32 s6, 0, s49
	v_ashrrev_i32_e32 v17, 31, v16
	s_wait_alu 0xfffe
	s_mul_hi_u32 s5, s4, s5
	scratch_store_b32 off, v0, off offset:16 ; 4-byte Folded Spill
	s_wait_alu 0xfffd
	v_add_co_ci_u32_e64 v0, null, s13, v80, vcc_lo
	s_mul_i32 s6, s6, s3
	v_ashrrev_i32_e32 v19, 31, v18
	v_bfe_u32 v67, v121, 1, 4
	scratch_store_b32 off, v0, off offset:20 ; 4-byte Folded Spill
	v_add_co_u32 v0, vcc_lo, s12, v81
	s_ashr_i32 s41, s40, 31
	s_wait_alu 0xfffe
	s_add_co_i32 s62, s4, s5
	s_mul_hi_u32 s4, s3, s6
	scratch_store_b32 off, v0, off offset:24 ; 4-byte Folded Spill
	s_wait_alu 0xfffd
	v_add_co_ci_u32_e64 v0, null, s13, v82, vcc_lo
	v_lshlrev_b64_e32 v[99:100], 2, v[12:13]
	v_ashrrev_i32_e32 v23, 31, v22
	s_wait_alu 0xfffe
	s_add_co_i32 s64, s3, s4
	scratch_store_b32 off, v0, off offset:28 ; 4-byte Folded Spill
	v_add_co_u32 v0, vcc_lo, s12, v83
	s_lshl_b64 s[4:5], s[40:41], 1
	v_lshlrev_b64_e32 v[101:102], 2, v[16:17]
	v_and_or_b32 v67, v110, 32, v67
	scratch_store_b32 off, v0, off offset:32 ; 4-byte Folded Spill
	s_wait_alu 0xfffd
	v_add_co_ci_u32_e64 v0, null, s13, v84, vcc_lo
	v_add_nc_u32_e32 v171, 0, v7
	s_wait_alu 0xfffe
	v_writelane_b32 v255, s4, 10
	v_lshlrev_b64_e32 v[103:104], 2, v[18:19]
	scratch_store_b32 off, v0, off offset:36 ; 4-byte Folded Spill
	v_add_co_u32 v0, vcc_lo, s12, v85
	v_lshlrev_b64_e32 v[105:106], 2, v[22:23]
	v_mad_u32_u24 v148, 0x110, v67, 0
	v_writelane_b32 v255, s5, 11
	scratch_store_b32 off, v0, off offset:40 ; 4-byte Folded Spill
	s_wait_alu 0xfffd
	v_add_co_ci_u32_e64 v0, null, s13, v86, vcc_lo
	v_mad_u32_u24 v199, 0x110, v121, v171
	v_mad_co_u64_u32 v[115:116], null, v123, s45, v[72:73]
	scratch_store_b32 off, v0, off offset:44 ; 4-byte Folded Spill
	v_add_co_u32 v0, vcc_lo, s12, v87
	v_add_co_u32 v226, s3, s14, v6
	v_cmp_gt_u32_e64 s2, 16, v72
	scratch_store_b32 off, v0, off offset:48 ; 4-byte Folded Spill
	s_wait_alu 0xfffd
	v_add_co_ci_u32_e64 v0, null, s13, v88, vcc_lo
	v_mul_u32_u24_e32 v146, 0x110, v69
	v_add_nc_u32_e32 v172, v148, v7
	v_lshlrev_b32_e32 v188, 4, v5
	scratch_store_b32 off, v0, off offset:52 ; 4-byte Folded Spill
	v_add_co_u32 v0, vcc_lo, s12, v89
	v_lshlrev_b32_e32 v189, 2, v6
	v_mul_u32_u24_e32 v191, 0x50, v133
	v_add_nc_u32_e32 v192, 4, v133
	scratch_store_b32 off, v0, off offset:56 ; 4-byte Folded Spill
	s_wait_alu 0xfffd
	v_add_co_ci_u32_e64 v0, null, s13, v90, vcc_lo
	v_lshl_add_u32 v193, v134, 1, 0
	v_add_nc_u32_e32 v194, 0x440, v136
	v_add_nc_u32_e32 v195, 0x880, v136
	scratch_store_b32 off, v0, off offset:60 ; 4-byte Folded Spill
	v_add_co_u32 v0, vcc_lo, s10, v91
	v_add_nc_u32_e32 v196, 0xcc0, v136
	v_add_nc_u32_e32 v197, 0x1100, v136
	;; [unrolled: 1-line block ×3, first 2 shown]
	scratch_store_b32 off, v0, off offset:64 ; 4-byte Folded Spill
	s_wait_alu 0xfffd
	v_add_co_ci_u32_e64 v0, null, s11, v92, vcc_lo
	v_add_nc_u32_e32 v200, 0x1980, v136
	v_add_nc_u32_e32 v201, 0x1dc0, v136
	v_mul_u32_u24_e32 v202, 0x110, v121
	scratch_store_b32 off, v0, off offset:68 ; 4-byte Folded Spill
	v_add_co_u32 v0, vcc_lo, s10, v93
	v_lshrrev_b32_e32 v203, 1, v109
	v_add_nc_u32_e32 v204, 0x220, v199
	v_lshrrev_b32_e32 v205, 1, v108
	scratch_store_b32 off, v0, off offset:72 ; 4-byte Folded Spill
	s_wait_alu 0xfffd
	v_add_co_ci_u32_e64 v0, null, s11, v94, vcc_lo
	v_add_nc_u32_e32 v206, 0x440, v199
	v_lshrrev_b32_e32 v207, 1, v107
	v_add_nc_u32_e32 v208, 0x660, v199
	scratch_store_b32 off, v0, off offset:76 ; 4-byte Folded Spill
	v_add_co_u32 v0, vcc_lo, s10, v95
	v_lshrrev_b32_e32 v209, 1, v74
	v_add_nc_u32_e32 v210, 0x880, v199
	v_lshrrev_b32_e32 v211, 1, v73
	scratch_store_b32 off, v0, off offset:80 ; 4-byte Folded Spill
	s_wait_alu 0xfffd
	v_add_co_ci_u32_e64 v0, null, s11, v96, vcc_lo
	v_add_nc_u32_e32 v212, 0xaa0, v199
	v_lshrrev_b32_e32 v213, 1, v71
	v_add_nc_u32_e32 v214, 0xcc0, v199
	scratch_store_b32 off, v0, off offset:84 ; 4-byte Folded Spill
	v_add_co_u32 v0, vcc_lo, s10, v97
	v_lshrrev_b32_e32 v215, 1, v70
	v_add_nc_u32_e32 v216, 0xee0, v199
	v_bfe_u32 v217, v110, 2, 8
	scratch_store_b32 off, v0, off offset:88 ; 4-byte Folded Spill
	s_wait_alu 0xfffd
	v_add_co_ci_u32_e64 v0, null, s11, v98, vcc_lo
	v_add_co_u32 v252, vcc_lo, s10, v99
	s_wait_alu 0xfffd
	v_add_co_ci_u32_e64 v253, null, s11, v100, vcc_lo
	v_add_co_u32 v254, vcc_lo, s10, v101
	;; [unrolled: 3-line block ×4, first 2 shown]
	v_lshrrev_b32_e32 v218, 1, v38
	v_and_b32_e32 v107, 1, v38
	s_wait_alu 0xf1ff
	v_add_co_ci_u32_e64 v227, null, s15, 0, s3
	s_wait_alu 0xfffd
	v_add_co_ci_u32_e64 v165, null, s11, v106, vcc_lo
	v_writelane_b32 v255, s45, 12
	v_bfe_u32 v116, v121, 1, 1
	s_and_b32 s104, 0xffff, s27
	s_ashr_i32 s37, s36, 31
	s_ashr_i32 s27, s26, 31
	s_mul_i32 s104, s104, 0x10001
	s_ashr_i32 s66, s100, 31
	s_mov_b32 s59, s57
	s_ashr_i32 s67, s99, 31
	s_mov_b32 s61, s57
	;; [unrolled: 2-line block ×3, first 2 shown]
	s_mov_b32 s65, s57
	s_wait_alu 0xfffe
	s_lshl_b64 s[68:69], s[26:27], 7
	s_lshl_b64 s[70:71], s[36:37], 7
	s_mov_b32 s41, 0xbbbac73d
	scratch_store_b32 off, v0, off offset:92 ; 4-byte Folded Spill
	s_branch .LBB25_12
.LBB25_10:                              ;   in Loop: Header=BB25_12 Depth=1
	s_wait_alu 0xfffe
	s_or_b32 exec_lo, exec_lo, s42
	s_wait_loadcnt 0x0
	s_wait_storecnt 0x0
	s_barrier_signal -1
	s_barrier_wait -1
.LBB25_11:                              ;   in Loop: Header=BB25_12 Depth=1
	s_add_co_i32 s3, s48, s101
	s_mov_b32 s42, 0
	s_wait_alu 0xfffe
	s_abs_i32 s56, s3
	s_wait_storecnt 0x0
	global_inv scope:SCOPE_SE
	s_wait_alu 0xfffe
	s_mul_u64 s[4:5], s[56:57], s[52:53]
	s_wait_alu 0xfffe
	s_mul_i32 s4, s5, s55
	s_ashr_i32 s5, s3, 31
	s_wait_alu 0xfffe
	s_sub_co_i32 s4, s56, s4
	s_wait_alu 0xfffe
	s_sub_co_i32 s6, s4, s55
	s_cmp_ge_u32 s4, s55
	s_wait_alu 0xfffe
	s_cselect_b32 s4, s6, s4
	s_wait_alu 0xfffe
	s_sub_co_i32 s6, s4, s55
	s_cmp_ge_u32 s4, s55
	s_wait_alu 0xfffe
	s_cselect_b32 s4, s6, s4
	s_wait_alu 0xfffe
	s_xor_b32 s4, s4, s5
	s_wait_alu 0xfffe
	s_sub_co_i32 s4, s5, s4
	s_wait_alu 0xfffe
	s_add_co_i32 s48, s3, s4
	s_delay_alu instid0(SALU_CYCLE_1)
	s_sub_co_i32 s4, s54, s48
	s_wait_alu 0xfffe
	s_min_i32 s44, s101, s4
	s_cmp_gt_i32 s54, s48
	s_cselect_b32 s3, -1, 0
	s_cmp_le_i32 s101, s4
	s_cselect_b32 s4, -1, 0
	s_wait_alu 0xfffe
	s_and_b32 s4, s4, s3
	s_wait_alu 0xfffe
	s_and_b32 vcc_lo, exec_lo, s4
	s_wait_alu 0xfffe
	s_cbranch_vccz .LBB25_398
.LBB25_12:                              ; =>This Loop Header: Depth=1
                                        ;     Child Loop BB25_244 Depth 2
                                        ;     Child Loop BB25_51 Depth 2
	s_abs_i32 s56, s48
	s_ashr_i32 s3, s48, 31
	s_wait_alu 0xfffe
	s_mul_u64 s[4:5], s[56:57], s[58:59]
	s_xor_b32 s3, s3, s66
	s_wait_alu 0xfffe
	s_mul_i32 s4, s5, vcc_hi
	s_add_co_i32 s6, s5, 1
	s_wait_alu 0xfffe
	s_sub_co_i32 s4, s56, s4
	s_wait_alu 0xfffe
	s_sub_co_i32 s34, s4, vcc_hi
	s_cmp_ge_u32 s4, vcc_hi
	s_cselect_b32 s5, s6, s5
	s_wait_alu 0xfffe
	s_cselect_b32 s4, s34, s4
	s_add_co_i32 s6, s5, 1
	s_wait_alu 0xfffe
	s_cmp_ge_u32 s4, vcc_hi
	s_cselect_b32 s4, s6, s5
	s_wait_alu 0xfffe
	s_xor_b32 s4, s4, s3
	s_wait_alu 0xfffe
	s_sub_co_i32 s4, s4, s3
	s_wait_alu 0xfffe
	s_mul_i32 s3, s4, s100
	s_wait_alu 0xfffe
	s_sub_co_i32 s5, s48, s3
	s_wait_alu 0xfffe
	s_abs_i32 s56, s5
	s_ashr_i32 s3, s5, 31
	s_wait_alu 0xfffe
	s_mul_u64 s[72:73], s[56:57], s[60:61]
	s_xor_b32 s3, s3, s67
	s_wait_alu 0xfffe
	s_mul_i32 s6, s73, s30
	s_add_co_i32 s34, s73, 1
	s_wait_alu 0xfffe
	s_sub_co_i32 s6, s56, s6
	s_wait_alu 0xfffe
	s_sub_co_i32 s43, s6, s30
	s_cmp_ge_u32 s6, s30
	s_cselect_b32 s34, s34, s73
	s_wait_alu 0xfffe
	s_cselect_b32 s6, s43, s6
	s_add_co_i32 s43, s34, 1
	s_wait_alu 0xfffe
	s_cmp_ge_u32 s6, s30
	s_cselect_b32 s6, s43, s34
	s_wait_alu 0xfffe
	s_xor_b32 s6, s6, s3
	s_wait_alu 0xfffe
	s_sub_co_i32 s3, s6, s3
	s_wait_alu 0xfffe
	s_mul_i32 s6, s3, s99
	s_wait_alu 0xfffe
	s_sub_co_i32 s6, s5, s6
	s_wait_alu 0xfffe
	s_abs_i32 s56, s6
	s_ashr_i32 s5, s6, 31
	s_wait_alu 0xfffe
	s_mul_u64 s[72:73], s[56:57], s[62:63]
	s_xor_b32 s5, s5, s97
	s_wait_alu 0xfffe
	s_mul_i32 s34, s73, s50
	s_add_co_i32 s43, s73, 1
	s_wait_alu 0xfffe
	s_sub_co_i32 s34, s56, s34
	s_wait_alu 0xfffe
	s_sub_co_i32 s45, s34, s50
	s_cmp_ge_u32 s34, s50
	s_cselect_b32 s43, s43, s73
	s_wait_alu 0xfffe
	s_cselect_b32 s34, s45, s34
	s_add_co_i32 s45, s43, 1
	s_wait_alu 0xfffe
	s_cmp_ge_u32 s34, s50
	;; [unrolled: 29-line block ×3, first 2 shown]
	s_cselect_b32 s34, s45, s43
	s_and_not1_b32 vcc_lo, exec_lo, s103
	s_wait_alu 0xfffe
	s_xor_b32 s34, s34, s6
	s_wait_alu 0xfffe
	s_sub_co_i32 s43, s34, s6
	s_cbranch_vccnz .LBB25_14
; %bb.13:                               ;   in Loop: Header=BB25_12 Depth=1
	v_readlane_b32 s6, v255, 0
	s_mul_i32 s6, s4, s6
	s_wait_alu 0xfffe
	s_add_co_i32 s72, s43, s6
	s_wait_alu 0xfffe
	s_ashr_i32 s73, s72, 31
	s_wait_alu 0xfffe
	s_lshl_b64 s[72:73], s[72:73], 2
	s_wait_alu 0xfffe
	s_add_nc_u64 s[72:73], s[18:19], s[72:73]
	global_load_b32 v0, v190, s[72:73]
	s_wait_loadcnt 0x0
	v_readfirstlane_b32 s6, v0
	s_ashr_i32 s34, s6, 31
	s_wait_alu 0xfffe
	s_lshr_b32 s34, s34, 27
	s_wait_alu 0xfffe
	s_add_co_i32 s6, s6, s34
	s_wait_alu 0xfffe
	s_ashr_i32 s6, s6, 5
	s_wait_alu 0xfffe
	s_min_i32 s44, s44, s6
.LBB25_14:                              ;   in Loop: Header=BB25_12 Depth=1
	s_abs_i32 s56, s4
	s_mul_i32 s6, s3, s96
	s_lshl_b32 s34, s5, 1
	s_wait_alu 0xfffe
	s_mul_u64 s[76:77], s[56:57], s[64:65]
	s_add_co_i32 s74, s34, s6
	s_mul_i32 s6, s77, s49
	s_mul_i32 s72, s4, s47
	;; [unrolled: 1-line block ×4, first 2 shown]
	s_wait_alu 0xfffe
	s_sub_co_i32 s6, s56, s6
	s_ashr_i32 s73, s72, 31
	s_ashr_i32 s79, s78, 31
	;; [unrolled: 1-line block ×4, first 2 shown]
	s_wait_alu 0xfffe
	s_sub_co_i32 s45, s6, s49
	s_cmp_ge_u32 s6, s49
	s_add_nc_u64 s[72:73], s[8:9], s[72:73]
	s_wait_alu 0xfffe
	s_cselect_b32 s6, s45, s6
	s_mul_u64 s[84:85], s[28:29], s[4:5]
	s_wait_alu 0xfffe
	s_sub_co_i32 s45, s6, s49
	s_cmp_ge_u32 s6, s49
	s_add_nc_u64 s[92:93], s[72:73], s[78:79]
	s_wait_alu 0xfffe
	s_cselect_b32 s6, s45, s6
	s_add_nc_u64 s[72:73], s[10:11], s[84:85]
	s_wait_alu 0xfffe
	s_xor_b32 s6, s6, s5
	v_readlane_b32 s76, v255, 3
	v_readlane_b32 s77, v255, 4
	s_add_nc_u64 s[78:79], s[72:73], s[82:83]
	s_wait_alu 0xfffe
	s_sub_co_i32 s72, s6, s5
	s_mul_i32 s45, s24, s25
	s_wait_alu 0xfffe
	s_ashr_i32 s73, s72, 31
	s_mul_i32 s45, s45, s4
	s_wait_alu 0xfffe
	s_mul_u64 s[86:87], s[76:77], s[72:73]
	v_readlane_b32 s76, v255, 1
	v_readlane_b32 s77, v255, 2
	s_add_co_i32 s6, s74, s45
	s_ashr_i32 s75, s74, 31
	s_wait_alu 0xfffe
	s_lshl_b32 s56, s6, 6
	s_mul_i32 s90, s3, s31
	s_mul_u64 s[88:89], s[76:77], s[4:5]
	s_lshl_b64 s[74:75], s[74:75], 2
	v_or_b32_e32 v184, s34, v123
	s_wait_alu 0xfffe
	s_lshl_b64 s[72:73], s[56:57], 3
	s_add_nc_u64 s[4:5], s[12:13], s[88:89]
	s_ashr_i32 s91, s90, 31
	s_add_nc_u64 s[74:75], s[16:17], s[74:75]
	s_and_b32 s3, s51, exec_lo
	s_add_nc_u64 s[80:81], s[14:15], s[86:87]
	s_wait_alu 0xfffe
	s_add_nc_u64 s[72:73], s[20:21], s[72:73]
	s_cselect_b32 s75, 0, s75
	s_cselect_b32 s74, 0, s74
	s_cmp_lg_u32 s42, 0
	s_add_nc_u64 s[76:77], s[4:5], s[90:91]
	s_cbranch_scc0 .LBB25_85
; %bb.15:                               ;   in Loop: Header=BB25_12 Depth=1
	s_lshl_b32 s56, s43, 3
	v_cmp_le_i32_e64 s4, s96, v184
	s_wait_alu 0xfffe
	v_add_nc_u32_e32 v0, s56, v139
	v_cmp_gt_i32_e32 vcc_lo, s96, v184
	s_delay_alu instid0(VALU_DEP_2)
	v_cmp_le_i32_e64 s3, s24, v0
	s_or_b32 s3, s3, s4
	s_wait_alu 0xfffe
	s_and_saveexec_b32 s4, s3
	s_wait_alu 0xfffe
	s_xor_b32 s3, exec_lo, s4
; %bb.16:                               ;   in Loop: Header=BB25_12 Depth=1
	v_add_nc_u32_e32 v0, v171, v202
	ds_store_2addr_b32 v0, v190, v190 offset1:32
                                        ; implicit-def: $vgpr0
; %bb.17:                               ;   in Loop: Header=BB25_12 Depth=1
	s_wait_alu 0xfffe
	s_and_not1_saveexec_b32 s4, s3
	s_cbranch_execz .LBB25_19
; %bb.18:                               ;   in Loop: Header=BB25_12 Depth=1
	v_mad_co_u64_u32 v[0:1], null, v0, s35, v[115:116]
	s_delay_alu instid0(VALU_DEP_1) | instskip(NEXT) | instid1(VALU_DEP_1)
	v_ashrrev_i32_e32 v1, 31, v0
	v_lshlrev_b64_e32 v[0:1], 3, v[0:1]
	s_delay_alu instid0(VALU_DEP_1) | instskip(SKIP_1) | instid1(VALU_DEP_2)
	v_add_co_u32 v0, s3, s92, v0
	s_wait_alu 0xf1ff
	v_add_co_ci_u32_e64 v1, null, s93, v1, s3
	s_clause 0x1
	global_load_b64 v[2:3], v[0:1], off
	global_load_b64 v[0:1], v[0:1], off offset:256
	s_wait_loadcnt 0x1
	v_cvt_f16_f32_e32 v2, v2
	v_cvt_f16_f32_e32 v3, v3
	s_wait_loadcnt 0x0
	v_cvt_f16_f32_e32 v0, v0
	v_cvt_f16_f32_e32 v1, v1
	s_delay_alu instid0(VALU_DEP_3) | instskip(NEXT) | instid1(VALU_DEP_2)
	v_pack_b32_f16 v2, v2, v3
	v_pack_b32_f16 v0, v0, v1
	s_delay_alu instid0(VALU_DEP_2) | instskip(NEXT) | instid1(VALU_DEP_2)
	v_pk_mul_f16 v1, v2, s104
	v_pk_mul_f16 v0, v0, s104
	ds_store_2addr_b32 v199, v1, v0 offset1:32
.LBB25_19:                              ;   in Loop: Header=BB25_12 Depth=1
	s_wait_alu 0xfffe
	s_or_b32 exec_lo, exec_lo, s4
	v_add_nc_u32_e32 v0, s56, v203
	s_xor_b32 s4, vcc_lo, -1
	s_delay_alu instid0(VALU_DEP_1)
	v_cmp_le_i32_e64 s3, s24, v0
	s_wait_alu 0xfffe
	s_or_b32 s3, s3, s4
	s_wait_alu 0xfffe
	s_and_saveexec_b32 s5, s3
	s_wait_alu 0xfffe
	s_xor_b32 s3, exec_lo, s5
; %bb.20:                               ;   in Loop: Header=BB25_12 Depth=1
	v_add_nc_u32_e32 v0, v171, v202
	ds_store_2addr_b32 v0, v190, v190 offset0:136 offset1:168
                                        ; implicit-def: $vgpr0
; %bb.21:                               ;   in Loop: Header=BB25_12 Depth=1
	s_wait_alu 0xfffe
	s_and_not1_saveexec_b32 s3, s3
	s_cbranch_execz .LBB25_23
; %bb.22:                               ;   in Loop: Header=BB25_12 Depth=1
	v_mad_co_u64_u32 v[0:1], null, v0, s35, v[115:116]
	s_delay_alu instid0(VALU_DEP_1) | instskip(NEXT) | instid1(VALU_DEP_1)
	v_ashrrev_i32_e32 v1, 31, v0
	v_lshlrev_b64_e32 v[0:1], 3, v[0:1]
	s_delay_alu instid0(VALU_DEP_1) | instskip(SKIP_1) | instid1(VALU_DEP_2)
	v_add_co_u32 v0, vcc_lo, s92, v0
	s_wait_alu 0xfffd
	v_add_co_ci_u32_e64 v1, null, s93, v1, vcc_lo
	s_clause 0x1
	global_load_b64 v[2:3], v[0:1], off
	global_load_b64 v[0:1], v[0:1], off offset:256
	s_wait_loadcnt 0x1
	v_cvt_f16_f32_e32 v2, v2
	v_cvt_f16_f32_e32 v3, v3
	s_wait_loadcnt 0x0
	v_cvt_f16_f32_e32 v0, v0
	v_cvt_f16_f32_e32 v1, v1
	s_delay_alu instid0(VALU_DEP_3) | instskip(NEXT) | instid1(VALU_DEP_2)
	v_pack_b32_f16 v2, v2, v3
	v_pack_b32_f16 v0, v0, v1
	s_delay_alu instid0(VALU_DEP_2) | instskip(NEXT) | instid1(VALU_DEP_2)
	v_pk_mul_f16 v1, v2, s104
	v_pk_mul_f16 v0, v0, s104
	ds_store_2addr_b32 v204, v1, v0 offset1:32
.LBB25_23:                              ;   in Loop: Header=BB25_12 Depth=1
	s_wait_alu 0xfffe
	s_or_b32 exec_lo, exec_lo, s3
	v_add_nc_u32_e32 v0, s56, v205
	s_delay_alu instid0(VALU_DEP_1)
	v_cmp_le_i32_e32 vcc_lo, s24, v0
	s_or_b32 s3, vcc_lo, s4
	s_wait_alu 0xfffe
	s_and_saveexec_b32 s5, s3
	s_wait_alu 0xfffe
	s_xor_b32 s3, exec_lo, s5
; %bb.24:                               ;   in Loop: Header=BB25_12 Depth=1
	v_add_nc_u32_e32 v0, v171, v202
	s_delay_alu instid0(VALU_DEP_1)
	v_add_nc_u32_e32 v0, 0x400, v0
	ds_store_2addr_b32 v0, v190, v190 offset0:16 offset1:48
                                        ; implicit-def: $vgpr0
; %bb.25:                               ;   in Loop: Header=BB25_12 Depth=1
	s_wait_alu 0xfffe
	s_and_not1_saveexec_b32 s3, s3
	s_cbranch_execz .LBB25_27
; %bb.26:                               ;   in Loop: Header=BB25_12 Depth=1
	v_mad_co_u64_u32 v[0:1], null, v0, s35, v[115:116]
	s_delay_alu instid0(VALU_DEP_1) | instskip(NEXT) | instid1(VALU_DEP_1)
	v_ashrrev_i32_e32 v1, 31, v0
	v_lshlrev_b64_e32 v[0:1], 3, v[0:1]
	s_delay_alu instid0(VALU_DEP_1) | instskip(SKIP_1) | instid1(VALU_DEP_2)
	v_add_co_u32 v0, vcc_lo, s92, v0
	s_wait_alu 0xfffd
	v_add_co_ci_u32_e64 v1, null, s93, v1, vcc_lo
	s_clause 0x1
	global_load_b64 v[2:3], v[0:1], off
	global_load_b64 v[0:1], v[0:1], off offset:256
	s_wait_loadcnt 0x1
	v_cvt_f16_f32_e32 v2, v2
	v_cvt_f16_f32_e32 v3, v3
	s_wait_loadcnt 0x0
	v_cvt_f16_f32_e32 v0, v0
	v_cvt_f16_f32_e32 v1, v1
	s_delay_alu instid0(VALU_DEP_3) | instskip(NEXT) | instid1(VALU_DEP_2)
	v_pack_b32_f16 v2, v2, v3
	v_pack_b32_f16 v0, v0, v1
	s_delay_alu instid0(VALU_DEP_2) | instskip(NEXT) | instid1(VALU_DEP_2)
	v_pk_mul_f16 v1, v2, s104
	v_pk_mul_f16 v0, v0, s104
	ds_store_2addr_b32 v206, v1, v0 offset1:32
.LBB25_27:                              ;   in Loop: Header=BB25_12 Depth=1
	s_wait_alu 0xfffe
	s_or_b32 exec_lo, exec_lo, s3
	v_add_nc_u32_e32 v0, s56, v207
	s_delay_alu instid0(VALU_DEP_1)
	v_cmp_le_i32_e32 vcc_lo, s24, v0
	s_or_b32 s3, vcc_lo, s4
	s_wait_alu 0xfffe
	s_and_saveexec_b32 s5, s3
	s_wait_alu 0xfffe
	s_xor_b32 s3, exec_lo, s5
; %bb.28:                               ;   in Loop: Header=BB25_12 Depth=1
	v_add_nc_u32_e32 v0, v171, v202
	s_delay_alu instid0(VALU_DEP_1)
	;; [unrolled: 46-line block ×6, first 2 shown]
	v_add_nc_u32_e32 v0, 0xc00, v0
	ds_store_2addr_b32 v0, v190, v190 offset0:184 offset1:216
                                        ; implicit-def: $vgpr0
; %bb.45:                               ;   in Loop: Header=BB25_12 Depth=1
	s_wait_alu 0xfffe
	s_and_not1_saveexec_b32 s3, s3
	s_cbranch_execz .LBB25_47
; %bb.46:                               ;   in Loop: Header=BB25_12 Depth=1
	v_mad_co_u64_u32 v[0:1], null, v0, s35, v[115:116]
	s_delay_alu instid0(VALU_DEP_1) | instskip(NEXT) | instid1(VALU_DEP_1)
	v_ashrrev_i32_e32 v1, 31, v0
	v_lshlrev_b64_e32 v[0:1], 3, v[0:1]
	s_delay_alu instid0(VALU_DEP_1) | instskip(SKIP_1) | instid1(VALU_DEP_2)
	v_add_co_u32 v0, vcc_lo, s92, v0
	s_wait_alu 0xfffd
	v_add_co_ci_u32_e64 v1, null, s93, v1, vcc_lo
	s_clause 0x1
	global_load_b64 v[2:3], v[0:1], off
	global_load_b64 v[0:1], v[0:1], off offset:256
	s_wait_loadcnt 0x1
	v_cvt_f16_f32_e32 v2, v2
	v_cvt_f16_f32_e32 v3, v3
	s_wait_loadcnt 0x0
	v_cvt_f16_f32_e32 v0, v0
	v_cvt_f16_f32_e32 v1, v1
	s_delay_alu instid0(VALU_DEP_3) | instskip(NEXT) | instid1(VALU_DEP_2)
	v_pack_b32_f16 v2, v2, v3
	v_pack_b32_f16 v0, v0, v1
	s_delay_alu instid0(VALU_DEP_2) | instskip(NEXT) | instid1(VALU_DEP_2)
	v_pk_mul_f16 v1, v2, s104
	v_pk_mul_f16 v0, v0, s104
	ds_store_2addr_b32 v216, v1, v0 offset1:32
.LBB25_47:                              ;   in Loop: Header=BB25_12 Depth=1
	s_wait_alu 0xfffe
	s_or_b32 exec_lo, exec_lo, s3
	s_wait_storecnt_dscnt 0x0
	s_barrier_signal -1
	s_barrier_wait -1
	global_inv scope:SCOPE_SE
	ds_load_b128 v[68:71], v135
	ds_load_b128 v[64:67], v135 offset:32
	ds_load_b128 v[60:63], v135 offset:64
	;; [unrolled: 1-line block ×7, first 2 shown]
	v_add_nc_u32_e32 v0, s56, v133
	v_add_nc_u32_e32 v1, s56, v192
	s_add_co_i32 s6, s44, -1
	s_mov_b32 s3, -1
	s_wait_alu 0xfffe
	s_cmp_lt_i32 s42, s6
	v_mul_hi_u32 v3, s38, v0
	v_mul_hi_u32 v2, s38, v1
	s_wait_loadcnt_dscnt 0x0
	s_barrier_signal -1
	s_barrier_wait -1
	global_inv scope:SCOPE_SE
                                        ; implicit-def: $vgpr119_vgpr120
                                        ; implicit-def: $vgpr117_vgpr118
	s_cbranch_scc1 .LBB25_49
; %bb.48:                               ;   in Loop: Header=BB25_12 Depth=1
	v_add_nc_u32_e32 v4, v0, v3
	v_add_nc_u32_e32 v5, v1, v2
	s_mov_b32 s3, 0
	s_delay_alu instid0(VALU_DEP_2) | instskip(NEXT) | instid1(VALU_DEP_2)
	v_lshrrev_b32_e32 v4, s39, v4
	v_lshrrev_b32_e32 v5, s39, v5
	s_delay_alu instid0(VALU_DEP_2) | instskip(NEXT) | instid1(VALU_DEP_2)
	v_mul_lo_u32 v4, v4, s24
	v_mul_lo_u32 v5, v5, s24
	s_delay_alu instid0(VALU_DEP_2) | instskip(NEXT) | instid1(VALU_DEP_2)
	v_sub_nc_u32_e32 v4, v0, v4
	v_sub_nc_u32_e32 v5, v1, v5
	s_delay_alu instid0(VALU_DEP_2) | instskip(NEXT) | instid1(VALU_DEP_2)
	v_mad_co_i64_i32 v[119:120], null, v4, s40, 0
	v_mad_co_i64_i32 v[117:118], null, v5, s40, 0
.LBB25_49:                              ;   in Loop: Header=BB25_12 Depth=1
	s_wait_alu 0xfffe
	s_and_not1_b32 vcc_lo, exec_lo, s3
	s_wait_alu 0xfffe
	s_cbranch_vccnz .LBB25_86
; %bb.50:                               ;   in Loop: Header=BB25_12 Depth=1
	v_dual_mov_b32 v8, 0 :: v_dual_add_nc_u32 v3, v0, v3
	v_dual_mov_b32 v109, 0 :: v_dual_add_nc_u32 v2, v1, v2
	v_xor_b32_e32 v4, 16, v124
	s_delay_alu instid0(VALU_DEP_3) | instskip(SKIP_1) | instid1(VALU_DEP_4)
	v_lshrrev_b32_e32 v3, s39, v3
	v_mov_b32_e32 v12, 0
	v_lshrrev_b32_e32 v2, s39, v2
	v_mov_b32_e32 v13, v109
	v_cmp_gt_i32_e32 vcc_lo, 32, v4
	v_mul_lo_u32 v3, v3, s24
	v_lshlrev_b32_e32 v5, 1, v134
	v_mul_lo_u32 v2, v2, s24
	v_dual_mov_b32 v14, v109 :: v_dual_mov_b32 v15, v109
	s_wait_alu 0xfffd
	v_cndmask_b32_e32 v4, v124, v4, vcc_lo
	v_add_co_u32 v111, s3, s80, v5
	v_sub_nc_u32_e32 v0, v0, v3
	s_delay_alu instid0(VALU_DEP_3) | instskip(SKIP_2) | instid1(VALU_DEP_4)
	v_dual_mov_b32 v9, v8 :: v_dual_lshlrev_b32 v110, 2, v4
	v_sub_nc_u32_e32 v1, v1, v2
	v_dual_mov_b32 v10, v8 :: v_dual_mov_b32 v11, v8
	v_mad_co_i64_i32 v[119:120], null, v0, s40, 0
	s_delay_alu instid0(VALU_DEP_3)
	v_mad_co_i64_i32 v[117:118], null, v1, s40, 0
	v_dual_mov_b32 v16, 0 :: v_dual_mov_b32 v17, v109
	v_dual_mov_b32 v18, v109 :: v_dual_mov_b32 v19, v109
	;; [unrolled: 1-line block ×12, first 2 shown]
	v_mov_b32_e32 v113, 0xfeffffff
	s_wait_alu 0xf1ff
	v_add_co_ci_u32_e64 v112, null, s81, 0, s3
	s_lshl_b32 s94, s42, 5
.LBB25_51:                              ;   Parent Loop BB25_12 Depth=1
                                        ; =>  This Inner Loop Header: Depth=2
	s_wait_alu 0xfffe
	s_ashr_i32 s95, s94, 31
	v_lshlrev_b64_e32 v[0:1], 1, v[119:120]
	s_wait_alu 0xfffe
	s_lshl_b64 s[4:5], s[94:95], 1
	v_lshlrev_b64_e32 v[2:3], 1, v[117:118]
	s_wait_alu 0xfffe
	v_add_co_u32 v4, vcc_lo, v111, s4
	s_wait_alu 0xfffd
	v_add_co_ci_u32_e64 v5, null, s5, v112, vcc_lo
	s_mul_u64 s[4:5], s[94:95], s[36:37]
	v_add_co_u32 v0, vcc_lo, v4, v0
	s_wait_alu 0xfffd
	v_add_co_ci_u32_e64 v1, null, v5, v1, vcc_lo
	v_add_co_u32 v2, vcc_lo, v4, v2
	s_wait_alu 0xfffd
	v_add_co_ci_u32_e64 v3, null, v5, v3, vcc_lo
	s_clause 0x1
	global_load_b32 v0, v[0:1], off
	global_load_b32 v1, v[2:3], off
	v_add_nc_u32_e32 v2, v193, v191
	s_wait_alu 0xfffe
	s_lshl_b64 s[4:5], s[4:5], 2
                                        ; implicit-def: $vgpr114
	s_wait_alu 0xfffe
	s_add_nc_u64 s[4:5], s[78:79], s[4:5]
	v_add_nc_u32_e32 v2, 0x2000, v2
	s_wait_loadcnt 0x0
	ds_store_2addr_b32 v2, v0, v1 offset0:128 offset1:208
	s_wait_alu 0xfffe
	v_add_co_u32 v0, vcc_lo, s4, v91
	s_wait_alu 0xfffd
	v_add_co_ci_u32_e64 v1, null, s5, v92, vcc_lo
	s_delay_alu instid0(VALU_DEP_2) | instskip(SKIP_1) | instid1(VALU_DEP_2)
	v_add_co_u32 v0, vcc_lo, v0, v189
	s_wait_alu 0xfffd
	v_add_co_ci_u32_e64 v1, null, 0, v1, vcc_lo
	v_add_co_u32 v2, vcc_lo, s4, v93
	s_wait_alu 0xfffd
	v_add_co_ci_u32_e64 v3, null, s5, v94, vcc_lo
	s_delay_alu instid0(VALU_DEP_2) | instskip(SKIP_1) | instid1(VALU_DEP_2)
	v_add_co_u32 v4, vcc_lo, v2, v189
	s_wait_alu 0xfffd
	v_add_co_ci_u32_e64 v5, null, 0, v3, vcc_lo
	s_clause 0x1
	global_load_b128 v[0:3], v[0:1], off
	global_load_b128 v[4:7], v[4:5], off
	s_wait_loadcnt 0x1
	ds_store_b128 v136, v[0:3]
	s_wait_loadcnt 0x0
	ds_store_b128 v194, v[4:7]
	v_add_co_u32 v0, vcc_lo, s4, v95
	s_wait_alu 0xfffd
	v_add_co_ci_u32_e64 v1, null, s5, v96, vcc_lo
	s_delay_alu instid0(VALU_DEP_2) | instskip(SKIP_1) | instid1(VALU_DEP_2)
	v_add_co_u32 v0, vcc_lo, v0, v189
	s_wait_alu 0xfffd
	v_add_co_ci_u32_e64 v1, null, 0, v1, vcc_lo
	v_add_co_u32 v2, vcc_lo, s4, v97
	s_wait_alu 0xfffd
	v_add_co_ci_u32_e64 v3, null, s5, v98, vcc_lo
	s_delay_alu instid0(VALU_DEP_2) | instskip(SKIP_1) | instid1(VALU_DEP_2)
	v_add_co_u32 v4, vcc_lo, v2, v189
	s_wait_alu 0xfffd
	v_add_co_ci_u32_e64 v5, null, 0, v3, vcc_lo
	s_clause 0x1
	global_load_b128 v[0:3], v[0:1], off
	global_load_b128 v[4:7], v[4:5], off
	s_wait_loadcnt 0x1
	ds_store_b128 v195, v[0:3]
	s_wait_loadcnt 0x0
	ds_store_b128 v196, v[4:7]
	;; [unrolled: 21-line block ×4, first 2 shown]
	s_wait_dscnt 0x0
	s_barrier_signal -1
	s_barrier_wait -1
	global_inv scope:SCOPE_SE
	ds_load_b128 v[125:128], v137
	ds_load_b128 v[129:132], v137 offset:32
	s_wait_dscnt 0x1
	v_wmma_f32_16x16x16_f16 v[0:7], v[125:128], v[68:71], 0
	s_wait_dscnt 0x0
	s_delay_alu instid0(VALU_DEP_1)
	v_wmma_f32_16x16x16_f16 v[0:7], v[129:132], v[64:67], v[0:7]
	ds_load_b128 v[125:128], v137 offset:64
	ds_load_b128 v[129:132], v137 offset:96
	s_wait_dscnt 0x1
	v_wmma_f32_16x16x16_f16 v[0:7], v[125:128], v[60:63], v[0:7]
	s_wait_dscnt 0x0
	s_delay_alu instid0(VALU_DEP_1)
	v_wmma_f32_16x16x16_f16 v[0:7], v[129:132], v[56:59], v[0:7]
	ds_load_b128 v[125:128], v137 offset:128
	;; [unrolled: 7-line block ×3, first 2 shown]
	ds_load_b128 v[129:132], v137 offset:224
	s_wait_loadcnt_dscnt 0x0
	s_barrier_signal -1
	s_barrier_wait -1
	global_inv scope:SCOPE_SE
	v_wmma_f32_16x16x16_f16 v[0:7], v[125:128], v[44:47], v[0:7]
	s_delay_alu instid0(VALU_DEP_1) | instskip(NEXT) | instid1(VALU_DEP_1)
	v_wmma_f32_16x16x16_f16 v[0:7], v[129:132], v[40:43], v[0:7]
	v_cmp_ngt_f32_e64 s3, 0x3f200000, |v0|
	s_and_saveexec_b32 s4, s3
	s_wait_alu 0xfffe
	s_xor_b32 s3, exec_lo, s4
	s_cbranch_execz .LBB25_53
; %bb.52:                               ;   in Loop: Header=BB25_51 Depth=2
	v_add_f32_e64 v73, |v0|, |v0|
	s_delay_alu instid0(VALU_DEP_1) | instskip(SKIP_1) | instid1(VALU_DEP_2)
	v_mul_f32_e32 v74, 0x3fb8aa3b, v73
	v_cmp_ngt_f32_e32 vcc_lo, 0xc2ce8ed0, v73
	v_rndne_f32_e32 v108, v74
	v_fma_f32 v114, 0x3fb8aa3b, v73, -v74
	s_delay_alu instid0(VALU_DEP_2) | instskip(NEXT) | instid1(VALU_DEP_2)
	v_sub_f32_e32 v74, v74, v108
	v_fmac_f32_e32 v114, 0x32a5705f, v73
	v_cvt_i32_f32_e32 v108, v108
	s_delay_alu instid0(VALU_DEP_2) | instskip(NEXT) | instid1(VALU_DEP_1)
	v_add_f32_e32 v74, v74, v114
	v_exp_f32_e32 v74, v74
	s_delay_alu instid0(TRANS32_DEP_1) | instskip(SKIP_1) | instid1(VALU_DEP_1)
	v_ldexp_f32 v74, v74, v108
	s_wait_alu 0xfffd
	v_cndmask_b32_e32 v74, 0, v74, vcc_lo
	v_cmp_nlt_f32_e32 vcc_lo, 0x42b17218, v73
	s_wait_alu 0xfffd
	s_delay_alu instid0(VALU_DEP_2) | instskip(NEXT) | instid1(VALU_DEP_1)
	v_cndmask_b32_e32 v73, 0x7f800000, v74, vcc_lo
	v_add_f32_e32 v73, 1.0, v73
	s_delay_alu instid0(VALU_DEP_1) | instskip(NEXT) | instid1(TRANS32_DEP_1)
	v_rcp_f32_e32 v73, v73
	v_fma_f32 v114, v73, -2.0, 1.0
.LBB25_53:                              ;   in Loop: Header=BB25_51 Depth=2
	s_wait_alu 0xfffe
	s_and_not1_saveexec_b32 s3, s3
	s_cbranch_execz .LBB25_55
; %bb.54:                               ;   in Loop: Header=BB25_51 Depth=2
	v_mul_f32_e32 v73, v0, v0
	s_delay_alu instid0(VALU_DEP_1) | instskip(NEXT) | instid1(VALU_DEP_1)
	v_fmaak_f32 v74, s41, v73, 0x3ca908c9
	v_fmaak_f32 v74, v73, v74, 0xbd5c1c4e
	s_delay_alu instid0(VALU_DEP_1) | instskip(NEXT) | instid1(VALU_DEP_1)
	v_fmaak_f32 v74, v73, v74, 0x3e088382
	v_fmaak_f32 v74, v73, v74, 0xbeaaaa99
	s_delay_alu instid0(VALU_DEP_1) | instskip(NEXT) | instid1(VALU_DEP_1)
	v_mul_f32_e64 v74, |v0|, v74
	v_fma_f32 v114, v73, v74, |v0|
.LBB25_55:                              ;   in Loop: Header=BB25_51 Depth=2
	s_wait_alu 0xfffe
	s_or_b32 exec_lo, exec_lo, s3
	v_cmp_ngt_f32_e64 s3, 0x3f200000, |v1|
                                        ; implicit-def: $vgpr153
	s_and_saveexec_b32 s4, s3
	s_wait_alu 0xfffe
	s_xor_b32 s3, exec_lo, s4
	s_cbranch_execz .LBB25_57
; %bb.56:                               ;   in Loop: Header=BB25_51 Depth=2
	v_add_f32_e64 v73, |v1|, |v1|
	s_delay_alu instid0(VALU_DEP_1) | instskip(SKIP_1) | instid1(VALU_DEP_2)
	v_mul_f32_e32 v74, 0x3fb8aa3b, v73
	v_cmp_ngt_f32_e32 vcc_lo, 0xc2ce8ed0, v73
	v_rndne_f32_e32 v108, v74
	v_fma_f32 v122, 0x3fb8aa3b, v73, -v74
	s_delay_alu instid0(VALU_DEP_2) | instskip(NEXT) | instid1(VALU_DEP_2)
	v_sub_f32_e32 v74, v74, v108
	v_fmac_f32_e32 v122, 0x32a5705f, v73
	v_cvt_i32_f32_e32 v108, v108
	s_delay_alu instid0(VALU_DEP_2) | instskip(NEXT) | instid1(VALU_DEP_1)
	v_add_f32_e32 v74, v74, v122
	v_exp_f32_e32 v74, v74
	s_delay_alu instid0(TRANS32_DEP_1) | instskip(SKIP_1) | instid1(VALU_DEP_1)
	v_ldexp_f32 v74, v74, v108
	s_wait_alu 0xfffd
	v_cndmask_b32_e32 v74, 0, v74, vcc_lo
	v_cmp_nlt_f32_e32 vcc_lo, 0x42b17218, v73
	s_wait_alu 0xfffd
	s_delay_alu instid0(VALU_DEP_2) | instskip(NEXT) | instid1(VALU_DEP_1)
	v_cndmask_b32_e32 v73, 0x7f800000, v74, vcc_lo
	v_add_f32_e32 v73, 1.0, v73
	s_delay_alu instid0(VALU_DEP_1) | instskip(NEXT) | instid1(TRANS32_DEP_1)
	v_rcp_f32_e32 v73, v73
	v_fma_f32 v153, v73, -2.0, 1.0
.LBB25_57:                              ;   in Loop: Header=BB25_51 Depth=2
	s_wait_alu 0xfffe
	s_and_not1_saveexec_b32 s3, s3
	s_cbranch_execz .LBB25_59
; %bb.58:                               ;   in Loop: Header=BB25_51 Depth=2
	v_mul_f32_e32 v73, v1, v1
	s_delay_alu instid0(VALU_DEP_1) | instskip(NEXT) | instid1(VALU_DEP_1)
	v_fmaak_f32 v74, s41, v73, 0x3ca908c9
	v_fmaak_f32 v74, v73, v74, 0xbd5c1c4e
	s_delay_alu instid0(VALU_DEP_1) | instskip(NEXT) | instid1(VALU_DEP_1)
	v_fmaak_f32 v74, v73, v74, 0x3e088382
	v_fmaak_f32 v74, v73, v74, 0xbeaaaa99
	s_delay_alu instid0(VALU_DEP_1) | instskip(NEXT) | instid1(VALU_DEP_1)
	v_mul_f32_e64 v74, |v1|, v74
	v_fma_f32 v153, v73, v74, |v1|
.LBB25_59:                              ;   in Loop: Header=BB25_51 Depth=2
	s_wait_alu 0xfffe
	s_or_b32 exec_lo, exec_lo, s3
	v_cmp_ngt_f32_e64 s3, 0x3f200000, |v2|
                                        ; implicit-def: $vgpr152
	s_and_saveexec_b32 s4, s3
	s_wait_alu 0xfffe
	s_xor_b32 s3, exec_lo, s4
	s_cbranch_execz .LBB25_61
; %bb.60:                               ;   in Loop: Header=BB25_51 Depth=2
	v_add_f32_e64 v73, |v2|, |v2|
	s_delay_alu instid0(VALU_DEP_1) | instskip(SKIP_1) | instid1(VALU_DEP_2)
	v_mul_f32_e32 v74, 0x3fb8aa3b, v73
	v_cmp_ngt_f32_e32 vcc_lo, 0xc2ce8ed0, v73
	v_rndne_f32_e32 v108, v74
	v_fma_f32 v122, 0x3fb8aa3b, v73, -v74
	s_delay_alu instid0(VALU_DEP_2) | instskip(NEXT) | instid1(VALU_DEP_2)
	v_sub_f32_e32 v74, v74, v108
	v_fmac_f32_e32 v122, 0x32a5705f, v73
	v_cvt_i32_f32_e32 v108, v108
	s_delay_alu instid0(VALU_DEP_2) | instskip(NEXT) | instid1(VALU_DEP_1)
	v_add_f32_e32 v74, v74, v122
	v_exp_f32_e32 v74, v74
	s_delay_alu instid0(TRANS32_DEP_1) | instskip(SKIP_1) | instid1(VALU_DEP_1)
	v_ldexp_f32 v74, v74, v108
	s_wait_alu 0xfffd
	v_cndmask_b32_e32 v74, 0, v74, vcc_lo
	v_cmp_nlt_f32_e32 vcc_lo, 0x42b17218, v73
	s_wait_alu 0xfffd
	s_delay_alu instid0(VALU_DEP_2) | instskip(NEXT) | instid1(VALU_DEP_1)
	v_cndmask_b32_e32 v73, 0x7f800000, v74, vcc_lo
	v_add_f32_e32 v73, 1.0, v73
	s_delay_alu instid0(VALU_DEP_1) | instskip(NEXT) | instid1(TRANS32_DEP_1)
	v_rcp_f32_e32 v73, v73
	v_fma_f32 v152, v73, -2.0, 1.0
.LBB25_61:                              ;   in Loop: Header=BB25_51 Depth=2
	s_wait_alu 0xfffe
	s_and_not1_saveexec_b32 s3, s3
	s_cbranch_execz .LBB25_63
; %bb.62:                               ;   in Loop: Header=BB25_51 Depth=2
	v_mul_f32_e32 v73, v2, v2
	s_delay_alu instid0(VALU_DEP_1) | instskip(NEXT) | instid1(VALU_DEP_1)
	v_fmaak_f32 v74, s41, v73, 0x3ca908c9
	v_fmaak_f32 v74, v73, v74, 0xbd5c1c4e
	s_delay_alu instid0(VALU_DEP_1) | instskip(NEXT) | instid1(VALU_DEP_1)
	v_fmaak_f32 v74, v73, v74, 0x3e088382
	v_fmaak_f32 v74, v73, v74, 0xbeaaaa99
	s_delay_alu instid0(VALU_DEP_1) | instskip(NEXT) | instid1(VALU_DEP_1)
	v_mul_f32_e64 v74, |v2|, v74
	v_fma_f32 v152, v73, v74, |v2|
.LBB25_63:                              ;   in Loop: Header=BB25_51 Depth=2
	s_wait_alu 0xfffe
	s_or_b32 exec_lo, exec_lo, s3
	v_cmp_ngt_f32_e64 s3, 0x3f200000, |v3|
                                        ; implicit-def: $vgpr122
	s_and_saveexec_b32 s4, s3
	s_wait_alu 0xfffe
	s_xor_b32 s3, exec_lo, s4
	s_cbranch_execz .LBB25_65
; %bb.64:                               ;   in Loop: Header=BB25_51 Depth=2
	v_add_f32_e64 v73, |v3|, |v3|
	s_delay_alu instid0(VALU_DEP_1) | instskip(SKIP_1) | instid1(VALU_DEP_2)
	v_mul_f32_e32 v74, 0x3fb8aa3b, v73
	v_cmp_ngt_f32_e32 vcc_lo, 0xc2ce8ed0, v73
	v_rndne_f32_e32 v108, v74
	v_fma_f32 v122, 0x3fb8aa3b, v73, -v74
	s_delay_alu instid0(VALU_DEP_2) | instskip(NEXT) | instid1(VALU_DEP_2)
	v_sub_f32_e32 v74, v74, v108
	v_fmac_f32_e32 v122, 0x32a5705f, v73
	v_cvt_i32_f32_e32 v108, v108
	s_delay_alu instid0(VALU_DEP_2) | instskip(NEXT) | instid1(VALU_DEP_1)
	v_add_f32_e32 v74, v74, v122
	v_exp_f32_e32 v74, v74
	s_delay_alu instid0(TRANS32_DEP_1) | instskip(SKIP_1) | instid1(VALU_DEP_1)
	v_ldexp_f32 v74, v74, v108
	s_wait_alu 0xfffd
	v_cndmask_b32_e32 v74, 0, v74, vcc_lo
	v_cmp_nlt_f32_e32 vcc_lo, 0x42b17218, v73
	s_wait_alu 0xfffd
	s_delay_alu instid0(VALU_DEP_2) | instskip(NEXT) | instid1(VALU_DEP_1)
	v_cndmask_b32_e32 v73, 0x7f800000, v74, vcc_lo
	v_add_f32_e32 v73, 1.0, v73
	s_delay_alu instid0(VALU_DEP_1) | instskip(NEXT) | instid1(TRANS32_DEP_1)
	v_rcp_f32_e32 v73, v73
	v_fma_f32 v122, v73, -2.0, 1.0
.LBB25_65:                              ;   in Loop: Header=BB25_51 Depth=2
	s_wait_alu 0xfffe
	s_and_not1_saveexec_b32 s3, s3
	s_cbranch_execz .LBB25_67
; %bb.66:                               ;   in Loop: Header=BB25_51 Depth=2
	v_mul_f32_e32 v73, v3, v3
	s_delay_alu instid0(VALU_DEP_1) | instskip(NEXT) | instid1(VALU_DEP_1)
	v_fmaak_f32 v74, s41, v73, 0x3ca908c9
	v_fmaak_f32 v74, v73, v74, 0xbd5c1c4e
	s_delay_alu instid0(VALU_DEP_1) | instskip(NEXT) | instid1(VALU_DEP_1)
	v_fmaak_f32 v74, v73, v74, 0x3e088382
	v_fmaak_f32 v74, v73, v74, 0xbeaaaa99
	s_delay_alu instid0(VALU_DEP_1) | instskip(NEXT) | instid1(VALU_DEP_1)
	v_mul_f32_e64 v74, |v3|, v74
	v_fma_f32 v122, v73, v74, |v3|
.LBB25_67:                              ;   in Loop: Header=BB25_51 Depth=2
	s_wait_alu 0xfffe
	s_or_b32 exec_lo, exec_lo, s3
	v_cmp_ngt_f32_e64 s3, 0x3f200000, |v4|
                                        ; implicit-def: $vgpr108
	s_and_saveexec_b32 s4, s3
	s_wait_alu 0xfffe
	s_xor_b32 s3, exec_lo, s4
	s_cbranch_execz .LBB25_69
; %bb.68:                               ;   in Loop: Header=BB25_51 Depth=2
	v_add_f32_e64 v73, |v4|, |v4|
	s_delay_alu instid0(VALU_DEP_1) | instskip(SKIP_1) | instid1(VALU_DEP_2)
	v_mul_f32_e32 v74, 0x3fb8aa3b, v73
	v_cmp_ngt_f32_e32 vcc_lo, 0xc2ce8ed0, v73
	v_rndne_f32_e32 v108, v74
	v_fma_f32 v125, 0x3fb8aa3b, v73, -v74
	s_delay_alu instid0(VALU_DEP_1) | instskip(SKIP_1) | instid1(VALU_DEP_2)
	v_dual_sub_f32 v74, v74, v108 :: v_dual_fmac_f32 v125, 0x32a5705f, v73
	v_cvt_i32_f32_e32 v108, v108
	v_add_f32_e32 v74, v74, v125
	s_delay_alu instid0(VALU_DEP_1) | instskip(NEXT) | instid1(TRANS32_DEP_1)
	v_exp_f32_e32 v74, v74
	v_ldexp_f32 v74, v74, v108
	s_wait_alu 0xfffd
	s_delay_alu instid0(VALU_DEP_1) | instskip(SKIP_2) | instid1(VALU_DEP_2)
	v_cndmask_b32_e32 v74, 0, v74, vcc_lo
	v_cmp_nlt_f32_e32 vcc_lo, 0x42b17218, v73
	s_wait_alu 0xfffd
	v_cndmask_b32_e32 v73, 0x7f800000, v74, vcc_lo
	s_delay_alu instid0(VALU_DEP_1) | instskip(NEXT) | instid1(VALU_DEP_1)
	v_add_f32_e32 v73, 1.0, v73
	v_rcp_f32_e32 v73, v73
	s_delay_alu instid0(TRANS32_DEP_1)
	v_fma_f32 v108, v73, -2.0, 1.0
.LBB25_69:                              ;   in Loop: Header=BB25_51 Depth=2
	s_wait_alu 0xfffe
	s_and_not1_saveexec_b32 s3, s3
	s_cbranch_execz .LBB25_71
; %bb.70:                               ;   in Loop: Header=BB25_51 Depth=2
	v_mul_f32_e32 v73, v4, v4
	s_delay_alu instid0(VALU_DEP_1) | instskip(NEXT) | instid1(VALU_DEP_1)
	v_fmaak_f32 v74, s41, v73, 0x3ca908c9
	v_fmaak_f32 v74, v73, v74, 0xbd5c1c4e
	s_delay_alu instid0(VALU_DEP_1) | instskip(NEXT) | instid1(VALU_DEP_1)
	v_fmaak_f32 v74, v73, v74, 0x3e088382
	v_fmaak_f32 v74, v73, v74, 0xbeaaaa99
	s_delay_alu instid0(VALU_DEP_1) | instskip(NEXT) | instid1(VALU_DEP_1)
	v_mul_f32_e64 v74, |v4|, v74
	v_fma_f32 v108, v73, v74, |v4|
.LBB25_71:                              ;   in Loop: Header=BB25_51 Depth=2
	s_wait_alu 0xfffe
	s_or_b32 exec_lo, exec_lo, s3
	v_cmp_ngt_f32_e64 s3, 0x3f200000, |v5|
                                        ; implicit-def: $vgpr125
	s_and_saveexec_b32 s4, s3
	s_wait_alu 0xfffe
	s_xor_b32 s3, exec_lo, s4
	s_cbranch_execz .LBB25_73
; %bb.72:                               ;   in Loop: Header=BB25_51 Depth=2
	v_add_f32_e64 v73, |v5|, |v5|
	s_delay_alu instid0(VALU_DEP_1) | instskip(SKIP_1) | instid1(VALU_DEP_2)
	v_mul_f32_e32 v74, 0x3fb8aa3b, v73
	v_cmp_ngt_f32_e32 vcc_lo, 0xc2ce8ed0, v73
	v_rndne_f32_e32 v125, v74
	v_fma_f32 v126, 0x3fb8aa3b, v73, -v74
	s_delay_alu instid0(VALU_DEP_2) | instskip(NEXT) | instid1(VALU_DEP_2)
	v_sub_f32_e32 v74, v74, v125
	v_fmac_f32_e32 v126, 0x32a5705f, v73
	v_cvt_i32_f32_e32 v125, v125
	s_delay_alu instid0(VALU_DEP_2) | instskip(NEXT) | instid1(VALU_DEP_1)
	v_add_f32_e32 v74, v74, v126
	v_exp_f32_e32 v74, v74
	s_delay_alu instid0(TRANS32_DEP_1) | instskip(SKIP_1) | instid1(VALU_DEP_1)
	v_ldexp_f32 v74, v74, v125
	s_wait_alu 0xfffd
	v_cndmask_b32_e32 v74, 0, v74, vcc_lo
	v_cmp_nlt_f32_e32 vcc_lo, 0x42b17218, v73
	s_wait_alu 0xfffd
	s_delay_alu instid0(VALU_DEP_2) | instskip(NEXT) | instid1(VALU_DEP_1)
	v_cndmask_b32_e32 v73, 0x7f800000, v74, vcc_lo
	v_add_f32_e32 v73, 1.0, v73
	s_delay_alu instid0(VALU_DEP_1) | instskip(NEXT) | instid1(TRANS32_DEP_1)
	v_rcp_f32_e32 v73, v73
	v_fma_f32 v125, v73, -2.0, 1.0
.LBB25_73:                              ;   in Loop: Header=BB25_51 Depth=2
	s_wait_alu 0xfffe
	s_and_not1_saveexec_b32 s3, s3
	s_cbranch_execz .LBB25_75
; %bb.74:                               ;   in Loop: Header=BB25_51 Depth=2
	v_mul_f32_e32 v73, v5, v5
	s_delay_alu instid0(VALU_DEP_1) | instskip(NEXT) | instid1(VALU_DEP_1)
	v_fmaak_f32 v74, s41, v73, 0x3ca908c9
	v_fmaak_f32 v74, v73, v74, 0xbd5c1c4e
	s_delay_alu instid0(VALU_DEP_1) | instskip(NEXT) | instid1(VALU_DEP_1)
	v_fmaak_f32 v74, v73, v74, 0x3e088382
	v_fmaak_f32 v74, v73, v74, 0xbeaaaa99
	s_delay_alu instid0(VALU_DEP_1) | instskip(NEXT) | instid1(VALU_DEP_1)
	v_mul_f32_e64 v74, |v5|, v74
	v_fma_f32 v125, v73, v74, |v5|
.LBB25_75:                              ;   in Loop: Header=BB25_51 Depth=2
	s_wait_alu 0xfffe
	s_or_b32 exec_lo, exec_lo, s3
	v_cmp_ngt_f32_e64 s3, 0x3f200000, |v6|
                                        ; implicit-def: $vgpr126
	s_and_saveexec_b32 s4, s3
	s_wait_alu 0xfffe
	s_xor_b32 s3, exec_lo, s4
	s_cbranch_execz .LBB25_77
; %bb.76:                               ;   in Loop: Header=BB25_51 Depth=2
	v_add_f32_e64 v73, |v6|, |v6|
	s_delay_alu instid0(VALU_DEP_1) | instskip(SKIP_1) | instid1(VALU_DEP_2)
	v_mul_f32_e32 v74, 0x3fb8aa3b, v73
	v_cmp_ngt_f32_e32 vcc_lo, 0xc2ce8ed0, v73
	v_rndne_f32_e32 v126, v74
	v_fma_f32 v127, 0x3fb8aa3b, v73, -v74
	s_delay_alu instid0(VALU_DEP_1) | instskip(SKIP_1) | instid1(VALU_DEP_2)
	v_dual_sub_f32 v74, v74, v126 :: v_dual_fmac_f32 v127, 0x32a5705f, v73
	v_cvt_i32_f32_e32 v126, v126
	v_add_f32_e32 v74, v74, v127
	s_delay_alu instid0(VALU_DEP_1) | instskip(NEXT) | instid1(TRANS32_DEP_1)
	v_exp_f32_e32 v74, v74
	v_ldexp_f32 v74, v74, v126
	s_wait_alu 0xfffd
	s_delay_alu instid0(VALU_DEP_1) | instskip(SKIP_2) | instid1(VALU_DEP_2)
	v_cndmask_b32_e32 v74, 0, v74, vcc_lo
	v_cmp_nlt_f32_e32 vcc_lo, 0x42b17218, v73
	s_wait_alu 0xfffd
	v_cndmask_b32_e32 v73, 0x7f800000, v74, vcc_lo
	s_delay_alu instid0(VALU_DEP_1) | instskip(NEXT) | instid1(VALU_DEP_1)
	v_add_f32_e32 v73, 1.0, v73
	v_rcp_f32_e32 v73, v73
	s_delay_alu instid0(TRANS32_DEP_1)
	v_fma_f32 v126, v73, -2.0, 1.0
.LBB25_77:                              ;   in Loop: Header=BB25_51 Depth=2
	s_wait_alu 0xfffe
	s_and_not1_saveexec_b32 s3, s3
	s_cbranch_execz .LBB25_79
; %bb.78:                               ;   in Loop: Header=BB25_51 Depth=2
	v_mul_f32_e32 v73, v6, v6
	s_delay_alu instid0(VALU_DEP_1) | instskip(NEXT) | instid1(VALU_DEP_1)
	v_fmaak_f32 v74, s41, v73, 0x3ca908c9
	v_fmaak_f32 v74, v73, v74, 0xbd5c1c4e
	s_delay_alu instid0(VALU_DEP_1) | instskip(NEXT) | instid1(VALU_DEP_1)
	v_fmaak_f32 v74, v73, v74, 0x3e088382
	v_fmaak_f32 v74, v73, v74, 0xbeaaaa99
	s_delay_alu instid0(VALU_DEP_1) | instskip(NEXT) | instid1(VALU_DEP_1)
	v_mul_f32_e64 v74, |v6|, v74
	v_fma_f32 v126, v73, v74, |v6|
.LBB25_79:                              ;   in Loop: Header=BB25_51 Depth=2
	s_wait_alu 0xfffe
	s_or_b32 exec_lo, exec_lo, s3
	v_cmp_ngt_f32_e64 s3, 0x3f200000, |v7|
                                        ; implicit-def: $vgpr127
	s_and_saveexec_b32 s4, s3
	s_wait_alu 0xfffe
	s_xor_b32 s3, exec_lo, s4
	s_cbranch_execz .LBB25_81
; %bb.80:                               ;   in Loop: Header=BB25_51 Depth=2
	v_add_f32_e64 v73, |v7|, |v7|
	s_delay_alu instid0(VALU_DEP_1) | instskip(SKIP_1) | instid1(VALU_DEP_2)
	v_mul_f32_e32 v74, 0x3fb8aa3b, v73
	v_cmp_ngt_f32_e32 vcc_lo, 0xc2ce8ed0, v73
	v_rndne_f32_e32 v127, v74
	v_fma_f32 v128, 0x3fb8aa3b, v73, -v74
	s_delay_alu instid0(VALU_DEP_2) | instskip(NEXT) | instid1(VALU_DEP_2)
	v_sub_f32_e32 v74, v74, v127
	v_fmac_f32_e32 v128, 0x32a5705f, v73
	v_cvt_i32_f32_e32 v127, v127
	s_delay_alu instid0(VALU_DEP_2) | instskip(NEXT) | instid1(VALU_DEP_1)
	v_add_f32_e32 v74, v74, v128
	v_exp_f32_e32 v74, v74
	s_delay_alu instid0(TRANS32_DEP_1) | instskip(SKIP_1) | instid1(VALU_DEP_1)
	v_ldexp_f32 v74, v74, v127
	s_wait_alu 0xfffd
	v_cndmask_b32_e32 v74, 0, v74, vcc_lo
	v_cmp_nlt_f32_e32 vcc_lo, 0x42b17218, v73
	s_wait_alu 0xfffd
	s_delay_alu instid0(VALU_DEP_2) | instskip(NEXT) | instid1(VALU_DEP_1)
	v_cndmask_b32_e32 v73, 0x7f800000, v74, vcc_lo
	v_add_f32_e32 v73, 1.0, v73
	s_delay_alu instid0(VALU_DEP_1) | instskip(NEXT) | instid1(TRANS32_DEP_1)
	v_rcp_f32_e32 v73, v73
	v_fma_f32 v127, v73, -2.0, 1.0
.LBB25_81:                              ;   in Loop: Header=BB25_51 Depth=2
	s_wait_alu 0xfffe
	s_and_not1_saveexec_b32 s3, s3
	s_cbranch_execz .LBB25_83
; %bb.82:                               ;   in Loop: Header=BB25_51 Depth=2
	v_mul_f32_e32 v73, v7, v7
	s_delay_alu instid0(VALU_DEP_1) | instskip(NEXT) | instid1(VALU_DEP_1)
	v_fmaak_f32 v74, s41, v73, 0x3ca908c9
	v_fmaak_f32 v74, v73, v74, 0xbd5c1c4e
	s_delay_alu instid0(VALU_DEP_1) | instskip(NEXT) | instid1(VALU_DEP_1)
	v_fmaak_f32 v74, v73, v74, 0x3e088382
	v_fmaak_f32 v74, v73, v74, 0xbeaaaa99
	s_delay_alu instid0(VALU_DEP_1) | instskip(NEXT) | instid1(VALU_DEP_1)
	v_mul_f32_e64 v74, |v7|, v74
	v_fma_f32 v127, v73, v74, |v7|
.LBB25_83:                              ;   in Loop: Header=BB25_51 Depth=2
	s_wait_alu 0xfffe
	s_or_b32 exec_lo, exec_lo, s3
	s_mul_u64 s[4:5], s[94:95], s[26:27]
	v_bfi_b32 v114, 0x7fffffff, v114, v0
	s_wait_alu 0xfffe
	s_lshl_b64 s[4:5], s[4:5], 2
	v_bfi_b32 v164, 0x7fffffff, v153, v1
	s_wait_alu 0xfffe
	s_add_nc_u64 s[4:5], s[76:77], s[4:5]
	v_bfi_b32 v174, 0x7fffffff, v152, v2
	s_wait_alu 0xfffe
	v_add_co_u32 v0, vcc_lo, s4, v75
	s_wait_alu 0xfffd
	v_add_co_ci_u32_e64 v1, null, s5, v76, vcc_lo
	v_bfi_b32 v122, 0x7fffffff, v122, v3
	s_delay_alu instid0(VALU_DEP_3) | instskip(SKIP_1) | instid1(VALU_DEP_3)
	v_add_co_u32 v0, vcc_lo, v0, v189
	s_wait_alu 0xfffd
	v_add_co_ci_u32_e64 v1, null, 0, v1, vcc_lo
	v_add_co_u32 v2, vcc_lo, s4, v77
	s_wait_alu 0xfffd
	v_add_co_ci_u32_e64 v3, null, s5, v78, vcc_lo
	v_bfi_b32 v108, 0x7fffffff, v108, v4
	s_delay_alu instid0(VALU_DEP_3)
	v_add_co_u32 v4, vcc_lo, v2, v189
	v_add_nc_u32_e32 v2, 0x2200, v138
	v_bfi_b32 v179, 0x7fffffff, v125, v5
	s_wait_alu 0xfffd
	v_add_co_ci_u32_e64 v5, null, 0, v3, vcc_lo
	v_add_nc_u32_e32 v3, 0x2208, v138
	v_bfi_b32 v180, 0x7fffffff, v126, v6
	v_bfi_b32 v181, 0x7fffffff, v127, v7
	ds_load_2addr_b32 v[73:74], v2 offset1:1
	ds_load_2addr_b32 v[162:163], v3 offset1:1
	s_clause 0x1
	global_load_b128 v[0:3], v[0:1], off
	global_load_b128 v[4:7], v[4:5], off
	v_add_nc_u32_e32 v153, 0x400, v140
	s_add_co_i32 s42, s42, 1
	s_add_co_i32 s94, s94, 32
	s_wait_alu 0xfffe
	s_cmp_lt_i32 s42, s6
	s_wait_loadcnt 0x1
	ds_store_b128 v136, v[0:3]
	s_wait_loadcnt 0x0
	ds_store_b128 v194, v[4:7]
	v_add_co_u32 v0, vcc_lo, s4, v79
	s_wait_alu 0xfffd
	v_add_co_ci_u32_e64 v1, null, s5, v80, vcc_lo
	s_wait_dscnt 0x3
	v_fma_mix_f32 v114, s33, v114, v73 op_sel_hi:[0,0,1]
	v_add_co_u32 v0, vcc_lo, v0, v189
	s_wait_alu 0xfffd
	v_add_co_ci_u32_e64 v1, null, 0, v1, vcc_lo
	v_add_co_u32 v2, vcc_lo, s4, v81
	s_wait_alu 0xfffd
	v_add_co_ci_u32_e64 v3, null, s5, v82, vcc_lo
	v_fma_mix_f32 v73, s33, v164, v73 op_sel:[0,0,1] op_sel_hi:[0,0,1]
	s_delay_alu instid0(VALU_DEP_3) | instskip(SKIP_1) | instid1(VALU_DEP_3)
	v_add_co_u32 v4, vcc_lo, v2, v189
	s_wait_alu 0xfffd
	v_add_co_ci_u32_e64 v5, null, 0, v3, vcc_lo
	s_clause 0x1
	global_load_b128 v[0:3], v[0:1], off
	global_load_b128 v[4:7], v[4:5], off
	v_fma_mix_f32 v164, s33, v174, v74 op_sel_hi:[0,0,1]
	v_fma_mix_f32 v74, s33, v122, v74 op_sel:[0,0,1] op_sel_hi:[0,0,1]
	s_wait_dscnt 0x2
	v_fma_mix_f32 v108, s33, v108, v162 op_sel_hi:[0,0,1]
	v_fma_mix_f32 v122, s33, v179, v162 op_sel:[0,0,1] op_sel_hi:[0,0,1]
	v_fma_mix_f32 v162, s33, v180, v163 op_sel_hi:[0,0,1]
	v_fma_mix_f32 v163, s33, v181, v163 op_sel:[0,0,1] op_sel_hi:[0,0,1]
	s_wait_loadcnt 0x1
	ds_store_b128 v195, v[0:3]
	s_wait_loadcnt 0x0
	ds_store_b128 v196, v[4:7]
	v_add_co_u32 v0, vcc_lo, s4, v83
	s_wait_alu 0xfffd
	v_add_co_ci_u32_e64 v1, null, s5, v84, vcc_lo
	s_delay_alu instid0(VALU_DEP_2) | instskip(SKIP_1) | instid1(VALU_DEP_2)
	v_add_co_u32 v0, vcc_lo, v0, v189
	s_wait_alu 0xfffd
	v_add_co_ci_u32_e64 v1, null, 0, v1, vcc_lo
	v_add_co_u32 v2, vcc_lo, s4, v85
	s_wait_alu 0xfffd
	v_add_co_ci_u32_e64 v3, null, s5, v86, vcc_lo
	s_delay_alu instid0(VALU_DEP_2) | instskip(SKIP_1) | instid1(VALU_DEP_2)
	v_add_co_u32 v4, vcc_lo, v2, v189
	s_wait_alu 0xfffd
	v_add_co_ci_u32_e64 v5, null, 0, v3, vcc_lo
	s_clause 0x1
	global_load_b128 v[0:3], v[0:1], off
	global_load_b128 v[4:7], v[4:5], off
	s_wait_loadcnt 0x1
	ds_store_b128 v197, v[0:3]
	s_wait_loadcnt 0x0
	ds_store_b128 v198, v[4:7]
	v_add_co_u32 v0, vcc_lo, s4, v87
	s_wait_alu 0xfffd
	v_add_co_ci_u32_e64 v1, null, s5, v88, vcc_lo
	s_delay_alu instid0(VALU_DEP_2) | instskip(SKIP_1) | instid1(VALU_DEP_2)
	v_add_co_u32 v0, vcc_lo, v0, v189
	s_wait_alu 0xfffd
	v_add_co_ci_u32_e64 v1, null, 0, v1, vcc_lo
	v_add_co_u32 v2, vcc_lo, s4, v89
	s_wait_alu 0xfffd
	v_add_co_ci_u32_e64 v3, null, s5, v90, vcc_lo
	s_delay_alu instid0(VALU_DEP_2) | instskip(SKIP_1) | instid1(VALU_DEP_2)
	v_add_co_u32 v4, vcc_lo, v2, v189
	s_wait_alu 0xfffd
	v_add_co_ci_u32_e64 v5, null, 0, v3, vcc_lo
	s_clause 0x1
	global_load_b128 v[0:3], v[0:1], off
	global_load_b128 v[4:7], v[4:5], off
	s_wait_loadcnt 0x1
	ds_store_b128 v200, v[0:3]
	s_wait_loadcnt 0x0
	ds_store_b128 v201, v[4:7]
	s_wait_dscnt 0x0
	s_barrier_signal -1
	s_barrier_wait -1
	global_inv scope:SCOPE_SE
	ds_load_2addr_b32 v[0:1], v153 offset0:16 offset1:32
	ds_load_2addr_b32 v[4:5], v153 offset0:84 offset1:100
	ds_load_2addr_b32 v[125:126], v141 offset1:16
	ds_load_2addr_b32 v[128:129], v142 offset1:16
	s_wait_dscnt 0x2
	v_perm_b32 v127, v5, v1, 0x7060302
	v_perm_b32 v131, v5, v1, 0x5040100
	s_wait_dscnt 0x0
	v_perm_b32 v3, v128, v125, 0x7060302
	v_perm_b32 v7, v128, v125, 0x5040100
	;; [unrolled: 1-line block ×4, first 2 shown]
	ds_load_2addr_b32 v[129:130], v140 offset0:136 offset1:152
	ds_load_2addr_b32 v[149:150], v140 offset0:204 offset1:220
	v_perm_b32 v2, v4, v0, 0x7060302
	v_perm_b32 v6, v4, v0, 0x5040100
	s_wait_dscnt 0x0
	v_perm_b32 v1, v149, v129, 0x7060302
	v_perm_b32 v5, v149, v129, 0x5040100
	;; [unrolled: 1-line block ×4, first 2 shown]
	ds_load_2addr_b32 v[149:150], v140 offset1:16
	ds_load_2addr_b32 v[151:152], v140 offset0:68 offset1:84
	s_wait_dscnt 0x0
	v_perm_b32 v0, v151, v149, 0x7060302
	v_perm_b32 v4, v151, v149, 0x5040100
	v_perm_b32 v125, v152, v150, 0x7060302
	v_perm_b32 v129, v152, v150, 0x5040100
	ds_load_2addr_b32 v[149:150], v153 offset0:48 offset1:64
	ds_load_2addr_b32 v[153:154], v153 offset0:116 offset1:132
	;; [unrolled: 1-line block ×4, first 2 shown]
	s_wait_dscnt 0x2
	v_perm_b32 v151, v153, v149, 0x7060302
	v_perm_b32 v156, v153, v149, 0x5040100
	s_wait_dscnt 0x0
	v_perm_b32 v152, v166, v157, 0x7060302
	v_perm_b32 v157, v166, v157, 0x5040100
	;; [unrolled: 1-line block ×6, first 2 shown]
	ds_load_2addr_b32 v[153:154], v140 offset0:168 offset1:184
	ds_load_2addr_b32 v[166:167], v140 offset0:236 offset1:252
	s_wait_dscnt 0x0
	v_perm_b32 v150, v166, v153, 0x7060302
	v_perm_b32 v155, v166, v153, 0x5040100
	;; [unrolled: 1-line block ×4, first 2 shown]
	ds_load_2addr_b32 v[166:167], v140 offset0:32 offset1:48
	ds_load_2addr_b32 v[169:170], v140 offset0:100 offset1:116
	v_add_f32_e32 v153, 0x40051340, v114
	s_wait_loadcnt_dscnt 0x0
	s_barrier_signal -1
	s_barrier_wait -1
	global_inv scope:SCOPE_SE
	v_perm_b32 v149, v169, v166, 0x7060302
	v_perm_b32 v154, v169, v166, 0x5040100
	v_add_f32_e32 v166, 0x40051340, v73
	v_perm_b32 v158, v170, v167, 0x7060302
	v_perm_b32 v175, v170, v167, 0x5040100
	v_add_f32_e32 v167, 0x40051340, v74
	s_delay_alu instid0(VALU_DEP_4) | instskip(SKIP_1) | instid1(VALU_DEP_1)
	v_max3_num_f32 v153, v113, v153, v166
	v_add_f32_e32 v166, 0x40051340, v164
	v_max3_num_f32 v153, v153, v166, v167
	v_dual_add_f32 v166, 0x40051340, v108 :: v_dual_add_f32 v167, 0x40051340, v122
	s_delay_alu instid0(VALU_DEP_1) | instskip(SKIP_1) | instid1(VALU_DEP_1)
	v_max3_num_f32 v153, v153, v166, v167
	v_dual_add_f32 v166, 0x40051340, v162 :: v_dual_add_f32 v167, 0x40051340, v163
	v_max3_num_f32 v153, v153, v166, v167
	ds_bpermute_b32 v166, v110, v153
	s_wait_dscnt 0x0
	v_max_num_f32_e32 v166, v166, v166
	s_delay_alu instid0(VALU_DEP_1) | instskip(NEXT) | instid1(VALU_DEP_1)
	v_max_num_f32_e32 v153, v153, v166
	v_sub_f32_e32 v108, v108, v153
	s_delay_alu instid0(VALU_DEP_1)
	v_mul_f32_e32 v166, 0x3fb8aa3b, v108
	v_sub_f32_e32 v122, v122, v153
	v_sub_f32_e32 v163, v163, v153
	;; [unrolled: 1-line block ×4, first 2 shown]
	v_fma_f32 v167, 0x3fb8aa3b, v108, -v166
	v_rndne_f32_e32 v169, v166
	v_cmp_ngt_f32_e64 s4, 0xc2ce8ed0, v163
	v_cmp_ngt_f32_e64 s3, 0xc2ce8ed0, v162
	;; [unrolled: 1-line block ×3, first 2 shown]
	s_delay_alu instid0(VALU_DEP_4) | instskip(SKIP_3) | instid1(VALU_DEP_4)
	v_dual_fmac_f32 v167, 0x32a5705f, v108 :: v_dual_sub_f32 v166, v166, v169
	v_cvt_i32_f32_e32 v169, v169
	v_sub_f32_e32 v114, v114, v153
	v_sub_f32_e32 v164, v164, v153
	v_dual_sub_f32 v73, v73, v153 :: v_dual_add_f32 v166, v166, v167
	v_mul_f32_e32 v167, 0x3fb8aa3b, v122
	v_sub_f32_e32 v113, v113, v153
	s_delay_alu instid0(VALU_DEP_3) | instskip(NEXT) | instid1(VALU_DEP_2)
	v_exp_f32_e32 v166, v166
	v_fma_f32 v170, 0x3fb8aa3b, v122, -v167
	v_rndne_f32_e32 v174, v167
	s_delay_alu instid0(VALU_DEP_1) | instskip(NEXT) | instid1(VALU_DEP_3)
	v_sub_f32_e32 v167, v167, v174
	v_fmac_f32_e32 v170, 0x32a5705f, v122
	v_cmp_ngt_f32_e32 vcc_lo, 0xc2ce8ed0, v122
	s_delay_alu instid0(TRANS32_DEP_1) | instskip(SKIP_1) | instid1(VALU_DEP_4)
	v_ldexp_f32 v166, v166, v169
	v_cvt_i32_f32_e32 v169, v174
	v_add_f32_e32 v167, v167, v170
	v_mul_f32_e32 v170, 0x3fb8aa3b, v162
	s_delay_alu instid0(VALU_DEP_2) | instskip(NEXT) | instid1(VALU_DEP_1)
	v_exp_f32_e32 v167, v167
	v_fma_f32 v179, 0x3fb8aa3b, v162, -v170
	v_rndne_f32_e32 v180, v170
	s_delay_alu instid0(VALU_DEP_1) | instskip(NEXT) | instid1(TRANS32_DEP_1)
	v_dual_fmac_f32 v179, 0x32a5705f, v162 :: v_dual_sub_f32 v170, v170, v180
	v_ldexp_f32 v167, v167, v169
	s_delay_alu instid0(VALU_DEP_2) | instskip(SKIP_2) | instid1(VALU_DEP_3)
	v_add_f32_e32 v170, v170, v179
	v_mul_f32_e32 v179, 0x3fb8aa3b, v163
	s_wait_alu 0xfffd
	v_cndmask_b32_e32 v167, 0, v167, vcc_lo
	v_cmp_nlt_f32_e32 vcc_lo, 0x42b17218, v122
	s_delay_alu instid0(VALU_DEP_3) | instskip(SKIP_1) | instid1(VALU_DEP_2)
	v_fma_f32 v181, 0x3fb8aa3b, v163, -v179
	v_rndne_f32_e32 v182, v179
	v_fmac_f32_e32 v181, 0x32a5705f, v163
	s_delay_alu instid0(VALU_DEP_2) | instskip(SKIP_3) | instid1(VALU_DEP_3)
	v_sub_f32_e32 v179, v179, v182
	v_exp_f32_e32 v169, v170
	v_cvt_i32_f32_e32 v170, v180
	v_cvt_i32_f32_e32 v174, v182
	v_add_f32_e32 v179, v179, v181
	s_delay_alu instid0(TRANS32_DEP_1) | instid1(VALU_DEP_3)
	v_ldexp_f32 v169, v169, v170
	s_delay_alu instid0(VALU_DEP_2) | instskip(SKIP_1) | instid1(VALU_DEP_1)
	v_exp_f32_e32 v170, v179
	s_wait_alu 0xf1ff
	v_cndmask_b32_e64 v122, 0, v169, s3
	v_cmp_nlt_f32_e64 s3, 0x42b17218, v162
	s_delay_alu instid0(TRANS32_DEP_1) | instskip(SKIP_1) | instid1(VALU_DEP_2)
	v_ldexp_f32 v170, v170, v174
	s_wait_alu 0xf1ff
	v_cndmask_b32_e64 v122, 0x7f800000, v122, s3
	v_cmp_ngt_f32_e64 s3, 0xc2ce8ed0, v164
	s_delay_alu instid0(VALU_DEP_3) | instskip(SKIP_4) | instid1(VALU_DEP_3)
	v_cndmask_b32_e64 v162, 0, v170, s4
	v_cmp_nlt_f32_e64 s4, 0x42b17218, v163
	v_cndmask_b32_e64 v163, 0, v166, s5
	v_cmp_nlt_f32_e64 s5, 0x42b17218, v108
	s_wait_alu 0xf1ff
	v_cndmask_b32_e64 v162, 0x7f800000, v162, s4
	s_delay_alu instid0(VALU_DEP_2)
	v_cndmask_b32_e64 v108, 0x7f800000, v163, s5
	s_wait_alu 0xfffd
	v_cndmask_b32_e32 v163, 0x7f800000, v167, vcc_lo
	v_cvt_f16_f32_e64 v167, v122
	v_cvt_f16_f32_e64 v169, v162
	v_cmp_ngt_f32_e32 vcc_lo, 0xc2ce8ed0, v74
	v_cvt_f16_f32_e64 v166, v108
	v_cvt_f16_f32_e64 v170, v163
	s_delay_alu instid0(VALU_DEP_4) | instskip(NEXT) | instid1(VALU_DEP_2)
	v_perm_b32 v182, v169, v167, 0x5040100
	v_perm_b32 v181, v170, v166, 0x5040100
	v_mul_f32_e32 v166, 0x3fb8aa3b, v74
	s_delay_alu instid0(VALU_DEP_1) | instskip(SKIP_1) | instid1(VALU_DEP_1)
	v_fma_f32 v167, 0x3fb8aa3b, v74, -v166
	v_rndne_f32_e32 v169, v166
	v_dual_fmac_f32 v167, 0x32a5705f, v74 :: v_dual_sub_f32 v166, v166, v169
	v_cvt_i32_f32_e32 v169, v169
	s_delay_alu instid0(VALU_DEP_2) | instskip(NEXT) | instid1(VALU_DEP_1)
	v_dual_add_f32 v166, v166, v167 :: v_dual_mul_f32 v167, 0x3fb8aa3b, v164
	v_exp_f32_e32 v166, v166
	s_delay_alu instid0(VALU_DEP_1) | instskip(SKIP_1) | instid1(VALU_DEP_1)
	v_fma_f32 v170, 0x3fb8aa3b, v164, -v167
	v_rndne_f32_e32 v174, v167
	v_dual_fmac_f32 v170, 0x32a5705f, v164 :: v_dual_sub_f32 v167, v167, v174
	s_delay_alu instid0(TRANS32_DEP_1) | instskip(SKIP_1) | instid1(VALU_DEP_3)
	v_ldexp_f32 v166, v166, v169
	v_cvt_i32_f32_e32 v169, v174
	v_add_f32_e32 v167, v167, v170
	s_wait_alu 0xfffd
	s_delay_alu instid0(VALU_DEP_3) | instskip(SKIP_1) | instid1(VALU_DEP_3)
	v_cndmask_b32_e32 v166, 0, v166, vcc_lo
	v_cmp_nlt_f32_e32 vcc_lo, 0x42b17218, v74
	v_exp_f32_e32 v167, v167
	s_delay_alu instid0(TRANS32_DEP_1) | instskip(NEXT) | instid1(VALU_DEP_1)
	v_ldexp_f32 v167, v167, v169
	v_cndmask_b32_e64 v74, 0, v167, s3
	v_cmp_nlt_f32_e64 s3, 0x42b17218, v164
	s_wait_alu 0xfffd
	v_cndmask_b32_e32 v164, 0x7f800000, v166, vcc_lo
	v_cmp_ngt_f32_e32 vcc_lo, 0xc2ce8ed0, v73
	s_wait_alu 0xf1ff
	v_cndmask_b32_e64 v74, 0x7f800000, v74, s3
	s_delay_alu instid0(VALU_DEP_3) | instskip(NEXT) | instid1(VALU_DEP_2)
	v_cvt_f16_f32_e64 v167, v164
	v_cvt_f16_f32_e64 v166, v74
	s_delay_alu instid0(VALU_DEP_1) | instskip(SKIP_1) | instid1(VALU_DEP_1)
	v_perm_b32 v180, v167, v166, 0x5040100
	v_mul_f32_e32 v166, 0x3fb8aa3b, v73
	v_fma_f32 v167, 0x3fb8aa3b, v73, -v166
	v_rndne_f32_e32 v169, v166
	s_delay_alu instid0(VALU_DEP_2) | instskip(NEXT) | instid1(VALU_DEP_2)
	v_fmac_f32_e32 v167, 0x32a5705f, v73
	v_sub_f32_e32 v166, v166, v169
	v_cvt_i32_f32_e32 v169, v169
	s_delay_alu instid0(VALU_DEP_2) | instskip(NEXT) | instid1(VALU_DEP_1)
	v_dual_add_f32 v166, v166, v167 :: v_dual_mul_f32 v167, 0x3fb8aa3b, v114
	v_fma_f32 v170, 0x3fb8aa3b, v114, -v167
	v_rndne_f32_e32 v174, v167
	s_delay_alu instid0(VALU_DEP_2) | instskip(NEXT) | instid1(VALU_DEP_2)
	v_fmac_f32_e32 v170, 0x32a5705f, v114
	v_sub_f32_e32 v167, v167, v174
	v_exp_f32_e32 v166, v166
	s_delay_alu instid0(VALU_DEP_1) | instskip(SKIP_1) | instid1(VALU_DEP_2)
	v_add_f32_e32 v167, v167, v170
	v_cmp_ngt_f32_e64 s3, 0xc2ce8ed0, v114
	v_exp_f32_e32 v167, v167
	s_delay_alu instid0(TRANS32_DEP_2) | instskip(SKIP_2) | instid1(VALU_DEP_2)
	v_ldexp_f32 v166, v166, v169
	v_cvt_i32_f32_e32 v169, v174
	s_wait_alu 0xfffd
	v_cndmask_b32_e32 v166, 0, v166, vcc_lo
	v_cmp_nlt_f32_e32 vcc_lo, 0x42b17218, v73
	s_delay_alu instid0(TRANS32_DEP_1) | instid1(VALU_DEP_3)
	v_ldexp_f32 v167, v167, v169
	s_wait_alu 0xf1ff
	s_delay_alu instid0(VALU_DEP_1)
	v_cndmask_b32_e64 v73, 0, v167, s3
	v_cmp_nlt_f32_e64 s3, 0x42b17218, v114
	s_wait_alu 0xfffd
	v_cndmask_b32_e32 v114, 0x7f800000, v166, vcc_lo
	v_cmp_ngt_f32_e32 vcc_lo, 0xc2ce8ed0, v113
	s_wait_alu 0xf1ff
	v_cndmask_b32_e64 v73, 0x7f800000, v73, s3
	s_delay_alu instid0(VALU_DEP_3) | instskip(NEXT) | instid1(VALU_DEP_2)
	v_cvt_f16_f32_e64 v167, v114
	v_cvt_f16_f32_e64 v166, v73
	s_delay_alu instid0(VALU_DEP_1) | instskip(SKIP_1) | instid1(VALU_DEP_1)
	v_perm_b32 v179, v167, v166, 0x5040100
	v_mul_f32_e32 v166, 0x3fb8aa3b, v113
	v_fma_f32 v167, 0x3fb8aa3b, v113, -v166
	v_rndne_f32_e32 v169, v166
	s_delay_alu instid0(VALU_DEP_2) | instskip(NEXT) | instid1(VALU_DEP_2)
	v_fmac_f32_e32 v167, 0x32a5705f, v113
	v_sub_f32_e32 v166, v166, v169
	s_delay_alu instid0(VALU_DEP_1) | instskip(SKIP_1) | instid1(VALU_DEP_2)
	v_add_f32_e32 v166, v166, v167
	v_cvt_i32_f32_e32 v167, v169
	v_exp_f32_e32 v166, v166
	s_delay_alu instid0(TRANS32_DEP_1) | instskip(SKIP_1) | instid1(VALU_DEP_1)
	v_ldexp_f32 v166, v166, v167
	s_wait_alu 0xfffd
	v_cndmask_b32_e32 v166, 0, v166, vcc_lo
	v_cmp_nlt_f32_e32 vcc_lo, 0x42b17218, v113
	s_wait_alu 0xfffd
	s_delay_alu instid0(VALU_DEP_2) | instskip(SKIP_2) | instid1(VALU_DEP_2)
	v_cndmask_b32_e32 v166, 0x7f800000, v166, vcc_lo
	v_cmp_le_f32_e32 vcc_lo, 0xc1a00000, v113
	s_wait_alu 0xfffd
	v_cndmask_b32_e32 v113, 0, v166, vcc_lo
	s_delay_alu instid0(VALU_DEP_1) | instskip(NEXT) | instid1(VALU_DEP_1)
	v_cvt_f16_f32_e64 v166, v113
	v_and_b32_e32 v166, 0xffff, v166
	s_delay_alu instid0(VALU_DEP_1) | instskip(NEXT) | instid1(VALU_DEP_1)
	v_mul_u32_u24_e32 v166, 0x10001, v166
	v_pk_mul_f16 v28, v28, v166
	v_pk_mul_f16 v29, v29, v166
	;; [unrolled: 1-line block ×8, first 2 shown]
	v_wmma_f16_16x16x16_f16 v[28:31], v[0:3], v[179:182], v[28:31]
	v_add_f32_e32 v0, v73, v114
	v_pk_mul_f16 v32, v32, v166
	v_pk_mul_f16 v33, v33, v166
	v_pk_mul_f16 v34, v34, v166
	v_pk_mul_f16 v35, v35, v166
	v_add_f32_e32 v0, v74, v0
	v_pk_mul_f16 v24, v24, v166
	v_pk_mul_f16 v25, v25, v166
	v_pk_mul_f16 v26, v26, v166
	v_pk_mul_f16 v27, v27, v166
	;; [unrolled: 5-line block ×6, first 2 shown]
	v_add_f32_e32 v114, v162, v0
	v_wmma_f16_16x16x16_f16 v[36:39], v[4:7], v[179:182], v[36:39]
	v_wmma_f16_16x16x16_f16 v[32:35], v[129:132], v[179:182], v[32:35]
	;; [unrolled: 1-line block ×7, first 2 shown]
	v_fmac_f32_e32 v114, v109, v113
	s_cbranch_scc0 .LBB25_87
; %bb.84:                               ;   in Loop: Header=BB25_51 Depth=2
	s_delay_alu instid0(VALU_DEP_1)
	v_mov_b32_e32 v109, v114
	v_mov_b32_e32 v113, v153
	s_branch .LBB25_51
.LBB25_85:                              ;   in Loop: Header=BB25_12 Depth=1
	s_cbranch_execz .LBB25_11
	s_branch .LBB25_208
.LBB25_86:                              ;   in Loop: Header=BB25_12 Depth=1
	v_dual_mov_b32 v39, 0 :: v_dual_mov_b32 v114, 0
	v_mov_b32_e32 v31, 0
	s_delay_alu instid0(VALU_DEP_2) | instskip(SKIP_1) | instid1(VALU_DEP_3)
	v_dual_mov_b32 v153, 0xfeffffff :: v_dual_mov_b32 v38, v39
	v_dual_mov_b32 v36, v39 :: v_dual_mov_b32 v37, v39
	;; [unrolled: 1-line block ×15, first 2 shown]
	v_mov_b32_e32 v12, v31
.LBB25_87:                              ;   in Loop: Header=BB25_12 Depth=1
	s_lshl_b32 s4, s42, 5
	v_lshlrev_b32_e32 v2, 1, v134
	s_wait_alu 0xfffe
	s_ashr_i32 s5, s4, 31
	v_lshlrev_b64_e32 v[0:1], 1, v[119:120]
	s_wait_alu 0xfffe
	s_lshl_b64 s[94:95], s[4:5], 1
	s_wait_alu 0xfffe
	s_add_nc_u64 s[94:95], s[80:81], s[94:95]
	s_wait_alu 0xfffe
	v_add_co_u32 v4, s3, s94, v2
	v_lshlrev_b64_e32 v[2:3], 1, v[117:118]
	s_wait_alu 0xf1ff
	v_add_co_ci_u32_e64 v5, null, s95, 0, s3
	s_delay_alu instid0(VALU_DEP_3)
	v_add_co_u32 v0, vcc_lo, v4, v0
	s_mul_u64 s[94:95], s[36:37], s[4:5]
	s_wait_alu 0xfffd
	v_add_co_ci_u32_e64 v1, null, v5, v1, vcc_lo
	v_add_co_u32 v2, vcc_lo, v4, v2
	s_wait_alu 0xfffd
	v_add_co_ci_u32_e64 v3, null, v5, v3, vcc_lo
	s_clause 0x1
	global_load_b32 v0, v[0:1], off
	global_load_b32 v1, v[2:3], off
	v_add_nc_u32_e32 v2, v193, v191
	s_wait_alu 0xfffe
	s_lshl_b64 s[94:95], s[94:95], 2
	s_wait_alu 0xfffe
	s_add_nc_u64 s[94:95], s[78:79], s[94:95]
	v_add_nc_u32_e32 v2, 0x2000, v2
	s_wait_loadcnt 0x0
	ds_store_2addr_b32 v2, v0, v1 offset0:128 offset1:208
	s_wait_alu 0xfffe
	v_add_co_u32 v0, vcc_lo, s94, v91
	s_wait_alu 0xfffd
	v_add_co_ci_u32_e64 v1, null, s95, v92, vcc_lo
	s_delay_alu instid0(VALU_DEP_2) | instskip(SKIP_1) | instid1(VALU_DEP_2)
	v_add_co_u32 v0, vcc_lo, v0, v189
	s_wait_alu 0xfffd
	v_add_co_ci_u32_e64 v1, null, 0, v1, vcc_lo
	v_add_co_u32 v2, vcc_lo, s94, v93
	s_wait_alu 0xfffd
	v_add_co_ci_u32_e64 v3, null, s95, v94, vcc_lo
	s_delay_alu instid0(VALU_DEP_2) | instskip(SKIP_1) | instid1(VALU_DEP_2)
	v_add_co_u32 v4, vcc_lo, v2, v189
	s_wait_alu 0xfffd
	v_add_co_ci_u32_e64 v5, null, 0, v3, vcc_lo
	s_clause 0x1
	global_load_b128 v[0:3], v[0:1], off
	global_load_b128 v[4:7], v[4:5], off
	s_wait_loadcnt 0x1
	ds_store_b128 v136, v[0:3]
	s_wait_loadcnt 0x0
	ds_store_b128 v194, v[4:7]
	v_add_co_u32 v0, vcc_lo, s94, v95
	s_wait_alu 0xfffd
	v_add_co_ci_u32_e64 v1, null, s95, v96, vcc_lo
	s_delay_alu instid0(VALU_DEP_2) | instskip(SKIP_1) | instid1(VALU_DEP_2)
	v_add_co_u32 v0, vcc_lo, v0, v189
	s_wait_alu 0xfffd
	v_add_co_ci_u32_e64 v1, null, 0, v1, vcc_lo
	v_add_co_u32 v2, vcc_lo, s94, v97
	s_wait_alu 0xfffd
	v_add_co_ci_u32_e64 v3, null, s95, v98, vcc_lo
	s_delay_alu instid0(VALU_DEP_2) | instskip(SKIP_1) | instid1(VALU_DEP_2)
	v_add_co_u32 v4, vcc_lo, v2, v189
	s_wait_alu 0xfffd
	v_add_co_ci_u32_e64 v5, null, 0, v3, vcc_lo
	s_clause 0x1
	global_load_b128 v[0:3], v[0:1], off
	global_load_b128 v[4:7], v[4:5], off
	s_wait_loadcnt 0x1
	ds_store_b128 v195, v[0:3]
	s_wait_loadcnt 0x0
	ds_store_b128 v196, v[4:7]
	;; [unrolled: 21-line block ×4, first 2 shown]
	s_wait_dscnt 0x0
	s_barrier_signal -1
	s_barrier_wait -1
	global_inv scope:SCOPE_SE
	ds_load_b128 v[108:111], v137
	ds_load_b128 v[117:120], v137 offset:32
	s_wait_dscnt 0x1
	v_wmma_f32_16x16x16_f16 v[0:7], v[108:111], v[68:71], 0
	s_wait_dscnt 0x0
	s_delay_alu instid0(VALU_DEP_1)
	v_wmma_f32_16x16x16_f16 v[0:7], v[117:120], v[64:67], v[0:7]
	ds_load_b128 v[64:67], v137 offset:64
	ds_load_b128 v[68:71], v137 offset:96
	s_wait_dscnt 0x1
	v_wmma_f32_16x16x16_f16 v[0:7], v[64:67], v[60:63], v[0:7]
	s_wait_dscnt 0x0
	s_delay_alu instid0(VALU_DEP_1)
	v_wmma_f32_16x16x16_f16 v[0:7], v[68:71], v[56:59], v[0:7]
	ds_load_b128 v[56:59], v137 offset:128
	;; [unrolled: 7-line block ×3, first 2 shown]
	ds_load_b128 v[52:55], v137 offset:224
	s_wait_loadcnt_dscnt 0x0
	s_barrier_signal -1
	s_barrier_wait -1
	global_inv scope:SCOPE_SE
	v_wmma_f32_16x16x16_f16 v[0:7], v[48:51], v[44:47], v[0:7]
	s_delay_alu instid0(VALU_DEP_1) | instskip(NEXT) | instid1(VALU_DEP_1)
	v_wmma_f32_16x16x16_f16 v[0:7], v[52:55], v[40:43], v[0:7]
                                        ; implicit-def: $vgpr40
	v_cmp_ngt_f32_e64 s3, 0x3f200000, |v0|
	s_and_saveexec_b32 s6, s3
	s_wait_alu 0xfffe
	s_xor_b32 s3, exec_lo, s6
	s_cbranch_execz .LBB25_89
; %bb.88:                               ;   in Loop: Header=BB25_12 Depth=1
	v_add_f32_e64 v40, |v0|, |v0|
	s_delay_alu instid0(VALU_DEP_1) | instskip(SKIP_1) | instid1(VALU_DEP_2)
	v_mul_f32_e32 v41, 0x3fb8aa3b, v40
	v_cmp_ngt_f32_e32 vcc_lo, 0xc2ce8ed0, v40
	v_rndne_f32_e32 v42, v41
	v_fma_f32 v43, 0x3fb8aa3b, v40, -v41
	s_delay_alu instid0(VALU_DEP_2) | instskip(NEXT) | instid1(VALU_DEP_2)
	v_sub_f32_e32 v41, v41, v42
	v_fmac_f32_e32 v43, 0x32a5705f, v40
	v_cvt_i32_f32_e32 v42, v42
	s_delay_alu instid0(VALU_DEP_2) | instskip(NEXT) | instid1(VALU_DEP_1)
	v_add_f32_e32 v41, v41, v43
	v_exp_f32_e32 v41, v41
	s_delay_alu instid0(TRANS32_DEP_1) | instskip(SKIP_1) | instid1(VALU_DEP_1)
	v_ldexp_f32 v41, v41, v42
	s_wait_alu 0xfffd
	v_cndmask_b32_e32 v41, 0, v41, vcc_lo
	v_cmp_nlt_f32_e32 vcc_lo, 0x42b17218, v40
	s_wait_alu 0xfffd
	s_delay_alu instid0(VALU_DEP_2) | instskip(NEXT) | instid1(VALU_DEP_1)
	v_cndmask_b32_e32 v40, 0x7f800000, v41, vcc_lo
	v_add_f32_e32 v40, 1.0, v40
	s_delay_alu instid0(VALU_DEP_1) | instskip(NEXT) | instid1(TRANS32_DEP_1)
	v_rcp_f32_e32 v40, v40
	v_fma_f32 v40, v40, -2.0, 1.0
.LBB25_89:                              ;   in Loop: Header=BB25_12 Depth=1
	s_wait_alu 0xfffe
	s_and_not1_saveexec_b32 s3, s3
	s_cbranch_execz .LBB25_91
; %bb.90:                               ;   in Loop: Header=BB25_12 Depth=1
	v_mul_f32_e32 v40, v0, v0
	s_delay_alu instid0(VALU_DEP_1) | instskip(NEXT) | instid1(VALU_DEP_1)
	v_fmaak_f32 v41, s41, v40, 0x3ca908c9
	v_fmaak_f32 v41, v40, v41, 0xbd5c1c4e
	s_delay_alu instid0(VALU_DEP_1) | instskip(NEXT) | instid1(VALU_DEP_1)
	v_fmaak_f32 v41, v40, v41, 0x3e088382
	v_fmaak_f32 v41, v40, v41, 0xbeaaaa99
	s_delay_alu instid0(VALU_DEP_1) | instskip(NEXT) | instid1(VALU_DEP_1)
	v_mul_f32_e64 v41, |v0|, v41
	v_fma_f32 v40, v40, v41, |v0|
.LBB25_91:                              ;   in Loop: Header=BB25_12 Depth=1
	s_wait_alu 0xfffe
	s_or_b32 exec_lo, exec_lo, s3
	v_cmp_ngt_f32_e64 s3, 0x3f200000, |v1|
                                        ; implicit-def: $vgpr41
	s_and_saveexec_b32 s6, s3
	s_wait_alu 0xfffe
	s_xor_b32 s3, exec_lo, s6
	s_cbranch_execz .LBB25_93
; %bb.92:                               ;   in Loop: Header=BB25_12 Depth=1
	v_add_f32_e64 v41, |v1|, |v1|
	s_delay_alu instid0(VALU_DEP_1) | instskip(SKIP_1) | instid1(VALU_DEP_2)
	v_mul_f32_e32 v42, 0x3fb8aa3b, v41
	v_cmp_ngt_f32_e32 vcc_lo, 0xc2ce8ed0, v41
	v_rndne_f32_e32 v43, v42
	v_fma_f32 v44, 0x3fb8aa3b, v41, -v42
	s_delay_alu instid0(VALU_DEP_2) | instskip(NEXT) | instid1(VALU_DEP_2)
	v_sub_f32_e32 v42, v42, v43
	v_fmac_f32_e32 v44, 0x32a5705f, v41
	v_cvt_i32_f32_e32 v43, v43
	s_delay_alu instid0(VALU_DEP_2) | instskip(NEXT) | instid1(VALU_DEP_1)
	v_add_f32_e32 v42, v42, v44
	v_exp_f32_e32 v42, v42
	s_delay_alu instid0(TRANS32_DEP_1) | instskip(SKIP_1) | instid1(VALU_DEP_1)
	v_ldexp_f32 v42, v42, v43
	s_wait_alu 0xfffd
	v_cndmask_b32_e32 v42, 0, v42, vcc_lo
	v_cmp_nlt_f32_e32 vcc_lo, 0x42b17218, v41
	s_wait_alu 0xfffd
	s_delay_alu instid0(VALU_DEP_2) | instskip(NEXT) | instid1(VALU_DEP_1)
	v_cndmask_b32_e32 v41, 0x7f800000, v42, vcc_lo
	v_add_f32_e32 v41, 1.0, v41
	s_delay_alu instid0(VALU_DEP_1) | instskip(NEXT) | instid1(TRANS32_DEP_1)
	v_rcp_f32_e32 v41, v41
	v_fma_f32 v41, v41, -2.0, 1.0
.LBB25_93:                              ;   in Loop: Header=BB25_12 Depth=1
	s_wait_alu 0xfffe
	s_and_not1_saveexec_b32 s3, s3
	s_cbranch_execz .LBB25_95
; %bb.94:                               ;   in Loop: Header=BB25_12 Depth=1
	v_mul_f32_e32 v41, v1, v1
	s_delay_alu instid0(VALU_DEP_1) | instskip(NEXT) | instid1(VALU_DEP_1)
	v_fmaak_f32 v42, s41, v41, 0x3ca908c9
	v_fmaak_f32 v42, v41, v42, 0xbd5c1c4e
	s_delay_alu instid0(VALU_DEP_1) | instskip(NEXT) | instid1(VALU_DEP_1)
	v_fmaak_f32 v42, v41, v42, 0x3e088382
	v_fmaak_f32 v42, v41, v42, 0xbeaaaa99
	s_delay_alu instid0(VALU_DEP_1) | instskip(NEXT) | instid1(VALU_DEP_1)
	v_mul_f32_e64 v42, |v1|, v42
	v_fma_f32 v41, v41, v42, |v1|
.LBB25_95:                              ;   in Loop: Header=BB25_12 Depth=1
	s_wait_alu 0xfffe
	s_or_b32 exec_lo, exec_lo, s3
	v_cmp_ngt_f32_e64 s3, 0x3f200000, |v2|
                                        ; implicit-def: $vgpr42
	s_and_saveexec_b32 s6, s3
	s_wait_alu 0xfffe
	s_xor_b32 s3, exec_lo, s6
	s_cbranch_execz .LBB25_97
; %bb.96:                               ;   in Loop: Header=BB25_12 Depth=1
	v_add_f32_e64 v42, |v2|, |v2|
	s_delay_alu instid0(VALU_DEP_1) | instskip(SKIP_1) | instid1(VALU_DEP_2)
	v_mul_f32_e32 v43, 0x3fb8aa3b, v42
	v_cmp_ngt_f32_e32 vcc_lo, 0xc2ce8ed0, v42
	v_rndne_f32_e32 v44, v43
	v_fma_f32 v45, 0x3fb8aa3b, v42, -v43
	s_delay_alu instid0(VALU_DEP_2) | instskip(NEXT) | instid1(VALU_DEP_2)
	v_sub_f32_e32 v43, v43, v44
	v_fmac_f32_e32 v45, 0x32a5705f, v42
	v_cvt_i32_f32_e32 v44, v44
	s_delay_alu instid0(VALU_DEP_2) | instskip(NEXT) | instid1(VALU_DEP_1)
	v_add_f32_e32 v43, v43, v45
	v_exp_f32_e32 v43, v43
	s_delay_alu instid0(TRANS32_DEP_1) | instskip(SKIP_1) | instid1(VALU_DEP_1)
	v_ldexp_f32 v43, v43, v44
	s_wait_alu 0xfffd
	v_cndmask_b32_e32 v43, 0, v43, vcc_lo
	v_cmp_nlt_f32_e32 vcc_lo, 0x42b17218, v42
	s_wait_alu 0xfffd
	s_delay_alu instid0(VALU_DEP_2) | instskip(NEXT) | instid1(VALU_DEP_1)
	v_cndmask_b32_e32 v42, 0x7f800000, v43, vcc_lo
	v_add_f32_e32 v42, 1.0, v42
	s_delay_alu instid0(VALU_DEP_1) | instskip(NEXT) | instid1(TRANS32_DEP_1)
	v_rcp_f32_e32 v42, v42
	v_fma_f32 v42, v42, -2.0, 1.0
.LBB25_97:                              ;   in Loop: Header=BB25_12 Depth=1
	s_wait_alu 0xfffe
	s_and_not1_saveexec_b32 s3, s3
	s_cbranch_execz .LBB25_99
; %bb.98:                               ;   in Loop: Header=BB25_12 Depth=1
	v_mul_f32_e32 v42, v2, v2
	s_delay_alu instid0(VALU_DEP_1) | instskip(NEXT) | instid1(VALU_DEP_1)
	v_fmaak_f32 v43, s41, v42, 0x3ca908c9
	v_fmaak_f32 v43, v42, v43, 0xbd5c1c4e
	s_delay_alu instid0(VALU_DEP_1) | instskip(NEXT) | instid1(VALU_DEP_1)
	v_fmaak_f32 v43, v42, v43, 0x3e088382
	v_fmaak_f32 v43, v42, v43, 0xbeaaaa99
	s_delay_alu instid0(VALU_DEP_1) | instskip(NEXT) | instid1(VALU_DEP_1)
	v_mul_f32_e64 v43, |v2|, v43
	v_fma_f32 v42, v42, v43, |v2|
.LBB25_99:                              ;   in Loop: Header=BB25_12 Depth=1
	s_wait_alu 0xfffe
	s_or_b32 exec_lo, exec_lo, s3
	v_cmp_ngt_f32_e64 s3, 0x3f200000, |v3|
                                        ; implicit-def: $vgpr43
	s_and_saveexec_b32 s6, s3
	s_wait_alu 0xfffe
	s_xor_b32 s3, exec_lo, s6
	s_cbranch_execz .LBB25_101
; %bb.100:                              ;   in Loop: Header=BB25_12 Depth=1
	v_add_f32_e64 v43, |v3|, |v3|
	s_delay_alu instid0(VALU_DEP_1) | instskip(SKIP_1) | instid1(VALU_DEP_2)
	v_mul_f32_e32 v44, 0x3fb8aa3b, v43
	v_cmp_ngt_f32_e32 vcc_lo, 0xc2ce8ed0, v43
	v_rndne_f32_e32 v45, v44
	v_fma_f32 v46, 0x3fb8aa3b, v43, -v44
	s_delay_alu instid0(VALU_DEP_2) | instskip(NEXT) | instid1(VALU_DEP_2)
	v_sub_f32_e32 v44, v44, v45
	v_fmac_f32_e32 v46, 0x32a5705f, v43
	v_cvt_i32_f32_e32 v45, v45
	s_delay_alu instid0(VALU_DEP_2) | instskip(NEXT) | instid1(VALU_DEP_1)
	v_add_f32_e32 v44, v44, v46
	v_exp_f32_e32 v44, v44
	s_delay_alu instid0(TRANS32_DEP_1) | instskip(SKIP_1) | instid1(VALU_DEP_1)
	v_ldexp_f32 v44, v44, v45
	s_wait_alu 0xfffd
	v_cndmask_b32_e32 v44, 0, v44, vcc_lo
	v_cmp_nlt_f32_e32 vcc_lo, 0x42b17218, v43
	s_wait_alu 0xfffd
	s_delay_alu instid0(VALU_DEP_2) | instskip(NEXT) | instid1(VALU_DEP_1)
	v_cndmask_b32_e32 v43, 0x7f800000, v44, vcc_lo
	v_add_f32_e32 v43, 1.0, v43
	s_delay_alu instid0(VALU_DEP_1) | instskip(NEXT) | instid1(TRANS32_DEP_1)
	v_rcp_f32_e32 v43, v43
	v_fma_f32 v43, v43, -2.0, 1.0
.LBB25_101:                             ;   in Loop: Header=BB25_12 Depth=1
	s_wait_alu 0xfffe
	s_and_not1_saveexec_b32 s3, s3
	s_cbranch_execz .LBB25_103
; %bb.102:                              ;   in Loop: Header=BB25_12 Depth=1
	v_mul_f32_e32 v43, v3, v3
	s_delay_alu instid0(VALU_DEP_1) | instskip(NEXT) | instid1(VALU_DEP_1)
	v_fmaak_f32 v44, s41, v43, 0x3ca908c9
	v_fmaak_f32 v44, v43, v44, 0xbd5c1c4e
	s_delay_alu instid0(VALU_DEP_1) | instskip(NEXT) | instid1(VALU_DEP_1)
	v_fmaak_f32 v44, v43, v44, 0x3e088382
	v_fmaak_f32 v44, v43, v44, 0xbeaaaa99
	s_delay_alu instid0(VALU_DEP_1) | instskip(NEXT) | instid1(VALU_DEP_1)
	v_mul_f32_e64 v44, |v3|, v44
	v_fma_f32 v43, v43, v44, |v3|
.LBB25_103:                             ;   in Loop: Header=BB25_12 Depth=1
	s_wait_alu 0xfffe
	s_or_b32 exec_lo, exec_lo, s3
	v_cmp_ngt_f32_e64 s3, 0x3f200000, |v4|
                                        ; implicit-def: $vgpr44
	s_and_saveexec_b32 s6, s3
	s_wait_alu 0xfffe
	s_xor_b32 s3, exec_lo, s6
	s_cbranch_execz .LBB25_105
; %bb.104:                              ;   in Loop: Header=BB25_12 Depth=1
	v_add_f32_e64 v44, |v4|, |v4|
	s_delay_alu instid0(VALU_DEP_1) | instskip(SKIP_1) | instid1(VALU_DEP_2)
	v_mul_f32_e32 v45, 0x3fb8aa3b, v44
	v_cmp_ngt_f32_e32 vcc_lo, 0xc2ce8ed0, v44
	v_rndne_f32_e32 v46, v45
	v_fma_f32 v47, 0x3fb8aa3b, v44, -v45
	s_delay_alu instid0(VALU_DEP_2) | instskip(NEXT) | instid1(VALU_DEP_2)
	v_sub_f32_e32 v45, v45, v46
	v_fmac_f32_e32 v47, 0x32a5705f, v44
	v_cvt_i32_f32_e32 v46, v46
	s_delay_alu instid0(VALU_DEP_2) | instskip(NEXT) | instid1(VALU_DEP_1)
	v_add_f32_e32 v45, v45, v47
	v_exp_f32_e32 v45, v45
	s_delay_alu instid0(TRANS32_DEP_1) | instskip(SKIP_1) | instid1(VALU_DEP_1)
	v_ldexp_f32 v45, v45, v46
	s_wait_alu 0xfffd
	v_cndmask_b32_e32 v45, 0, v45, vcc_lo
	v_cmp_nlt_f32_e32 vcc_lo, 0x42b17218, v44
	s_wait_alu 0xfffd
	s_delay_alu instid0(VALU_DEP_2) | instskip(NEXT) | instid1(VALU_DEP_1)
	v_cndmask_b32_e32 v44, 0x7f800000, v45, vcc_lo
	v_add_f32_e32 v44, 1.0, v44
	s_delay_alu instid0(VALU_DEP_1) | instskip(NEXT) | instid1(TRANS32_DEP_1)
	v_rcp_f32_e32 v44, v44
	v_fma_f32 v44, v44, -2.0, 1.0
.LBB25_105:                             ;   in Loop: Header=BB25_12 Depth=1
	s_wait_alu 0xfffe
	s_and_not1_saveexec_b32 s3, s3
	s_cbranch_execz .LBB25_107
; %bb.106:                              ;   in Loop: Header=BB25_12 Depth=1
	v_mul_f32_e32 v44, v4, v4
	s_delay_alu instid0(VALU_DEP_1) | instskip(NEXT) | instid1(VALU_DEP_1)
	v_fmaak_f32 v45, s41, v44, 0x3ca908c9
	v_fmaak_f32 v45, v44, v45, 0xbd5c1c4e
	s_delay_alu instid0(VALU_DEP_1) | instskip(NEXT) | instid1(VALU_DEP_1)
	v_fmaak_f32 v45, v44, v45, 0x3e088382
	v_fmaak_f32 v45, v44, v45, 0xbeaaaa99
	s_delay_alu instid0(VALU_DEP_1) | instskip(NEXT) | instid1(VALU_DEP_1)
	v_mul_f32_e64 v45, |v4|, v45
	v_fma_f32 v44, v44, v45, |v4|
.LBB25_107:                             ;   in Loop: Header=BB25_12 Depth=1
	s_wait_alu 0xfffe
	s_or_b32 exec_lo, exec_lo, s3
	v_cmp_ngt_f32_e64 s3, 0x3f200000, |v5|
                                        ; implicit-def: $vgpr45
	s_and_saveexec_b32 s6, s3
	s_wait_alu 0xfffe
	s_xor_b32 s3, exec_lo, s6
	s_cbranch_execz .LBB25_109
; %bb.108:                              ;   in Loop: Header=BB25_12 Depth=1
	v_add_f32_e64 v45, |v5|, |v5|
	s_delay_alu instid0(VALU_DEP_1) | instskip(SKIP_1) | instid1(VALU_DEP_2)
	v_mul_f32_e32 v46, 0x3fb8aa3b, v45
	v_cmp_ngt_f32_e32 vcc_lo, 0xc2ce8ed0, v45
	v_rndne_f32_e32 v47, v46
	v_fma_f32 v48, 0x3fb8aa3b, v45, -v46
	s_delay_alu instid0(VALU_DEP_2) | instskip(NEXT) | instid1(VALU_DEP_2)
	v_sub_f32_e32 v46, v46, v47
	v_fmac_f32_e32 v48, 0x32a5705f, v45
	v_cvt_i32_f32_e32 v47, v47
	s_delay_alu instid0(VALU_DEP_2) | instskip(NEXT) | instid1(VALU_DEP_1)
	v_add_f32_e32 v46, v46, v48
	v_exp_f32_e32 v46, v46
	s_delay_alu instid0(TRANS32_DEP_1) | instskip(SKIP_1) | instid1(VALU_DEP_1)
	v_ldexp_f32 v46, v46, v47
	s_wait_alu 0xfffd
	v_cndmask_b32_e32 v46, 0, v46, vcc_lo
	v_cmp_nlt_f32_e32 vcc_lo, 0x42b17218, v45
	s_wait_alu 0xfffd
	s_delay_alu instid0(VALU_DEP_2) | instskip(NEXT) | instid1(VALU_DEP_1)
	v_cndmask_b32_e32 v45, 0x7f800000, v46, vcc_lo
	v_add_f32_e32 v45, 1.0, v45
	s_delay_alu instid0(VALU_DEP_1) | instskip(NEXT) | instid1(TRANS32_DEP_1)
	v_rcp_f32_e32 v45, v45
	v_fma_f32 v45, v45, -2.0, 1.0
.LBB25_109:                             ;   in Loop: Header=BB25_12 Depth=1
	s_wait_alu 0xfffe
	s_and_not1_saveexec_b32 s3, s3
	s_cbranch_execz .LBB25_111
; %bb.110:                              ;   in Loop: Header=BB25_12 Depth=1
	v_mul_f32_e32 v45, v5, v5
	s_delay_alu instid0(VALU_DEP_1) | instskip(NEXT) | instid1(VALU_DEP_1)
	v_fmaak_f32 v46, s41, v45, 0x3ca908c9
	v_fmaak_f32 v46, v45, v46, 0xbd5c1c4e
	s_delay_alu instid0(VALU_DEP_1) | instskip(NEXT) | instid1(VALU_DEP_1)
	v_fmaak_f32 v46, v45, v46, 0x3e088382
	v_fmaak_f32 v46, v45, v46, 0xbeaaaa99
	s_delay_alu instid0(VALU_DEP_1) | instskip(NEXT) | instid1(VALU_DEP_1)
	v_mul_f32_e64 v46, |v5|, v46
	v_fma_f32 v45, v45, v46, |v5|
.LBB25_111:                             ;   in Loop: Header=BB25_12 Depth=1
	s_wait_alu 0xfffe
	s_or_b32 exec_lo, exec_lo, s3
	v_cmp_ngt_f32_e64 s3, 0x3f200000, |v6|
                                        ; implicit-def: $vgpr46
	s_and_saveexec_b32 s6, s3
	s_wait_alu 0xfffe
	s_xor_b32 s3, exec_lo, s6
	s_cbranch_execz .LBB25_113
; %bb.112:                              ;   in Loop: Header=BB25_12 Depth=1
	v_add_f32_e64 v46, |v6|, |v6|
	s_delay_alu instid0(VALU_DEP_1) | instskip(SKIP_1) | instid1(VALU_DEP_2)
	v_mul_f32_e32 v47, 0x3fb8aa3b, v46
	v_cmp_ngt_f32_e32 vcc_lo, 0xc2ce8ed0, v46
	v_rndne_f32_e32 v48, v47
	v_fma_f32 v49, 0x3fb8aa3b, v46, -v47
	s_delay_alu instid0(VALU_DEP_2) | instskip(NEXT) | instid1(VALU_DEP_2)
	v_sub_f32_e32 v47, v47, v48
	v_fmac_f32_e32 v49, 0x32a5705f, v46
	v_cvt_i32_f32_e32 v48, v48
	s_delay_alu instid0(VALU_DEP_2) | instskip(NEXT) | instid1(VALU_DEP_1)
	v_add_f32_e32 v47, v47, v49
	v_exp_f32_e32 v47, v47
	s_delay_alu instid0(TRANS32_DEP_1) | instskip(SKIP_1) | instid1(VALU_DEP_1)
	v_ldexp_f32 v47, v47, v48
	s_wait_alu 0xfffd
	v_cndmask_b32_e32 v47, 0, v47, vcc_lo
	v_cmp_nlt_f32_e32 vcc_lo, 0x42b17218, v46
	s_wait_alu 0xfffd
	s_delay_alu instid0(VALU_DEP_2) | instskip(NEXT) | instid1(VALU_DEP_1)
	v_cndmask_b32_e32 v46, 0x7f800000, v47, vcc_lo
	v_add_f32_e32 v46, 1.0, v46
	s_delay_alu instid0(VALU_DEP_1) | instskip(NEXT) | instid1(TRANS32_DEP_1)
	v_rcp_f32_e32 v46, v46
	v_fma_f32 v46, v46, -2.0, 1.0
.LBB25_113:                             ;   in Loop: Header=BB25_12 Depth=1
	s_wait_alu 0xfffe
	s_and_not1_saveexec_b32 s3, s3
	s_cbranch_execz .LBB25_115
; %bb.114:                              ;   in Loop: Header=BB25_12 Depth=1
	v_mul_f32_e32 v46, v6, v6
	s_delay_alu instid0(VALU_DEP_1) | instskip(NEXT) | instid1(VALU_DEP_1)
	v_fmaak_f32 v47, s41, v46, 0x3ca908c9
	v_fmaak_f32 v47, v46, v47, 0xbd5c1c4e
	s_delay_alu instid0(VALU_DEP_1) | instskip(NEXT) | instid1(VALU_DEP_1)
	v_fmaak_f32 v47, v46, v47, 0x3e088382
	v_fmaak_f32 v47, v46, v47, 0xbeaaaa99
	s_delay_alu instid0(VALU_DEP_1) | instskip(NEXT) | instid1(VALU_DEP_1)
	v_mul_f32_e64 v47, |v6|, v47
	v_fma_f32 v46, v46, v47, |v6|
.LBB25_115:                             ;   in Loop: Header=BB25_12 Depth=1
	s_wait_alu 0xfffe
	s_or_b32 exec_lo, exec_lo, s3
	v_cmp_ngt_f32_e64 s3, 0x3f200000, |v7|
                                        ; implicit-def: $vgpr47
	s_and_saveexec_b32 s6, s3
	s_wait_alu 0xfffe
	s_xor_b32 s3, exec_lo, s6
	s_cbranch_execz .LBB25_117
; %bb.116:                              ;   in Loop: Header=BB25_12 Depth=1
	v_add_f32_e64 v47, |v7|, |v7|
	s_delay_alu instid0(VALU_DEP_1) | instskip(SKIP_1) | instid1(VALU_DEP_2)
	v_mul_f32_e32 v48, 0x3fb8aa3b, v47
	v_cmp_ngt_f32_e32 vcc_lo, 0xc2ce8ed0, v47
	v_rndne_f32_e32 v49, v48
	v_fma_f32 v50, 0x3fb8aa3b, v47, -v48
	s_delay_alu instid0(VALU_DEP_2) | instskip(NEXT) | instid1(VALU_DEP_2)
	v_sub_f32_e32 v48, v48, v49
	v_fmac_f32_e32 v50, 0x32a5705f, v47
	v_cvt_i32_f32_e32 v49, v49
	s_delay_alu instid0(VALU_DEP_2) | instskip(NEXT) | instid1(VALU_DEP_1)
	v_add_f32_e32 v48, v48, v50
	v_exp_f32_e32 v48, v48
	s_delay_alu instid0(TRANS32_DEP_1) | instskip(SKIP_1) | instid1(VALU_DEP_1)
	v_ldexp_f32 v48, v48, v49
	s_wait_alu 0xfffd
	v_cndmask_b32_e32 v48, 0, v48, vcc_lo
	v_cmp_nlt_f32_e32 vcc_lo, 0x42b17218, v47
	s_wait_alu 0xfffd
	s_delay_alu instid0(VALU_DEP_2) | instskip(NEXT) | instid1(VALU_DEP_1)
	v_cndmask_b32_e32 v47, 0x7f800000, v48, vcc_lo
	v_add_f32_e32 v47, 1.0, v47
	s_delay_alu instid0(VALU_DEP_1) | instskip(NEXT) | instid1(TRANS32_DEP_1)
	v_rcp_f32_e32 v47, v47
	v_fma_f32 v47, v47, -2.0, 1.0
.LBB25_117:                             ;   in Loop: Header=BB25_12 Depth=1
	s_wait_alu 0xfffe
	s_and_not1_saveexec_b32 s3, s3
	s_cbranch_execz .LBB25_119
; %bb.118:                              ;   in Loop: Header=BB25_12 Depth=1
	v_mul_f32_e32 v47, v7, v7
	s_delay_alu instid0(VALU_DEP_1) | instskip(NEXT) | instid1(VALU_DEP_1)
	v_fmaak_f32 v48, s41, v47, 0x3ca908c9
	v_fmaak_f32 v48, v47, v48, 0xbd5c1c4e
	s_delay_alu instid0(VALU_DEP_1) | instskip(NEXT) | instid1(VALU_DEP_1)
	v_fmaak_f32 v48, v47, v48, 0x3e088382
	v_fmaak_f32 v48, v47, v48, 0xbeaaaa99
	s_delay_alu instid0(VALU_DEP_1) | instskip(NEXT) | instid1(VALU_DEP_1)
	v_mul_f32_e64 v48, |v7|, v48
	v_fma_f32 v47, v47, v48, |v7|
.LBB25_119:                             ;   in Loop: Header=BB25_12 Depth=1
	s_wait_alu 0xfffe
	s_or_b32 exec_lo, exec_lo, s3
	v_bfi_b32 v40, 0x7fffffff, v40, v0
	v_add_nc_u32_e32 v0, 0x2200, v138
	v_bfi_b32 v42, 0x7fffffff, v42, v2
	v_add_nc_u32_e32 v2, 0x2208, v138
	v_bfi_b32 v41, 0x7fffffff, v41, v1
	v_bfi_b32 v43, 0x7fffffff, v43, v3
	ds_load_2addr_b32 v[0:1], v0 offset1:1
	ds_load_2addr_b32 v[2:3], v2 offset1:1
	v_bfi_b32 v6, 0x7fffffff, v46, v6
	v_bfi_b32 v7, 0x7fffffff, v47, v7
	v_bfi_b32 v4, 0x7fffffff, v44, v4
	v_bfi_b32 v5, 0x7fffffff, v45, v5
	s_mul_u64 s[4:5], s[4:5], s[26:27]
	v_add_nc_u32_e32 v58, 0x400, v140
	s_wait_alu 0xfffe
	s_lshl_b64 s[4:5], s[4:5], 2
	s_cmp_eq_u64 s[74:75], 0
	s_wait_alu 0xfffe
	s_add_nc_u64 s[4:5], s[76:77], s[4:5]
	s_wait_dscnt 0x1
	v_fma_mix_f32 v46, s33, v40, v0 op_sel_hi:[0,0,1]
	v_fma_mix_f32 v47, s33, v41, v0 op_sel:[0,0,1] op_sel_hi:[0,0,1]
	v_fma_mix_f32 v48, s33, v42, v1 op_sel_hi:[0,0,1]
	v_fma_mix_f32 v49, s33, v43, v1 op_sel:[0,0,1] op_sel_hi:[0,0,1]
	s_wait_dscnt 0x0
	v_fma_mix_f32 v108, s33, v4, v2 op_sel_hi:[0,0,1]
	v_dual_add_f32 v0, 0x40051340, v46 :: v_dual_add_f32 v1, 0x40051340, v47
	v_fma_mix_f32 v109, s33, v5, v2 op_sel:[0,0,1] op_sel_hi:[0,0,1]
	v_add_f32_e32 v2, 0x40051340, v49
	v_fma_mix_f32 v110, s33, v6, v3 op_sel_hi:[0,0,1]
	v_fma_mix_f32 v111, s33, v7, v3 op_sel:[0,0,1] op_sel_hi:[0,0,1]
	v_max3_num_f32 v0, v153, v0, v1
	v_add_f32_e32 v1, 0x40051340, v48
	s_delay_alu instid0(VALU_DEP_1) | instskip(SKIP_1) | instid1(VALU_DEP_1)
	v_max3_num_f32 v0, v0, v1, v2
	v_dual_add_f32 v1, 0x40051340, v108 :: v_dual_add_f32 v2, 0x40051340, v109
	v_max3_num_f32 v0, v0, v1, v2
	v_dual_add_f32 v1, 0x40051340, v110 :: v_dual_add_f32 v2, 0x40051340, v111
	s_delay_alu instid0(VALU_DEP_1) | instskip(SKIP_1) | instid1(VALU_DEP_1)
	v_max3_num_f32 v0, v0, v1, v2
	v_xor_b32_e32 v1, 16, v124
	v_cmp_gt_i32_e32 vcc_lo, 32, v1
	s_wait_alu 0xfffd
	v_cndmask_b32_e32 v1, v124, v1, vcc_lo
	s_delay_alu instid0(VALU_DEP_1) | instskip(SKIP_3) | instid1(VALU_DEP_1)
	v_lshlrev_b32_e32 v44, 2, v1
	ds_bpermute_b32 v1, v44, v0
	s_wait_dscnt 0x0
	v_max_num_f32_e32 v1, v1, v1
	v_max_num_f32_e32 v45, v0, v1
	s_delay_alu instid0(VALU_DEP_1) | instskip(NEXT) | instid1(VALU_DEP_1)
	v_sub_f32_e32 v0, v153, v45
	v_mul_f32_e32 v1, 0x3fb8aa3b, v0
	v_cmp_ngt_f32_e32 vcc_lo, 0xc2ce8ed0, v0
	s_delay_alu instid0(VALU_DEP_2) | instskip(SKIP_1) | instid1(VALU_DEP_1)
	v_fma_f32 v2, 0x3fb8aa3b, v0, -v1
	v_rndne_f32_e32 v3, v1
	v_dual_fmac_f32 v2, 0x32a5705f, v0 :: v_dual_sub_f32 v1, v1, v3
	v_sub_f32_e32 v111, v111, v45
	v_sub_f32_e32 v47, v47, v45
	;; [unrolled: 1-line block ×3, first 2 shown]
	s_delay_alu instid0(VALU_DEP_4) | instskip(SKIP_2) | instid1(VALU_DEP_3)
	v_dual_sub_f32 v48, v48, v45 :: v_dual_add_f32 v1, v1, v2
	v_cvt_i32_f32_e32 v2, v3
	v_sub_f32_e32 v49, v49, v45
	v_exp_f32_e32 v1, v1
	s_delay_alu instid0(TRANS32_DEP_1) | instskip(SKIP_1) | instid1(VALU_DEP_1)
	v_ldexp_f32 v1, v1, v2
	s_wait_alu 0xfffd
	v_cndmask_b32_e32 v1, 0, v1, vcc_lo
	v_cmp_nlt_f32_e32 vcc_lo, 0x42b17218, v0
	s_wait_alu 0xfffd
	s_delay_alu instid0(VALU_DEP_2) | instskip(SKIP_2) | instid1(VALU_DEP_2)
	v_cndmask_b32_e32 v1, 0x7f800000, v1, vcc_lo
	v_cmp_le_f32_e32 vcc_lo, 0xc1a00000, v0
	s_wait_alu 0xfffd
	v_cndmask_b32_e32 v112, 0, v1, vcc_lo
	s_delay_alu instid0(VALU_DEP_1) | instskip(NEXT) | instid1(VALU_DEP_1)
	v_cvt_f16_f32_e32 v0, v112
	v_and_b32_e32 v0, 0xffff, v0
	s_delay_alu instid0(VALU_DEP_1) | instskip(NEXT) | instid1(VALU_DEP_1)
	v_mul_u32_u24_e32 v50, 0x10001, v0
	v_pk_mul_f16 v0, v8, v50
	v_pk_mul_f16 v8, v12, v50
	s_wait_alu 0xfffe
	v_add_co_u32 v12, vcc_lo, s4, v75
	v_pk_mul_f16 v1, v9, v50
	v_pk_mul_f16 v9, v13, v50
	s_wait_alu 0xfffd
	v_add_co_ci_u32_e64 v13, null, s5, v76, vcc_lo
	v_add_co_u32 v12, vcc_lo, v12, v189
	v_pk_mul_f16 v2, v10, v50
	v_pk_mul_f16 v10, v14, v50
	s_wait_alu 0xfffd
	v_add_co_ci_u32_e64 v13, null, 0, v13, vcc_lo
	;; [unrolled: 5-line block ×3, first 2 shown]
	v_pk_mul_f16 v4, v20, v50
	v_add_co_u32 v20, vcc_lo, v14, v189
	v_pk_mul_f16 v5, v21, v50
	s_wait_alu 0xfffd
	v_add_co_ci_u32_e64 v21, null, 0, v15, vcc_lo
	v_pk_mul_f16 v6, v22, v50
	v_pk_mul_f16 v7, v23, v50
	s_clause 0x1
	global_load_b128 v[12:15], v[12:13], off
	global_load_b128 v[20:23], v[20:21], off
	v_pk_mul_f16 v36, v36, v50
	v_pk_mul_f16 v37, v37, v50
	;; [unrolled: 1-line block ×20, first 2 shown]
	s_wait_loadcnt 0x1
	ds_store_b128 v136, v[12:15]
	s_wait_loadcnt 0x0
	ds_store_b128 v194, v[20:23]
	v_add_co_u32 v12, vcc_lo, s4, v79
	s_wait_alu 0xfffd
	v_add_co_ci_u32_e64 v13, null, s5, v80, vcc_lo
	s_delay_alu instid0(VALU_DEP_2) | instskip(SKIP_1) | instid1(VALU_DEP_2)
	v_add_co_u32 v12, vcc_lo, v12, v189
	s_wait_alu 0xfffd
	v_add_co_ci_u32_e64 v13, null, 0, v13, vcc_lo
	v_add_co_u32 v14, vcc_lo, s4, v81
	s_wait_alu 0xfffd
	v_add_co_ci_u32_e64 v15, null, s5, v82, vcc_lo
	s_delay_alu instid0(VALU_DEP_2) | instskip(SKIP_1) | instid1(VALU_DEP_2)
	v_add_co_u32 v20, vcc_lo, v14, v189
	s_wait_alu 0xfffd
	v_add_co_ci_u32_e64 v21, null, 0, v15, vcc_lo
	s_clause 0x1
	global_load_b128 v[12:15], v[12:13], off
	global_load_b128 v[20:23], v[20:21], off
	s_wait_loadcnt 0x1
	ds_store_b128 v195, v[12:15]
	s_wait_loadcnt 0x0
	ds_store_b128 v196, v[20:23]
	v_add_co_u32 v12, vcc_lo, s4, v83
	s_wait_alu 0xfffd
	v_add_co_ci_u32_e64 v13, null, s5, v84, vcc_lo
	s_delay_alu instid0(VALU_DEP_2) | instskip(SKIP_1) | instid1(VALU_DEP_2)
	v_add_co_u32 v12, vcc_lo, v12, v189
	s_wait_alu 0xfffd
	v_add_co_ci_u32_e64 v13, null, 0, v13, vcc_lo
	v_add_co_u32 v14, vcc_lo, s4, v85
	s_wait_alu 0xfffd
	v_add_co_ci_u32_e64 v15, null, s5, v86, vcc_lo
	s_delay_alu instid0(VALU_DEP_2) | instskip(SKIP_1) | instid1(VALU_DEP_2)
	v_add_co_u32 v20, vcc_lo, v14, v189
	s_wait_alu 0xfffd
	v_add_co_ci_u32_e64 v21, null, 0, v15, vcc_lo
	s_clause 0x1
	global_load_b128 v[12:15], v[12:13], off
	global_load_b128 v[20:23], v[20:21], off
	s_wait_loadcnt 0x1
	ds_store_b128 v197, v[12:15]
	s_wait_loadcnt 0x0
	ds_store_b128 v198, v[20:23]
	v_add_co_u32 v12, vcc_lo, s4, v87
	s_wait_alu 0xfffd
	v_add_co_ci_u32_e64 v13, null, s5, v88, vcc_lo
	s_delay_alu instid0(VALU_DEP_2) | instskip(SKIP_1) | instid1(VALU_DEP_2)
	v_add_co_u32 v12, vcc_lo, v12, v189
	s_wait_alu 0xfffd
	v_add_co_ci_u32_e64 v13, null, 0, v13, vcc_lo
	v_add_co_u32 v14, vcc_lo, s4, v89
	s_wait_alu 0xfffd
	v_add_co_ci_u32_e64 v15, null, s5, v90, vcc_lo
	v_cmp_ngt_f32_e64 s4, 0xc2ce8ed0, v111
	s_delay_alu instid0(VALU_DEP_3) | instskip(SKIP_1) | instid1(VALU_DEP_3)
	v_add_co_u32 v20, vcc_lo, v14, v189
	s_wait_alu 0xfffd
	v_add_co_ci_u32_e64 v21, null, 0, v15, vcc_lo
	s_clause 0x1
	global_load_b128 v[12:15], v[12:13], off
	global_load_b128 v[20:23], v[20:21], off
	s_wait_loadcnt 0x1
	ds_store_b128 v200, v[12:15]
	s_wait_loadcnt 0x0
	ds_store_b128 v201, v[20:23]
	s_wait_dscnt 0x0
	s_barrier_signal -1
	s_barrier_wait -1
	global_inv scope:SCOPE_SE
	ds_load_2addr_b32 v[12:13], v58 offset0:16 offset1:32
	ds_load_2addr_b32 v[20:21], v58 offset0:84 offset1:100
	ds_load_2addr_b32 v[32:33], v141 offset1:16
	ds_load_2addr_b32 v[50:51], v142 offset1:16
	s_wait_dscnt 0x2
	v_perm_b32 v34, v21, v13, 0x7060302
	v_perm_b32 v52, v21, v13, 0x5040100
	s_wait_dscnt 0x0
	v_perm_b32 v15, v50, v32, 0x7060302
	v_perm_b32 v23, v50, v32, 0x5040100
	;; [unrolled: 1-line block ×4, first 2 shown]
	ds_load_2addr_b32 v[50:51], v140 offset0:136 offset1:152
	ds_load_2addr_b32 v[54:55], v140 offset0:204 offset1:220
	v_perm_b32 v14, v20, v12, 0x7060302
	v_perm_b32 v22, v20, v12, 0x5040100
	s_wait_dscnt 0x0
	v_perm_b32 v13, v54, v50, 0x7060302
	v_perm_b32 v21, v54, v50, 0x5040100
	;; [unrolled: 1-line block ×4, first 2 shown]
	ds_load_2addr_b32 v[54:55], v140 offset1:16
	ds_load_2addr_b32 v[56:57], v140 offset0:68 offset1:84
	s_wait_dscnt 0x0
	v_perm_b32 v12, v56, v54, 0x7060302
	v_perm_b32 v20, v56, v54, 0x5040100
	;; [unrolled: 1-line block ×4, first 2 shown]
	ds_load_2addr_b32 v[54:55], v58 offset0:48 offset1:64
	ds_load_2addr_b32 v[58:59], v58 offset0:116 offset1:132
	;; [unrolled: 1-line block ×4, first 2 shown]
	s_wait_dscnt 0x2
	v_perm_b32 v64, v59, v55, 0x7060302
	v_perm_b32 v68, v59, v55, 0x5040100
	s_wait_dscnt 0x0
	v_perm_b32 v57, v65, v61, 0x7060302
	v_perm_b32 v61, v65, v61, 0x5040100
	;; [unrolled: 1-line block ×4, first 2 shown]
	ds_load_2addr_b32 v[66:67], v140 offset0:168 offset1:184
	ds_load_2addr_b32 v[70:71], v140 offset0:236 offset1:252
	v_perm_b32 v56, v58, v54, 0x7060302
	v_perm_b32 v60, v58, v54, 0x5040100
	s_wait_dscnt 0x0
	v_perm_b32 v55, v70, v66, 0x7060302
	v_perm_b32 v59, v70, v66, 0x5040100
	;; [unrolled: 1-line block ×4, first 2 shown]
	ds_load_2addr_b32 v[70:71], v140 offset0:32 offset1:48
	ds_load_2addr_b32 v[73:74], v140 offset0:100 offset1:116
	s_wait_loadcnt_dscnt 0x0
	s_barrier_signal -1
	s_barrier_wait -1
	global_inv scope:SCOPE_SE
	v_perm_b32 v54, v73, v70, 0x7060302
	v_perm_b32 v58, v73, v70, 0x5040100
	v_sub_f32_e32 v70, v108, v45
	v_perm_b32 v62, v74, v71, 0x7060302
	v_perm_b32 v66, v74, v71, 0x5040100
	s_delay_alu instid0(VALU_DEP_3) | instskip(NEXT) | instid1(VALU_DEP_1)
	v_mul_f32_e32 v71, 0x3fb8aa3b, v70
	v_fma_f32 v73, 0x3fb8aa3b, v70, -v71
	v_rndne_f32_e32 v74, v71
	s_delay_alu instid0(VALU_DEP_1) | instskip(NEXT) | instid1(VALU_DEP_3)
	v_sub_f32_e32 v71, v71, v74
	v_fmac_f32_e32 v73, 0x32a5705f, v70
	v_cvt_i32_f32_e32 v74, v74
	v_cmp_ngt_f32_e64 s5, 0xc2ce8ed0, v70
	s_delay_alu instid0(VALU_DEP_3) | instskip(SKIP_1) | instid1(VALU_DEP_2)
	v_add_f32_e32 v71, v71, v73
	v_sub_f32_e32 v73, v109, v45
	v_exp_f32_e32 v71, v71
	s_delay_alu instid0(VALU_DEP_1) | instskip(SKIP_1) | instid1(VALU_DEP_2)
	v_mul_f32_e32 v108, 0x3fb8aa3b, v73
	v_cmp_ngt_f32_e32 vcc_lo, 0xc2ce8ed0, v73
	v_fma_f32 v109, 0x3fb8aa3b, v73, -v108
	v_rndne_f32_e32 v113, v108
	s_delay_alu instid0(TRANS32_DEP_1) | instskip(NEXT) | instid1(VALU_DEP_3)
	v_ldexp_f32 v71, v71, v74
	v_fmac_f32_e32 v109, 0x32a5705f, v73
	s_delay_alu instid0(VALU_DEP_3) | instskip(SKIP_1) | instid1(VALU_DEP_3)
	v_sub_f32_e32 v108, v108, v113
	s_wait_alu 0xf1ff
	v_cndmask_b32_e64 v71, 0, v71, s5
	v_cmp_nlt_f32_e64 s5, 0x42b17218, v70
	s_delay_alu instid0(VALU_DEP_3) | instskip(SKIP_2) | instid1(VALU_DEP_3)
	v_add_f32_e32 v108, v108, v109
	v_sub_f32_e32 v109, v110, v45
	s_wait_alu 0xf1ff
	v_cndmask_b32_e64 v70, 0x7f800000, v71, s5
	s_delay_alu instid0(VALU_DEP_2) | instskip(SKIP_1) | instid1(VALU_DEP_2)
	v_mul_f32_e32 v110, 0x3fb8aa3b, v109
	v_cmp_ngt_f32_e64 s3, 0xc2ce8ed0, v109
	v_fma_f32 v117, 0x3fb8aa3b, v109, -v110
	v_rndne_f32_e32 v118, v110
	s_delay_alu instid0(VALU_DEP_1) | instskip(NEXT) | instid1(VALU_DEP_1)
	v_dual_fmac_f32 v117, 0x32a5705f, v109 :: v_dual_sub_f32 v110, v110, v118
	v_dual_add_f32 v110, v110, v117 :: v_dual_mul_f32 v117, 0x3fb8aa3b, v111
	s_delay_alu instid0(VALU_DEP_1) | instskip(SKIP_1) | instid1(VALU_DEP_2)
	v_rndne_f32_e32 v120, v117
	v_fma_f32 v119, 0x3fb8aa3b, v111, -v117
	v_sub_f32_e32 v117, v117, v120
	v_exp_f32_e32 v74, v108
	v_cvt_i32_f32_e32 v108, v113
	s_delay_alu instid0(VALU_DEP_3) | instskip(SKIP_1) | instid1(VALU_DEP_2)
	v_fmac_f32_e32 v119, 0x32a5705f, v111
	v_cvt_i32_f32_e32 v113, v120
	v_add_f32_e32 v117, v117, v119
	s_delay_alu instid0(TRANS32_DEP_1) | instid1(VALU_DEP_4)
	v_ldexp_f32 v74, v74, v108
	v_exp_f32_e32 v108, v110
	v_cvt_i32_f32_e32 v110, v118
	s_wait_alu 0xfffd
	s_delay_alu instid0(VALU_DEP_2)
	v_cndmask_b32_e32 v74, 0, v74, vcc_lo
	v_cmp_nlt_f32_e32 vcc_lo, 0x42b17218, v73
	s_delay_alu instid0(TRANS32_DEP_1) | instid1(VALU_DEP_3)
	v_ldexp_f32 v108, v108, v110
	v_exp_f32_e32 v110, v117
	s_wait_alu 0xfffd
	v_cndmask_b32_e32 v74, 0x7f800000, v74, vcc_lo
	v_cmp_ngt_f32_e32 vcc_lo, 0xc2ce8ed0, v49
	s_wait_alu 0xf1ff
	v_cndmask_b32_e64 v73, 0, v108, s3
	v_cmp_nlt_f32_e64 s3, 0x42b17218, v109
	s_delay_alu instid0(TRANS32_DEP_1) | instskip(SKIP_1) | instid1(VALU_DEP_2)
	v_ldexp_f32 v110, v110, v113
	s_wait_alu 0xf1ff
	v_cndmask_b32_e64 v71, 0x7f800000, v73, s3
	v_cvt_f16_f32_e32 v113, v74
	v_cmp_ngt_f32_e64 s3, 0xc2ce8ed0, v48
	v_cndmask_b32_e64 v108, 0, v110, s4
	v_cmp_nlt_f32_e64 s4, 0x42b17218, v111
	v_cvt_f16_f32_e32 v109, v71
	s_wait_alu 0xf1ff
	s_delay_alu instid0(VALU_DEP_2) | instskip(SKIP_1) | instid1(VALU_DEP_2)
	v_cndmask_b32_e64 v73, 0x7f800000, v108, s4
	v_cvt_f16_f32_e32 v108, v70
	v_cvt_f16_f32_e32 v110, v73
	s_delay_alu instid0(VALU_DEP_1) | instskip(NEXT) | instid1(VALU_DEP_3)
	v_perm_b32 v111, v110, v109, 0x5040100
	v_perm_b32 v110, v113, v108, 0x5040100
	v_mul_f32_e32 v108, 0x3fb8aa3b, v49
	s_delay_alu instid0(VALU_DEP_1) | instskip(SKIP_1) | instid1(VALU_DEP_2)
	v_fma_f32 v109, 0x3fb8aa3b, v49, -v108
	v_rndne_f32_e32 v113, v108
	v_fmac_f32_e32 v109, 0x32a5705f, v49
	s_delay_alu instid0(VALU_DEP_2) | instskip(SKIP_1) | instid1(VALU_DEP_2)
	v_sub_f32_e32 v108, v108, v113
	v_cvt_i32_f32_e32 v113, v113
	v_dual_add_f32 v108, v108, v109 :: v_dual_mul_f32 v109, 0x3fb8aa3b, v48
	s_delay_alu instid0(VALU_DEP_1) | instskip(NEXT) | instid1(VALU_DEP_1)
	v_exp_f32_e32 v108, v108
	v_fma_f32 v117, 0x3fb8aa3b, v48, -v109
	v_rndne_f32_e32 v118, v109
	s_delay_alu instid0(VALU_DEP_2) | instskip(NEXT) | instid1(VALU_DEP_2)
	v_fmac_f32_e32 v117, 0x32a5705f, v48
	v_sub_f32_e32 v109, v109, v118
	s_delay_alu instid0(TRANS32_DEP_1) | instskip(SKIP_2) | instid1(VALU_DEP_2)
	v_ldexp_f32 v108, v108, v113
	v_cvt_i32_f32_e32 v113, v118
	s_wait_alu 0xfffd
	v_dual_add_f32 v109, v109, v117 :: v_dual_cndmask_b32 v108, 0, v108
	v_cmp_nlt_f32_e32 vcc_lo, 0x42b17218, v49
	s_delay_alu instid0(VALU_DEP_2) | instskip(NEXT) | instid1(TRANS32_DEP_1)
	v_exp_f32_e32 v109, v109
	v_ldexp_f32 v109, v109, v113
	s_delay_alu instid0(VALU_DEP_1) | instskip(SKIP_2) | instid1(VALU_DEP_1)
	v_cndmask_b32_e64 v49, 0, v109, s3
	v_cmp_nlt_f32_e64 s3, 0x42b17218, v48
	s_wait_alu 0xf1ff
	v_cndmask_b32_e64 v48, 0x7f800000, v49, s3
	s_wait_alu 0xfffd
	v_cndmask_b32_e32 v49, 0x7f800000, v108, vcc_lo
	v_cmp_ngt_f32_e32 vcc_lo, 0xc2ce8ed0, v47
	s_delay_alu instid0(VALU_DEP_3) | instskip(NEXT) | instid1(VALU_DEP_3)
	v_cvt_f16_f32_e32 v108, v48
	v_cvt_f16_f32_e32 v109, v49
	s_delay_alu instid0(VALU_DEP_1) | instskip(SKIP_1) | instid1(VALU_DEP_1)
	v_perm_b32 v109, v109, v108, 0x5040100
	v_mul_f32_e32 v108, 0x3fb8aa3b, v47
	v_fma_f32 v113, 0x3fb8aa3b, v47, -v108
	v_rndne_f32_e32 v117, v108
	s_delay_alu instid0(VALU_DEP_1) | instskip(SKIP_1) | instid1(VALU_DEP_2)
	v_dual_fmac_f32 v113, 0x32a5705f, v47 :: v_dual_sub_f32 v108, v108, v117
	v_cvt_i32_f32_e32 v117, v117
	v_dual_add_f32 v108, v108, v113 :: v_dual_mul_f32 v113, 0x3fb8aa3b, v46
	s_delay_alu instid0(VALU_DEP_1) | instskip(SKIP_1) | instid1(VALU_DEP_1)
	v_fma_f32 v118, 0x3fb8aa3b, v46, -v113
	v_rndne_f32_e32 v119, v113
	v_dual_fmac_f32 v118, 0x32a5705f, v46 :: v_dual_sub_f32 v113, v113, v119
	s_delay_alu instid0(VALU_DEP_4) | instskip(NEXT) | instid1(VALU_DEP_1)
	v_exp_f32_e32 v108, v108
	v_add_f32_e32 v113, v113, v118
	v_cmp_ngt_f32_e64 s3, 0xc2ce8ed0, v46
	s_delay_alu instid0(VALU_DEP_2) | instskip(NEXT) | instid1(TRANS32_DEP_2)
	v_exp_f32_e32 v113, v113
	v_ldexp_f32 v108, v108, v117
	v_cvt_i32_f32_e32 v117, v119
	s_wait_alu 0xfffd
	s_delay_alu instid0(VALU_DEP_2)
	v_cndmask_b32_e32 v108, 0, v108, vcc_lo
	v_cmp_nlt_f32_e32 vcc_lo, 0x42b17218, v47
	s_delay_alu instid0(TRANS32_DEP_1) | instid1(VALU_DEP_3)
	v_ldexp_f32 v113, v113, v117
	s_wait_alu 0xf1ff
	s_delay_alu instid0(VALU_DEP_1) | instskip(SKIP_2) | instid1(VALU_DEP_1)
	v_cndmask_b32_e64 v47, 0, v113, s3
	v_cmp_nlt_f32_e64 s3, 0x42b17218, v46
	s_wait_alu 0xf1ff
	v_cndmask_b32_e64 v46, 0x7f800000, v47, s3
	s_wait_alu 0xfffd
	v_cndmask_b32_e32 v47, 0x7f800000, v108, vcc_lo
	s_cselect_b32 s3, -1, 0
	s_xor_b32 s4, s0, -1
	v_cvt_f16_f32_e32 v108, v46
	s_delay_alu instid0(VALU_DEP_2) | instskip(SKIP_2) | instid1(VALU_DEP_1)
	v_cvt_f16_f32_e32 v113, v47
	s_wait_alu 0xfffe
	s_or_b32 s3, s4, s3
	v_perm_b32 v108, v113, v108, 0x5040100
	s_delay_alu instid0(VALU_DEP_1)
	v_wmma_f16_16x16x16_f16 v[40:43], v[12:15], v[108:111], v[40:43]
	v_add_f32_e32 v12, v46, v47
	v_wmma_f16_16x16x16_f16 v[36:39], v[20:23], v[108:111], v[36:39]
	v_wmma_f16_16x16x16_f16 v[28:31], v[50:53], v[108:111], v[28:31]
	;; [unrolled: 1-line block ×4, first 2 shown]
	v_add_f32_e32 v12, v48, v12
	v_wmma_f16_16x16x16_f16 v[16:19], v[54:57], v[108:111], v[16:19]
	v_wmma_f16_16x16x16_f16 v[0:3], v[66:69], v[108:111], v[0:3]
	;; [unrolled: 1-line block ×3, first 2 shown]
	s_delay_alu instid0(VALU_DEP_4) | instskip(NEXT) | instid1(VALU_DEP_1)
	v_add_f32_e32 v12, v49, v12
	v_add_f32_e32 v12, v70, v12
	s_delay_alu instid0(VALU_DEP_1) | instskip(NEXT) | instid1(VALU_DEP_1)
	v_add_f32_e32 v12, v74, v12
	v_add_f32_e32 v12, v71, v12
	s_delay_alu instid0(VALU_DEP_1) | instskip(NEXT) | instid1(VALU_DEP_1)
	v_add_f32_e32 v12, v73, v12
	v_fmac_f32_e32 v12, v114, v112
	ds_bpermute_b32 v13, v44, v12
	s_wait_alu 0xfffe
	s_and_saveexec_b32 s4, s3
	s_wait_alu 0xfffe
	s_xor_b32 s3, exec_lo, s4
	s_wait_alu 0xfffe
	s_or_saveexec_b32 s3, s3
	s_wait_dscnt 0x0
	v_add_f32_e32 v12, v12, v13
	s_wait_alu 0xfffe
	s_xor_b32 exec_lo, exec_lo, s3
	s_cbranch_execz .LBB25_121
; %bb.120:                              ;   in Loop: Header=BB25_12 Depth=1
	v_dual_max_num_f32 v14, v45, v45 :: v_dual_lshlrev_b32 v13, 2, v143
	global_load_b32 v13, v13, s[74:75]
	s_wait_loadcnt 0x0
	v_max_num_f32_e32 v15, v13, v13
	s_delay_alu instid0(VALU_DEP_1) | instskip(NEXT) | instid1(VALU_DEP_1)
	v_max_num_f32_e32 v14, v14, v15
	v_sub_f32_e32 v15, v45, v14
	s_delay_alu instid0(VALU_DEP_1) | instskip(NEXT) | instid1(VALU_DEP_1)
	v_dual_sub_f32 v13, v13, v14 :: v_dual_mul_f32 v20, 0x3fb8aa3b, v15
	v_fma_f32 v21, 0x3fb8aa3b, v15, -v20
	v_rndne_f32_e32 v22, v20
	s_delay_alu instid0(VALU_DEP_1) | instskip(SKIP_1) | instid1(VALU_DEP_2)
	v_dual_fmac_f32 v21, 0x32a5705f, v15 :: v_dual_sub_f32 v20, v20, v22
	v_cvt_i32_f32_e32 v22, v22
	v_add_f32_e32 v20, v20, v21
	v_cmp_ngt_f32_e32 vcc_lo, 0xc2ce8ed0, v15
	v_mul_f32_e32 v21, 0x3fb8aa3b, v13
	v_mov_b32_e32 v45, v14
	s_delay_alu instid0(VALU_DEP_4) | instskip(NEXT) | instid1(VALU_DEP_2)
	v_exp_f32_e32 v20, v20
	v_fma_f32 v23, 0x3fb8aa3b, v13, -v21
	v_rndne_f32_e32 v32, v21
	s_delay_alu instid0(VALU_DEP_1) | instskip(NEXT) | instid1(TRANS32_DEP_1)
	v_sub_f32_e32 v21, v21, v32
	v_ldexp_f32 v20, v20, v22
	v_cvt_i32_f32_e32 v22, v32
	s_wait_alu 0xfffd
	s_delay_alu instid0(VALU_DEP_2) | instskip(SKIP_2) | instid1(VALU_DEP_2)
	v_cndmask_b32_e32 v20, 0, v20, vcc_lo
	v_cmp_nlt_f32_e32 vcc_lo, 0x42b17218, v15
	s_wait_alu 0xfffd
	v_cndmask_b32_e32 v20, 0x7f800000, v20, vcc_lo
	v_cmp_le_f32_e32 vcc_lo, 0xc1a00000, v15
	s_wait_alu 0xfffd
	s_delay_alu instid0(VALU_DEP_2) | instskip(SKIP_2) | instid1(VALU_DEP_1)
	v_cndmask_b32_e32 v15, 0, v20, vcc_lo
	v_cmp_ngt_f32_e32 vcc_lo, 0xc2ce8ed0, v13
	v_fmac_f32_e32 v23, 0x32a5705f, v13
	v_add_f32_e32 v21, v21, v23
	s_delay_alu instid0(VALU_DEP_1) | instskip(NEXT) | instid1(TRANS32_DEP_1)
	v_exp_f32_e32 v21, v21
	v_ldexp_f32 v20, v21, v22
	s_wait_alu 0xfffd
	s_delay_alu instid0(VALU_DEP_1) | instskip(SKIP_2) | instid1(VALU_DEP_2)
	v_cndmask_b32_e32 v20, 0, v20, vcc_lo
	v_cmp_nlt_f32_e32 vcc_lo, 0x42b17218, v13
	s_wait_alu 0xfffd
	v_cndmask_b32_e32 v13, 0x7f800000, v20, vcc_lo
	s_delay_alu instid0(VALU_DEP_1) | instskip(NEXT) | instid1(VALU_DEP_1)
	v_fmac_f32_e32 v13, v12, v15
	v_mov_b32_e32 v12, v13
	v_cvt_f16_f32_e32 v21, v15
	s_delay_alu instid0(VALU_DEP_1) | instskip(NEXT) | instid1(VALU_DEP_1)
	v_and_b32_e32 v21, 0xffff, v21
	v_mul_u32_u24_e32 v20, 0x10001, v21
	s_delay_alu instid0(VALU_DEP_1)
	v_pk_mul_f16 v36, v36, v20
	v_pk_mul_f16 v37, v37, v20
	;; [unrolled: 1-line block ×32, first 2 shown]
.LBB25_121:                             ;   in Loop: Header=BB25_12 Depth=1
	s_or_b32 exec_lo, exec_lo, s3
	s_and_saveexec_b32 s3, s2
; %bb.122:                              ;   in Loop: Header=BB25_12 Depth=1
	v_add_nc_u32_e32 v13, 0, v145
	ds_store_2addr_b32 v13, v45, v12 offset0:64 offset1:65
; %bb.123:                              ;   in Loop: Header=BB25_12 Depth=1
	s_wait_alu 0xfffe
	s_or_b32 exec_lo, exec_lo, s3
	s_wait_loadcnt_dscnt 0x0
	s_barrier_signal -1
	s_barrier_wait -1
	global_inv scope:SCOPE_SE
	s_and_saveexec_b32 s3, s1
	s_wait_alu 0xfffe
	s_xor_b32 s3, exec_lo, s3
	s_cbranch_execz .LBB25_125
; %bb.124:                              ;   in Loop: Header=BB25_12 Depth=1
	s_wait_loadcnt 0x0
	s_barrier_signal -1
	s_barrier_wait -1
	global_inv scope:SCOPE_SE
                                        ; implicit-def: $vgpr44
.LBB25_125:                             ;   in Loop: Header=BB25_12 Depth=1
	s_wait_alu 0xfffe
	s_and_not1_saveexec_b32 s3, s3
	s_cbranch_execz .LBB25_129
; %bb.126:                              ;   in Loop: Header=BB25_12 Depth=1
	v_add_nc_u32_e32 v20, 0, v146
	ds_load_b64 v[14:15], v20 offset:256
	s_wait_loadcnt_dscnt 0x0
	s_barrier_signal -1
	s_barrier_wait -1
	global_inv scope:SCOPE_SE
	ds_bpermute_b32 v12, v44, v14
	s_wait_dscnt 0x0
	v_dual_max_num_f32 v13, v14, v14 :: v_dual_max_num_f32 v12, v12, v12
	s_delay_alu instid0(VALU_DEP_1) | instskip(NEXT) | instid1(VALU_DEP_1)
	v_max_num_f32_e32 v12, v13, v12
	v_sub_f32_e32 v13, v14, v12
	s_delay_alu instid0(VALU_DEP_1) | instskip(SKIP_1) | instid1(VALU_DEP_2)
	v_mul_f32_e32 v14, 0x3fb8aa3b, v13
	v_cmp_ngt_f32_e32 vcc_lo, 0xc2ce8ed0, v13
	v_fma_f32 v21, 0x3fb8aa3b, v13, -v14
	v_rndne_f32_e32 v22, v14
	s_delay_alu instid0(VALU_DEP_1) | instskip(NEXT) | instid1(VALU_DEP_1)
	v_dual_fmac_f32 v21, 0x32a5705f, v13 :: v_dual_sub_f32 v14, v14, v22
	v_add_f32_e32 v14, v14, v21
	v_cvt_i32_f32_e32 v21, v22
	s_delay_alu instid0(VALU_DEP_2) | instskip(NEXT) | instid1(TRANS32_DEP_1)
	v_exp_f32_e32 v14, v14
	v_ldexp_f32 v14, v14, v21
	s_wait_alu 0xfffd
	s_delay_alu instid0(VALU_DEP_1) | instskip(SKIP_2) | instid1(VALU_DEP_2)
	v_cndmask_b32_e32 v14, 0, v14, vcc_lo
	v_cmp_nlt_f32_e32 vcc_lo, 0x42b17218, v13
	s_wait_alu 0xfffd
	v_cndmask_b32_e32 v13, 0x7f800000, v14, vcc_lo
	s_delay_alu instid0(VALU_DEP_1)
	v_mul_f32_e32 v14, v15, v13
	ds_bpermute_b32 v14, v44, v14
	s_wait_dscnt 0x0
	v_fmac_f32_e32 v14, v15, v13
	ds_store_b64 v20, v[13:14] offset:256
	s_and_saveexec_b32 s4, s2
	s_cbranch_execz .LBB25_128
; %bb.127:                              ;   in Loop: Header=BB25_12 Depth=1
	v_mov_b32_e32 v13, v14
	scratch_load_b64 v[14:15], off, off offset:96 ; 8-byte Folded Reload
	s_wait_loadcnt 0x0
	global_store_b64 v[14:15], v[12:13], off
.LBB25_128:                             ;   in Loop: Header=BB25_12 Depth=1
	s_wait_alu 0xfffe
	s_or_b32 exec_lo, exec_lo, s4
.LBB25_129:                             ;   in Loop: Header=BB25_12 Depth=1
	s_wait_alu 0xfffe
	s_or_b32 exec_lo, exec_lo, s3
	v_perm_b32 v12, v40, v36, 0x5040100
	v_perm_b32 v13, v40, v36, 0x7060302
	;; [unrolled: 1-line block ×6, first 2 shown]
	v_add_nc_u32_e32 v29, v144, v147
	v_perm_b32 v14, v41, v37, 0x5040100
	v_perm_b32 v15, v41, v37, 0x7060302
	;; [unrolled: 1-line block ×10, first 2 shown]
	ds_store_2addr_b32 v29, v12, v13 offset1:1
	ds_store_2addr_b32 v29, v14, v15 offset0:2 offset1:3
	ds_store_2addr_b32 v29, v20, v21 offset0:4 offset1:5
	;; [unrolled: 1-line block ×7, first 2 shown]
	v_perm_b32 v12, v16, v4, 0x5040100
	v_perm_b32 v4, v16, v4, 0x7060302
	;; [unrolled: 1-line block ×16, first 2 shown]
	ds_store_2addr_b32 v29, v12, v4 offset0:32 offset1:33
	ds_store_2addr_b32 v29, v13, v5 offset0:34 offset1:35
	;; [unrolled: 1-line block ×8, first 2 shown]
	s_wait_storecnt 0x0
	s_wait_loadcnt_dscnt 0x0
	s_barrier_signal -1
	s_barrier_wait -1
	global_inv scope:SCOPE_SE
	s_and_saveexec_b32 s5, s0
	s_cbranch_execz .LBB25_207
; %bb.130:                              ;   in Loop: Header=BB25_12 Depth=1
	v_add_nc_u32_e32 v1, s56, v217
	v_or_b32_e32 v0, s34, v116
	s_delay_alu instid0(VALU_DEP_1) | instskip(SKIP_1) | instid1(VALU_DEP_4)
	v_cmp_gt_i32_e32 vcc_lo, s96, v0
	v_mov_b32_e32 v0, 0x47
	v_cmp_gt_i32_e64 s3, s24, v1
	s_and_b32 s3, s3, vcc_lo
	s_wait_alu 0xfffe
	s_and_saveexec_b32 s4, s3
	s_cbranch_execz .LBB25_132
; %bb.131:                              ;   in Loop: Header=BB25_12 Depth=1
	v_mad_co_u64_u32 v[0:1], null, v1, s25, v[116:117]
	ds_load_2addr_stride64_b32 v[2:3], v148 offset0:1 offset1:18
	ds_load_2addr_b32 v[4:5], v172 offset1:32
	v_add_nc_u32_e32 v1, 0x1000, v172
	ds_load_2addr_b32 v[6:7], v1 offset0:64 offset1:96
	v_lshl_add_u32 v0, v0, 6, v72
	s_delay_alu instid0(VALU_DEP_1) | instskip(NEXT) | instid1(VALU_DEP_1)
	v_ashrrev_i32_e32 v1, 31, v0
	v_lshlrev_b64_e32 v[0:1], 3, v[0:1]
	s_wait_dscnt 0x1
	v_fma_mix_f32 v8, v2, v4, 0 op_sel_hi:[0,1,0]
	v_fma_mix_f32 v9, v2, v4, 0 op_sel:[0,1,0] op_sel_hi:[0,1,0]
	v_fma_mix_f32 v10, v2, v5, 0 op_sel_hi:[0,1,0]
	v_fma_mix_f32 v11, v2, v5, 0 op_sel:[0,1,0] op_sel_hi:[0,1,0]
	v_add_co_u32 v4, s3, s72, v0
	s_wait_alu 0xf1ff
	v_add_co_ci_u32_e64 v5, null, s73, v1, s3
	s_wait_dscnt 0x0
	v_fma_mix_f32 v1, v3, v6, v8 op_sel_hi:[0,1,0]
	v_fma_mix_f32 v2, v3, v6, v9 op_sel:[0,1,0] op_sel_hi:[0,1,0]
	v_mov_b32_e32 v0, 0
	v_fma_mix_f32 v6, v3, v7, v10 op_sel_hi:[0,1,0]
	v_fma_mix_f32 v7, v3, v7, v11 op_sel:[0,1,0] op_sel_hi:[0,1,0]
	s_clause 0x1
	global_store_b64 v[4:5], v[1:2], off
	global_store_b64 v[4:5], v[6:7], off offset:256
.LBB25_132:                             ;   in Loop: Header=BB25_12 Depth=1
	s_wait_alu 0xfffe
	s_or_b32 exec_lo, exec_lo, s4
	s_mov_b32 s4, -1
	s_mov_b32 s6, exec_lo
	v_cmpx_gt_i32_e32 0x47, v0
; %bb.133:                              ;   in Loop: Header=BB25_12 Depth=1
	v_cmp_eq_u32_e64 s3, 0, v0
	s_or_not1_b32 s4, s3, exec_lo
; %bb.134:                              ;   in Loop: Header=BB25_12 Depth=1
	s_wait_alu 0xfffe
	s_or_b32 exec_lo, exec_lo, s6
	s_delay_alu instid0(SALU_CYCLE_1)
	s_and_b32 exec_lo, exec_lo, s4
	s_cbranch_execz .LBB25_207
; %bb.135:                              ;   in Loop: Header=BB25_12 Depth=1
	v_add_nc_u32_e32 v1, s56, v218
	v_or_b32_e32 v0, s34, v107
	s_delay_alu instid0(VALU_DEP_1) | instskip(SKIP_1) | instid1(VALU_DEP_4)
	v_cmp_gt_i32_e64 s4, s96, v0
	v_mov_b32_e32 v0, 0x47
	v_cmp_gt_i32_e64 s3, s24, v1
	s_and_b32 s3, s3, s4
	s_wait_alu 0xfffe
	s_and_saveexec_b32 s4, s3
	s_cbranch_execz .LBB25_137
; %bb.136:                              ;   in Loop: Header=BB25_12 Depth=1
	scratch_load_b32 v0, off, off offset:104 ; 4-byte Folded Reload
	s_wait_loadcnt 0x0
	ds_load_2addr_stride64_b32 v[2:3], v0 offset0:1 offset1:18
	ds_load_2addr_b32 v[4:5], v173 offset1:32
	v_mad_co_u64_u32 v[0:1], null, v1, s25, v[107:108]
	v_add_nc_u32_e32 v1, 0x1000, v173
	ds_load_2addr_b32 v[6:7], v1 offset0:64 offset1:96
	v_lshl_add_u32 v0, v0, 6, v72
	s_delay_alu instid0(VALU_DEP_1) | instskip(NEXT) | instid1(VALU_DEP_1)
	v_ashrrev_i32_e32 v1, 31, v0
	v_lshlrev_b64_e32 v[0:1], 3, v[0:1]
	s_wait_dscnt 0x1
	v_fma_mix_f32 v8, v2, v4, 0 op_sel_hi:[0,1,0]
	v_fma_mix_f32 v9, v2, v4, 0 op_sel:[0,1,0] op_sel_hi:[0,1,0]
	v_fma_mix_f32 v10, v2, v5, 0 op_sel_hi:[0,1,0]
	v_fma_mix_f32 v11, v2, v5, 0 op_sel:[0,1,0] op_sel_hi:[0,1,0]
	v_add_co_u32 v4, s3, s72, v0
	s_wait_alu 0xf1ff
	v_add_co_ci_u32_e64 v5, null, s73, v1, s3
	s_wait_dscnt 0x0
	v_fma_mix_f32 v1, v3, v6, v8 op_sel_hi:[0,1,0]
	v_fma_mix_f32 v2, v3, v6, v9 op_sel:[0,1,0] op_sel_hi:[0,1,0]
	v_mov_b32_e32 v0, 0
	v_fma_mix_f32 v6, v3, v7, v10 op_sel_hi:[0,1,0]
	v_fma_mix_f32 v7, v3, v7, v11 op_sel:[0,1,0] op_sel_hi:[0,1,0]
	s_clause 0x1
	global_store_b64 v[4:5], v[1:2], off
	global_store_b64 v[4:5], v[6:7], off offset:256
.LBB25_137:                             ;   in Loop: Header=BB25_12 Depth=1
	s_wait_alu 0xfffe
	s_or_b32 exec_lo, exec_lo, s4
	s_mov_b32 s4, -1
	s_mov_b32 s6, exec_lo
	v_cmpx_gt_i32_e32 0x47, v0
; %bb.138:                              ;   in Loop: Header=BB25_12 Depth=1
	v_cmp_eq_u32_e64 s3, 0, v0
	s_or_not1_b32 s4, s3, exec_lo
; %bb.139:                              ;   in Loop: Header=BB25_12 Depth=1
	s_wait_alu 0xfffe
	s_or_b32 exec_lo, exec_lo, s6
	s_delay_alu instid0(SALU_CYCLE_1)
	s_and_b32 exec_lo, exec_lo, s4
	s_cbranch_execz .LBB25_207
; %bb.140:                              ;   in Loop: Header=BB25_12 Depth=1
	scratch_load_b32 v0, off, off offset:108 ; 4-byte Folded Reload
	s_wait_loadcnt 0x0
	v_dual_mov_b32 v0, 0x47 :: v_dual_add_nc_u32 v1, s56, v0
	s_delay_alu instid0(VALU_DEP_1)
	v_cmp_gt_i32_e64 s3, s24, v1
	s_and_b32 s3, s3, vcc_lo
	s_wait_alu 0xfffe
	s_and_saveexec_b32 s4, s3
	s_cbranch_execz .LBB25_142
; %bb.141:                              ;   in Loop: Header=BB25_12 Depth=1
	s_clause 0x1
	scratch_load_b32 v0, off, off offset:120
	scratch_load_b32 v6, off, off offset:124
	s_wait_loadcnt 0x1
	ds_load_2addr_stride64_b32 v[2:3], v0 offset0:1 offset1:18
	v_mad_co_u64_u32 v[0:1], null, v1, s25, v[116:117]
	s_wait_loadcnt 0x0
	ds_load_2addr_b32 v[4:5], v6 offset1:32
	v_add_nc_u32_e32 v1, 0x1000, v6
	ds_load_2addr_b32 v[6:7], v1 offset0:64 offset1:96
	v_lshl_add_u32 v0, v0, 6, v72
	s_delay_alu instid0(VALU_DEP_1) | instskip(NEXT) | instid1(VALU_DEP_1)
	v_ashrrev_i32_e32 v1, 31, v0
	v_lshlrev_b64_e32 v[0:1], 3, v[0:1]
	s_wait_dscnt 0x1
	v_fma_mix_f32 v8, v2, v4, 0 op_sel_hi:[0,1,0]
	v_fma_mix_f32 v9, v2, v4, 0 op_sel:[0,1,0] op_sel_hi:[0,1,0]
	v_fma_mix_f32 v10, v2, v5, 0 op_sel_hi:[0,1,0]
	v_fma_mix_f32 v11, v2, v5, 0 op_sel:[0,1,0] op_sel_hi:[0,1,0]
	v_add_co_u32 v4, s3, s72, v0
	s_wait_alu 0xf1ff
	v_add_co_ci_u32_e64 v5, null, s73, v1, s3
	s_wait_dscnt 0x0
	v_fma_mix_f32 v1, v3, v6, v8 op_sel_hi:[0,1,0]
	v_fma_mix_f32 v2, v3, v6, v9 op_sel:[0,1,0] op_sel_hi:[0,1,0]
	v_mov_b32_e32 v0, 0
	v_fma_mix_f32 v6, v3, v7, v10 op_sel_hi:[0,1,0]
	v_fma_mix_f32 v7, v3, v7, v11 op_sel:[0,1,0] op_sel_hi:[0,1,0]
	s_clause 0x1
	global_store_b64 v[4:5], v[1:2], off
	global_store_b64 v[4:5], v[6:7], off offset:256
.LBB25_142:                             ;   in Loop: Header=BB25_12 Depth=1
	s_wait_alu 0xfffe
	s_or_b32 exec_lo, exec_lo, s4
	s_mov_b32 s4, -1
	s_mov_b32 s6, exec_lo
	v_cmpx_gt_i32_e32 0x47, v0
; %bb.143:                              ;   in Loop: Header=BB25_12 Depth=1
	v_cmp_eq_u32_e64 s3, 0, v0
	s_or_not1_b32 s4, s3, exec_lo
; %bb.144:                              ;   in Loop: Header=BB25_12 Depth=1
	s_wait_alu 0xfffe
	s_or_b32 exec_lo, exec_lo, s6
	s_delay_alu instid0(SALU_CYCLE_1)
	s_and_b32 exec_lo, exec_lo, s4
	s_cbranch_execz .LBB25_207
; %bb.145:                              ;   in Loop: Header=BB25_12 Depth=1
	s_clause 0x1
	scratch_load_b32 v0, off, off offset:128
	scratch_load_b64 v[2:3], off, off offset:112
	s_wait_loadcnt 0x1
	v_add_nc_u32_e32 v1, s56, v0
	s_wait_loadcnt 0x0
	v_or_b32_e32 v0, s34, v2
	s_delay_alu instid0(VALU_DEP_1)
	v_cmp_gt_i32_e64 s4, s96, v0
	v_mov_b32_e32 v0, 0x47
	v_cmp_gt_i32_e64 s3, s24, v1
	s_and_b32 s3, s3, s4
	s_wait_alu 0xfffe
	s_and_saveexec_b32 s4, s3
	s_cbranch_execz .LBB25_147
; %bb.146:                              ;   in Loop: Header=BB25_12 Depth=1
	s_clause 0x2
	scratch_load_b32 v0, off, off offset:132
	scratch_load_b32 v6, off, off offset:140
	scratch_load_b64 v[7:8], off, off offset:112
	s_wait_loadcnt 0x2
	ds_load_2addr_stride64_b32 v[2:3], v0 offset0:1 offset1:18
	s_wait_loadcnt 0x1
	ds_load_2addr_b32 v[4:5], v6 offset1:32
	s_wait_loadcnt 0x0
	v_mad_co_u64_u32 v[0:1], null, v1, s25, v[7:8]
	v_add_nc_u32_e32 v1, 0x1000, v6
	ds_load_2addr_b32 v[6:7], v1 offset0:64 offset1:96
	v_lshl_add_u32 v0, v0, 6, v72
	s_delay_alu instid0(VALU_DEP_1) | instskip(NEXT) | instid1(VALU_DEP_1)
	v_ashrrev_i32_e32 v1, 31, v0
	v_lshlrev_b64_e32 v[0:1], 3, v[0:1]
	s_wait_dscnt 0x1
	v_fma_mix_f32 v8, v2, v4, 0 op_sel_hi:[0,1,0]
	v_fma_mix_f32 v9, v2, v4, 0 op_sel:[0,1,0] op_sel_hi:[0,1,0]
	v_fma_mix_f32 v10, v2, v5, 0 op_sel_hi:[0,1,0]
	v_fma_mix_f32 v11, v2, v5, 0 op_sel:[0,1,0] op_sel_hi:[0,1,0]
	v_add_co_u32 v4, s3, s72, v0
	s_wait_alu 0xf1ff
	v_add_co_ci_u32_e64 v5, null, s73, v1, s3
	s_wait_dscnt 0x0
	v_fma_mix_f32 v1, v3, v6, v8 op_sel_hi:[0,1,0]
	v_fma_mix_f32 v2, v3, v6, v9 op_sel:[0,1,0] op_sel_hi:[0,1,0]
	v_mov_b32_e32 v0, 0
	v_fma_mix_f32 v6, v3, v7, v10 op_sel_hi:[0,1,0]
	v_fma_mix_f32 v7, v3, v7, v11 op_sel:[0,1,0] op_sel_hi:[0,1,0]
	s_clause 0x1
	global_store_b64 v[4:5], v[1:2], off
	global_store_b64 v[4:5], v[6:7], off offset:256
.LBB25_147:                             ;   in Loop: Header=BB25_12 Depth=1
	s_wait_alu 0xfffe
	s_or_b32 exec_lo, exec_lo, s4
	s_mov_b32 s4, -1
	s_mov_b32 s6, exec_lo
	v_cmpx_gt_i32_e32 0x47, v0
; %bb.148:                              ;   in Loop: Header=BB25_12 Depth=1
	v_cmp_eq_u32_e64 s3, 0, v0
	s_or_not1_b32 s4, s3, exec_lo
; %bb.149:                              ;   in Loop: Header=BB25_12 Depth=1
	s_wait_alu 0xfffe
	s_or_b32 exec_lo, exec_lo, s6
	s_delay_alu instid0(SALU_CYCLE_1)
	s_and_b32 exec_lo, exec_lo, s4
	s_cbranch_execz .LBB25_207
; %bb.150:                              ;   in Loop: Header=BB25_12 Depth=1
	scratch_load_b32 v0, off, off offset:136 ; 4-byte Folded Reload
	s_wait_loadcnt 0x0
	v_dual_mov_b32 v0, 0x47 :: v_dual_add_nc_u32 v1, s56, v0
	s_delay_alu instid0(VALU_DEP_1)
	v_cmp_gt_i32_e64 s3, s24, v1
	s_and_b32 s3, s3, vcc_lo
	s_wait_alu 0xfffe
	s_and_saveexec_b32 s4, s3
	s_cbranch_execz .LBB25_152
; %bb.151:                              ;   in Loop: Header=BB25_12 Depth=1
	s_clause 0x1
	scratch_load_b32 v0, off, off offset:156
	scratch_load_b32 v6, off, off offset:160
	s_wait_loadcnt 0x1
	ds_load_2addr_stride64_b32 v[2:3], v0 offset0:1 offset1:18
	v_mad_co_u64_u32 v[0:1], null, v1, s25, v[116:117]
	s_wait_loadcnt 0x0
	ds_load_2addr_b32 v[4:5], v6 offset1:32
	v_add_nc_u32_e32 v1, 0x1000, v6
	ds_load_2addr_b32 v[6:7], v1 offset0:64 offset1:96
	v_lshl_add_u32 v0, v0, 6, v72
	s_delay_alu instid0(VALU_DEP_1) | instskip(NEXT) | instid1(VALU_DEP_1)
	v_ashrrev_i32_e32 v1, 31, v0
	v_lshlrev_b64_e32 v[0:1], 3, v[0:1]
	s_wait_dscnt 0x1
	v_fma_mix_f32 v8, v2, v4, 0 op_sel_hi:[0,1,0]
	v_fma_mix_f32 v9, v2, v4, 0 op_sel:[0,1,0] op_sel_hi:[0,1,0]
	v_fma_mix_f32 v10, v2, v5, 0 op_sel_hi:[0,1,0]
	v_fma_mix_f32 v11, v2, v5, 0 op_sel:[0,1,0] op_sel_hi:[0,1,0]
	v_add_co_u32 v4, s3, s72, v0
	s_wait_alu 0xf1ff
	v_add_co_ci_u32_e64 v5, null, s73, v1, s3
	s_wait_dscnt 0x0
	v_fma_mix_f32 v1, v3, v6, v8 op_sel_hi:[0,1,0]
	v_fma_mix_f32 v2, v3, v6, v9 op_sel:[0,1,0] op_sel_hi:[0,1,0]
	v_mov_b32_e32 v0, 0
	v_fma_mix_f32 v6, v3, v7, v10 op_sel_hi:[0,1,0]
	v_fma_mix_f32 v7, v3, v7, v11 op_sel:[0,1,0] op_sel_hi:[0,1,0]
	s_clause 0x1
	global_store_b64 v[4:5], v[1:2], off
	global_store_b64 v[4:5], v[6:7], off offset:256
.LBB25_152:                             ;   in Loop: Header=BB25_12 Depth=1
	s_wait_alu 0xfffe
	s_or_b32 exec_lo, exec_lo, s4
	s_mov_b32 s4, -1
	s_mov_b32 s6, exec_lo
	v_cmpx_gt_i32_e32 0x47, v0
; %bb.153:                              ;   in Loop: Header=BB25_12 Depth=1
	v_cmp_eq_u32_e64 s3, 0, v0
	s_or_not1_b32 s4, s3, exec_lo
; %bb.154:                              ;   in Loop: Header=BB25_12 Depth=1
	s_wait_alu 0xfffe
	s_or_b32 exec_lo, exec_lo, s6
	s_delay_alu instid0(SALU_CYCLE_1)
	s_and_b32 exec_lo, exec_lo, s4
	s_cbranch_execz .LBB25_207
; %bb.155:                              ;   in Loop: Header=BB25_12 Depth=1
	s_clause 0x1
	scratch_load_b32 v0, off, off offset:164
	scratch_load_b64 v[2:3], off, off offset:148
	s_wait_loadcnt 0x1
	v_add_nc_u32_e32 v1, s56, v0
	s_wait_loadcnt 0x0
	v_or_b32_e32 v0, s34, v2
	s_delay_alu instid0(VALU_DEP_1)
	v_cmp_gt_i32_e64 s4, s96, v0
	v_mov_b32_e32 v0, 0x47
	v_cmp_gt_i32_e64 s3, s24, v1
	s_and_b32 s3, s3, s4
	s_wait_alu 0xfffe
	s_and_saveexec_b32 s4, s3
	s_cbranch_execz .LBB25_157
; %bb.156:                              ;   in Loop: Header=BB25_12 Depth=1
	s_clause 0x2
	scratch_load_b32 v0, off, off offset:168
	scratch_load_b32 v6, off, off offset:176
	scratch_load_b64 v[7:8], off, off offset:148
	s_wait_loadcnt 0x2
	ds_load_2addr_stride64_b32 v[2:3], v0 offset0:1 offset1:18
	s_wait_loadcnt 0x1
	ds_load_2addr_b32 v[4:5], v6 offset1:32
	s_wait_loadcnt 0x0
	v_mad_co_u64_u32 v[0:1], null, v1, s25, v[7:8]
	v_add_nc_u32_e32 v1, 0x1000, v6
	ds_load_2addr_b32 v[6:7], v1 offset0:64 offset1:96
	v_lshl_add_u32 v0, v0, 6, v72
	s_delay_alu instid0(VALU_DEP_1) | instskip(NEXT) | instid1(VALU_DEP_1)
	v_ashrrev_i32_e32 v1, 31, v0
	v_lshlrev_b64_e32 v[0:1], 3, v[0:1]
	s_wait_dscnt 0x1
	v_fma_mix_f32 v8, v2, v4, 0 op_sel_hi:[0,1,0]
	v_fma_mix_f32 v9, v2, v4, 0 op_sel:[0,1,0] op_sel_hi:[0,1,0]
	v_fma_mix_f32 v10, v2, v5, 0 op_sel_hi:[0,1,0]
	v_fma_mix_f32 v11, v2, v5, 0 op_sel:[0,1,0] op_sel_hi:[0,1,0]
	v_add_co_u32 v4, s3, s72, v0
	s_wait_alu 0xf1ff
	v_add_co_ci_u32_e64 v5, null, s73, v1, s3
	s_wait_dscnt 0x0
	v_fma_mix_f32 v1, v3, v6, v8 op_sel_hi:[0,1,0]
	v_fma_mix_f32 v2, v3, v6, v9 op_sel:[0,1,0] op_sel_hi:[0,1,0]
	v_mov_b32_e32 v0, 0
	v_fma_mix_f32 v6, v3, v7, v10 op_sel_hi:[0,1,0]
	v_fma_mix_f32 v7, v3, v7, v11 op_sel:[0,1,0] op_sel_hi:[0,1,0]
	s_clause 0x1
	global_store_b64 v[4:5], v[1:2], off
	global_store_b64 v[4:5], v[6:7], off offset:256
.LBB25_157:                             ;   in Loop: Header=BB25_12 Depth=1
	s_wait_alu 0xfffe
	s_or_b32 exec_lo, exec_lo, s4
	s_mov_b32 s4, -1
	s_mov_b32 s6, exec_lo
	v_cmpx_gt_i32_e32 0x47, v0
; %bb.158:                              ;   in Loop: Header=BB25_12 Depth=1
	v_cmp_eq_u32_e64 s3, 0, v0
	s_or_not1_b32 s4, s3, exec_lo
; %bb.159:                              ;   in Loop: Header=BB25_12 Depth=1
	s_wait_alu 0xfffe
	s_or_b32 exec_lo, exec_lo, s6
	s_delay_alu instid0(SALU_CYCLE_1)
	s_and_b32 exec_lo, exec_lo, s4
	s_cbranch_execz .LBB25_207
; %bb.160:                              ;   in Loop: Header=BB25_12 Depth=1
	scratch_load_b32 v0, off, off offset:172 ; 4-byte Folded Reload
	s_wait_loadcnt 0x0
	v_dual_mov_b32 v0, 0x47 :: v_dual_add_nc_u32 v1, s56, v0
	s_delay_alu instid0(VALU_DEP_1)
	v_cmp_gt_i32_e64 s3, s24, v1
	s_and_b32 s3, s3, vcc_lo
	s_wait_alu 0xfffe
	s_and_saveexec_b32 s4, s3
	s_cbranch_execz .LBB25_162
; %bb.161:                              ;   in Loop: Header=BB25_12 Depth=1
	s_clause 0x1
	scratch_load_b32 v0, off, off offset:188
	scratch_load_b32 v6, off, off offset:192
	s_wait_loadcnt 0x1
	ds_load_2addr_stride64_b32 v[2:3], v0 offset0:1 offset1:18
	v_mad_co_u64_u32 v[0:1], null, v1, s25, v[116:117]
	s_wait_loadcnt 0x0
	ds_load_2addr_b32 v[4:5], v6 offset1:32
	v_add_nc_u32_e32 v1, 0x1000, v6
	ds_load_2addr_b32 v[6:7], v1 offset0:64 offset1:96
	v_lshl_add_u32 v0, v0, 6, v72
	s_delay_alu instid0(VALU_DEP_1) | instskip(NEXT) | instid1(VALU_DEP_1)
	v_ashrrev_i32_e32 v1, 31, v0
	v_lshlrev_b64_e32 v[0:1], 3, v[0:1]
	s_wait_dscnt 0x1
	v_fma_mix_f32 v8, v2, v4, 0 op_sel_hi:[0,1,0]
	v_fma_mix_f32 v9, v2, v4, 0 op_sel:[0,1,0] op_sel_hi:[0,1,0]
	v_fma_mix_f32 v10, v2, v5, 0 op_sel_hi:[0,1,0]
	v_fma_mix_f32 v11, v2, v5, 0 op_sel:[0,1,0] op_sel_hi:[0,1,0]
	v_add_co_u32 v4, s3, s72, v0
	s_wait_alu 0xf1ff
	v_add_co_ci_u32_e64 v5, null, s73, v1, s3
	s_wait_dscnt 0x0
	v_fma_mix_f32 v1, v3, v6, v8 op_sel_hi:[0,1,0]
	v_fma_mix_f32 v2, v3, v6, v9 op_sel:[0,1,0] op_sel_hi:[0,1,0]
	v_mov_b32_e32 v0, 0
	v_fma_mix_f32 v6, v3, v7, v10 op_sel_hi:[0,1,0]
	v_fma_mix_f32 v7, v3, v7, v11 op_sel:[0,1,0] op_sel_hi:[0,1,0]
	s_clause 0x1
	global_store_b64 v[4:5], v[1:2], off
	global_store_b64 v[4:5], v[6:7], off offset:256
.LBB25_162:                             ;   in Loop: Header=BB25_12 Depth=1
	s_wait_alu 0xfffe
	s_or_b32 exec_lo, exec_lo, s4
	s_mov_b32 s4, -1
	s_mov_b32 s6, exec_lo
	v_cmpx_gt_i32_e32 0x47, v0
; %bb.163:                              ;   in Loop: Header=BB25_12 Depth=1
	v_cmp_eq_u32_e64 s3, 0, v0
	s_or_not1_b32 s4, s3, exec_lo
; %bb.164:                              ;   in Loop: Header=BB25_12 Depth=1
	s_wait_alu 0xfffe
	s_or_b32 exec_lo, exec_lo, s6
	s_delay_alu instid0(SALU_CYCLE_1)
	s_and_b32 exec_lo, exec_lo, s4
	s_cbranch_execz .LBB25_207
; %bb.165:                              ;   in Loop: Header=BB25_12 Depth=1
	s_clause 0x1
	scratch_load_b32 v0, off, off offset:196
	scratch_load_b64 v[2:3], off, off offset:180
	s_wait_loadcnt 0x1
	v_add_nc_u32_e32 v1, s56, v0
	s_wait_loadcnt 0x0
	v_or_b32_e32 v0, s34, v2
	s_delay_alu instid0(VALU_DEP_1)
	v_cmp_gt_i32_e64 s4, s96, v0
	v_mov_b32_e32 v0, 0x47
	v_cmp_gt_i32_e64 s3, s24, v1
	s_and_b32 s3, s3, s4
	s_wait_alu 0xfffe
	s_and_saveexec_b32 s4, s3
	s_cbranch_execz .LBB25_167
; %bb.166:                              ;   in Loop: Header=BB25_12 Depth=1
	s_clause 0x2
	scratch_load_b32 v0, off, off offset:200
	scratch_load_b32 v6, off, off offset:208
	scratch_load_b64 v[7:8], off, off offset:180
	s_wait_loadcnt 0x2
	ds_load_2addr_stride64_b32 v[2:3], v0 offset0:1 offset1:18
	s_wait_loadcnt 0x1
	ds_load_2addr_b32 v[4:5], v6 offset1:32
	s_wait_loadcnt 0x0
	v_mad_co_u64_u32 v[0:1], null, v1, s25, v[7:8]
	v_add_nc_u32_e32 v1, 0x1000, v6
	ds_load_2addr_b32 v[6:7], v1 offset0:64 offset1:96
	v_lshl_add_u32 v0, v0, 6, v72
	s_delay_alu instid0(VALU_DEP_1) | instskip(NEXT) | instid1(VALU_DEP_1)
	v_ashrrev_i32_e32 v1, 31, v0
	v_lshlrev_b64_e32 v[0:1], 3, v[0:1]
	s_wait_dscnt 0x1
	v_fma_mix_f32 v8, v2, v4, 0 op_sel_hi:[0,1,0]
	v_fma_mix_f32 v9, v2, v4, 0 op_sel:[0,1,0] op_sel_hi:[0,1,0]
	v_fma_mix_f32 v10, v2, v5, 0 op_sel_hi:[0,1,0]
	v_fma_mix_f32 v11, v2, v5, 0 op_sel:[0,1,0] op_sel_hi:[0,1,0]
	v_add_co_u32 v4, s3, s72, v0
	s_wait_alu 0xf1ff
	v_add_co_ci_u32_e64 v5, null, s73, v1, s3
	s_wait_dscnt 0x0
	v_fma_mix_f32 v1, v3, v6, v8 op_sel_hi:[0,1,0]
	v_fma_mix_f32 v2, v3, v6, v9 op_sel:[0,1,0] op_sel_hi:[0,1,0]
	v_mov_b32_e32 v0, 0
	v_fma_mix_f32 v6, v3, v7, v10 op_sel_hi:[0,1,0]
	v_fma_mix_f32 v7, v3, v7, v11 op_sel:[0,1,0] op_sel_hi:[0,1,0]
	s_clause 0x1
	global_store_b64 v[4:5], v[1:2], off
	global_store_b64 v[4:5], v[6:7], off offset:256
.LBB25_167:                             ;   in Loop: Header=BB25_12 Depth=1
	s_wait_alu 0xfffe
	s_or_b32 exec_lo, exec_lo, s4
	s_mov_b32 s4, -1
	s_mov_b32 s6, exec_lo
	v_cmpx_gt_i32_e32 0x47, v0
; %bb.168:                              ;   in Loop: Header=BB25_12 Depth=1
	v_cmp_eq_u32_e64 s3, 0, v0
	s_or_not1_b32 s4, s3, exec_lo
; %bb.169:                              ;   in Loop: Header=BB25_12 Depth=1
	s_wait_alu 0xfffe
	s_or_b32 exec_lo, exec_lo, s6
	s_delay_alu instid0(SALU_CYCLE_1)
	s_and_b32 exec_lo, exec_lo, s4
	s_cbranch_execz .LBB25_207
; %bb.170:                              ;   in Loop: Header=BB25_12 Depth=1
	scratch_load_b32 v0, off, off offset:204 ; 4-byte Folded Reload
	s_wait_loadcnt 0x0
	v_dual_mov_b32 v0, 0x47 :: v_dual_add_nc_u32 v1, s56, v0
	s_delay_alu instid0(VALU_DEP_1)
	v_cmp_gt_i32_e64 s3, s24, v1
	s_and_b32 s3, s3, vcc_lo
	s_wait_alu 0xfffe
	s_and_saveexec_b32 s4, s3
	s_cbranch_execz .LBB25_172
; %bb.171:                              ;   in Loop: Header=BB25_12 Depth=1
	s_clause 0x1
	scratch_load_b32 v0, off, off offset:220
	scratch_load_b32 v6, off, off offset:224
	s_wait_loadcnt 0x1
	ds_load_2addr_stride64_b32 v[2:3], v0 offset0:1 offset1:18
	v_mad_co_u64_u32 v[0:1], null, v1, s25, v[116:117]
	s_wait_loadcnt 0x0
	ds_load_2addr_b32 v[4:5], v6 offset1:32
	v_add_nc_u32_e32 v1, 0x1000, v6
	ds_load_2addr_b32 v[6:7], v1 offset0:64 offset1:96
	v_lshl_add_u32 v0, v0, 6, v72
	s_delay_alu instid0(VALU_DEP_1) | instskip(NEXT) | instid1(VALU_DEP_1)
	v_ashrrev_i32_e32 v1, 31, v0
	v_lshlrev_b64_e32 v[0:1], 3, v[0:1]
	s_wait_dscnt 0x1
	v_fma_mix_f32 v8, v2, v4, 0 op_sel_hi:[0,1,0]
	v_fma_mix_f32 v9, v2, v4, 0 op_sel:[0,1,0] op_sel_hi:[0,1,0]
	v_fma_mix_f32 v10, v2, v5, 0 op_sel_hi:[0,1,0]
	v_fma_mix_f32 v11, v2, v5, 0 op_sel:[0,1,0] op_sel_hi:[0,1,0]
	v_add_co_u32 v4, s3, s72, v0
	s_wait_alu 0xf1ff
	v_add_co_ci_u32_e64 v5, null, s73, v1, s3
	s_wait_dscnt 0x0
	v_fma_mix_f32 v1, v3, v6, v8 op_sel_hi:[0,1,0]
	v_fma_mix_f32 v2, v3, v6, v9 op_sel:[0,1,0] op_sel_hi:[0,1,0]
	v_mov_b32_e32 v0, 0
	v_fma_mix_f32 v6, v3, v7, v10 op_sel_hi:[0,1,0]
	v_fma_mix_f32 v7, v3, v7, v11 op_sel:[0,1,0] op_sel_hi:[0,1,0]
	s_clause 0x1
	global_store_b64 v[4:5], v[1:2], off
	global_store_b64 v[4:5], v[6:7], off offset:256
.LBB25_172:                             ;   in Loop: Header=BB25_12 Depth=1
	s_wait_alu 0xfffe
	s_or_b32 exec_lo, exec_lo, s4
	s_mov_b32 s4, -1
	s_mov_b32 s6, exec_lo
	v_cmpx_gt_i32_e32 0x47, v0
; %bb.173:                              ;   in Loop: Header=BB25_12 Depth=1
	v_cmp_eq_u32_e64 s3, 0, v0
	s_or_not1_b32 s4, s3, exec_lo
; %bb.174:                              ;   in Loop: Header=BB25_12 Depth=1
	s_wait_alu 0xfffe
	s_or_b32 exec_lo, exec_lo, s6
	s_delay_alu instid0(SALU_CYCLE_1)
	s_and_b32 exec_lo, exec_lo, s4
	s_cbranch_execz .LBB25_207
; %bb.175:                              ;   in Loop: Header=BB25_12 Depth=1
	s_clause 0x1
	scratch_load_b32 v0, off, off offset:228
	scratch_load_b64 v[2:3], off, off offset:212
	s_wait_loadcnt 0x1
	v_add_nc_u32_e32 v1, s56, v0
	s_wait_loadcnt 0x0
	v_or_b32_e32 v0, s34, v2
	s_delay_alu instid0(VALU_DEP_1)
	v_cmp_gt_i32_e64 s4, s96, v0
	v_mov_b32_e32 v0, 0x47
	v_cmp_gt_i32_e64 s3, s24, v1
	s_and_b32 s3, s3, s4
	s_wait_alu 0xfffe
	s_and_saveexec_b32 s4, s3
	s_cbranch_execz .LBB25_177
; %bb.176:                              ;   in Loop: Header=BB25_12 Depth=1
	s_clause 0x2
	scratch_load_b32 v0, off, off offset:232
	scratch_load_b32 v6, off, off offset:240
	scratch_load_b64 v[7:8], off, off offset:212
	s_wait_loadcnt 0x2
	ds_load_2addr_stride64_b32 v[2:3], v0 offset0:1 offset1:18
	s_wait_loadcnt 0x1
	ds_load_2addr_b32 v[4:5], v6 offset1:32
	s_wait_loadcnt 0x0
	v_mad_co_u64_u32 v[0:1], null, v1, s25, v[7:8]
	v_add_nc_u32_e32 v1, 0x1000, v6
	ds_load_2addr_b32 v[6:7], v1 offset0:64 offset1:96
	v_lshl_add_u32 v0, v0, 6, v72
	s_delay_alu instid0(VALU_DEP_1) | instskip(NEXT) | instid1(VALU_DEP_1)
	v_ashrrev_i32_e32 v1, 31, v0
	v_lshlrev_b64_e32 v[0:1], 3, v[0:1]
	s_wait_dscnt 0x1
	v_fma_mix_f32 v8, v2, v4, 0 op_sel_hi:[0,1,0]
	v_fma_mix_f32 v9, v2, v4, 0 op_sel:[0,1,0] op_sel_hi:[0,1,0]
	v_fma_mix_f32 v10, v2, v5, 0 op_sel_hi:[0,1,0]
	v_fma_mix_f32 v11, v2, v5, 0 op_sel:[0,1,0] op_sel_hi:[0,1,0]
	v_add_co_u32 v4, s3, s72, v0
	s_wait_alu 0xf1ff
	v_add_co_ci_u32_e64 v5, null, s73, v1, s3
	s_wait_dscnt 0x0
	v_fma_mix_f32 v1, v3, v6, v8 op_sel_hi:[0,1,0]
	v_fma_mix_f32 v2, v3, v6, v9 op_sel:[0,1,0] op_sel_hi:[0,1,0]
	v_mov_b32_e32 v0, 0
	v_fma_mix_f32 v6, v3, v7, v10 op_sel_hi:[0,1,0]
	v_fma_mix_f32 v7, v3, v7, v11 op_sel:[0,1,0] op_sel_hi:[0,1,0]
	s_clause 0x1
	global_store_b64 v[4:5], v[1:2], off
	global_store_b64 v[4:5], v[6:7], off offset:256
.LBB25_177:                             ;   in Loop: Header=BB25_12 Depth=1
	s_wait_alu 0xfffe
	s_or_b32 exec_lo, exec_lo, s4
	s_mov_b32 s4, -1
	s_mov_b32 s6, exec_lo
	v_cmpx_gt_i32_e32 0x47, v0
; %bb.178:                              ;   in Loop: Header=BB25_12 Depth=1
	v_cmp_eq_u32_e64 s3, 0, v0
	s_or_not1_b32 s4, s3, exec_lo
; %bb.179:                              ;   in Loop: Header=BB25_12 Depth=1
	s_wait_alu 0xfffe
	s_or_b32 exec_lo, exec_lo, s6
	s_delay_alu instid0(SALU_CYCLE_1)
	s_and_b32 exec_lo, exec_lo, s4
	s_cbranch_execz .LBB25_207
; %bb.180:                              ;   in Loop: Header=BB25_12 Depth=1
	scratch_load_b32 v0, off, off offset:236 ; 4-byte Folded Reload
	s_wait_loadcnt 0x0
	v_dual_mov_b32 v0, 0x47 :: v_dual_add_nc_u32 v1, s56, v0
	s_delay_alu instid0(VALU_DEP_1)
	v_cmp_gt_i32_e64 s3, s24, v1
	s_and_b32 s3, s3, vcc_lo
	s_wait_alu 0xfffe
	s_and_saveexec_b32 s4, s3
	s_cbranch_execz .LBB25_182
; %bb.181:                              ;   in Loop: Header=BB25_12 Depth=1
	s_clause 0x1
	scratch_load_b32 v0, off, off offset:252
	scratch_load_b32 v6, off, off offset:256
	s_wait_loadcnt 0x1
	ds_load_2addr_stride64_b32 v[2:3], v0 offset0:1 offset1:18
	v_mad_co_u64_u32 v[0:1], null, v1, s25, v[116:117]
	s_wait_loadcnt 0x0
	ds_load_2addr_b32 v[4:5], v6 offset1:32
	v_add_nc_u32_e32 v1, 0x1000, v6
	ds_load_2addr_b32 v[6:7], v1 offset0:64 offset1:96
	v_lshl_add_u32 v0, v0, 6, v72
	s_delay_alu instid0(VALU_DEP_1) | instskip(NEXT) | instid1(VALU_DEP_1)
	v_ashrrev_i32_e32 v1, 31, v0
	v_lshlrev_b64_e32 v[0:1], 3, v[0:1]
	s_wait_dscnt 0x1
	v_fma_mix_f32 v8, v2, v4, 0 op_sel_hi:[0,1,0]
	v_fma_mix_f32 v9, v2, v4, 0 op_sel:[0,1,0] op_sel_hi:[0,1,0]
	v_fma_mix_f32 v10, v2, v5, 0 op_sel_hi:[0,1,0]
	v_fma_mix_f32 v11, v2, v5, 0 op_sel:[0,1,0] op_sel_hi:[0,1,0]
	v_add_co_u32 v4, s3, s72, v0
	s_wait_alu 0xf1ff
	v_add_co_ci_u32_e64 v5, null, s73, v1, s3
	s_wait_dscnt 0x0
	v_fma_mix_f32 v1, v3, v6, v8 op_sel_hi:[0,1,0]
	v_fma_mix_f32 v2, v3, v6, v9 op_sel:[0,1,0] op_sel_hi:[0,1,0]
	v_mov_b32_e32 v0, 0
	v_fma_mix_f32 v6, v3, v7, v10 op_sel_hi:[0,1,0]
	v_fma_mix_f32 v7, v3, v7, v11 op_sel:[0,1,0] op_sel_hi:[0,1,0]
	s_clause 0x1
	global_store_b64 v[4:5], v[1:2], off
	global_store_b64 v[4:5], v[6:7], off offset:256
.LBB25_182:                             ;   in Loop: Header=BB25_12 Depth=1
	s_wait_alu 0xfffe
	s_or_b32 exec_lo, exec_lo, s4
	s_mov_b32 s4, -1
	s_mov_b32 s6, exec_lo
	v_cmpx_gt_i32_e32 0x47, v0
; %bb.183:                              ;   in Loop: Header=BB25_12 Depth=1
	v_cmp_eq_u32_e64 s3, 0, v0
	s_or_not1_b32 s4, s3, exec_lo
; %bb.184:                              ;   in Loop: Header=BB25_12 Depth=1
	s_wait_alu 0xfffe
	s_or_b32 exec_lo, exec_lo, s6
	s_delay_alu instid0(SALU_CYCLE_1)
	s_and_b32 exec_lo, exec_lo, s4
	s_cbranch_execz .LBB25_207
; %bb.185:                              ;   in Loop: Header=BB25_12 Depth=1
	s_clause 0x1
	scratch_load_b32 v0, off, off offset:260
	scratch_load_b64 v[2:3], off, off offset:244
	s_wait_loadcnt 0x1
	v_add_nc_u32_e32 v1, s56, v0
	s_wait_loadcnt 0x0
	v_or_b32_e32 v0, s34, v2
	s_delay_alu instid0(VALU_DEP_1)
	v_cmp_gt_i32_e64 s4, s96, v0
	v_mov_b32_e32 v0, 0x47
	v_cmp_gt_i32_e64 s3, s24, v1
	s_and_b32 s3, s3, s4
	s_wait_alu 0xfffe
	s_and_saveexec_b32 s4, s3
	s_cbranch_execz .LBB25_187
; %bb.186:                              ;   in Loop: Header=BB25_12 Depth=1
	s_clause 0x2
	scratch_load_b32 v0, off, off offset:264
	scratch_load_b32 v6, off, off offset:272
	scratch_load_b64 v[7:8], off, off offset:244
	s_wait_loadcnt 0x2
	ds_load_2addr_stride64_b32 v[2:3], v0 offset0:1 offset1:18
	s_wait_loadcnt 0x1
	ds_load_2addr_b32 v[4:5], v6 offset1:32
	s_wait_loadcnt 0x0
	v_mad_co_u64_u32 v[0:1], null, v1, s25, v[7:8]
	v_add_nc_u32_e32 v1, 0x1000, v6
	ds_load_2addr_b32 v[6:7], v1 offset0:64 offset1:96
	v_lshl_add_u32 v0, v0, 6, v72
	s_delay_alu instid0(VALU_DEP_1) | instskip(NEXT) | instid1(VALU_DEP_1)
	v_ashrrev_i32_e32 v1, 31, v0
	v_lshlrev_b64_e32 v[0:1], 3, v[0:1]
	s_wait_dscnt 0x1
	v_fma_mix_f32 v8, v2, v4, 0 op_sel_hi:[0,1,0]
	v_fma_mix_f32 v9, v2, v4, 0 op_sel:[0,1,0] op_sel_hi:[0,1,0]
	v_fma_mix_f32 v10, v2, v5, 0 op_sel_hi:[0,1,0]
	v_fma_mix_f32 v11, v2, v5, 0 op_sel:[0,1,0] op_sel_hi:[0,1,0]
	v_add_co_u32 v4, s3, s72, v0
	s_wait_alu 0xf1ff
	v_add_co_ci_u32_e64 v5, null, s73, v1, s3
	s_wait_dscnt 0x0
	v_fma_mix_f32 v1, v3, v6, v8 op_sel_hi:[0,1,0]
	v_fma_mix_f32 v2, v3, v6, v9 op_sel:[0,1,0] op_sel_hi:[0,1,0]
	v_mov_b32_e32 v0, 0
	v_fma_mix_f32 v6, v3, v7, v10 op_sel_hi:[0,1,0]
	v_fma_mix_f32 v7, v3, v7, v11 op_sel:[0,1,0] op_sel_hi:[0,1,0]
	s_clause 0x1
	global_store_b64 v[4:5], v[1:2], off
	global_store_b64 v[4:5], v[6:7], off offset:256
.LBB25_187:                             ;   in Loop: Header=BB25_12 Depth=1
	s_wait_alu 0xfffe
	s_or_b32 exec_lo, exec_lo, s4
	s_mov_b32 s4, -1
	s_mov_b32 s6, exec_lo
	v_cmpx_gt_i32_e32 0x47, v0
; %bb.188:                              ;   in Loop: Header=BB25_12 Depth=1
	v_cmp_eq_u32_e64 s3, 0, v0
	s_or_not1_b32 s4, s3, exec_lo
; %bb.189:                              ;   in Loop: Header=BB25_12 Depth=1
	s_wait_alu 0xfffe
	s_or_b32 exec_lo, exec_lo, s6
	s_delay_alu instid0(SALU_CYCLE_1)
	s_and_b32 exec_lo, exec_lo, s4
	s_cbranch_execz .LBB25_207
; %bb.190:                              ;   in Loop: Header=BB25_12 Depth=1
	scratch_load_b32 v0, off, off offset:268 ; 4-byte Folded Reload
	s_wait_loadcnt 0x0
	v_dual_mov_b32 v0, 0x47 :: v_dual_add_nc_u32 v1, s56, v0
	s_delay_alu instid0(VALU_DEP_1)
	v_cmp_gt_i32_e64 s3, s24, v1
	s_and_b32 s3, s3, vcc_lo
	s_wait_alu 0xfffe
	s_and_saveexec_b32 s4, s3
	s_cbranch_execz .LBB25_192
; %bb.191:                              ;   in Loop: Header=BB25_12 Depth=1
	s_clause 0x1
	scratch_load_b32 v0, off, off offset:284
	scratch_load_b32 v6, off, off offset:288
	s_wait_loadcnt 0x1
	ds_load_2addr_stride64_b32 v[2:3], v0 offset0:1 offset1:18
	v_mad_co_u64_u32 v[0:1], null, v1, s25, v[116:117]
	s_wait_loadcnt 0x0
	ds_load_2addr_b32 v[4:5], v6 offset1:32
	v_add_nc_u32_e32 v1, 0x1000, v6
	ds_load_2addr_b32 v[6:7], v1 offset0:64 offset1:96
	v_lshl_add_u32 v0, v0, 6, v72
	s_delay_alu instid0(VALU_DEP_1) | instskip(NEXT) | instid1(VALU_DEP_1)
	v_ashrrev_i32_e32 v1, 31, v0
	v_lshlrev_b64_e32 v[0:1], 3, v[0:1]
	s_wait_dscnt 0x1
	v_fma_mix_f32 v8, v2, v4, 0 op_sel_hi:[0,1,0]
	v_fma_mix_f32 v9, v2, v4, 0 op_sel:[0,1,0] op_sel_hi:[0,1,0]
	v_fma_mix_f32 v10, v2, v5, 0 op_sel_hi:[0,1,0]
	v_fma_mix_f32 v11, v2, v5, 0 op_sel:[0,1,0] op_sel_hi:[0,1,0]
	v_add_co_u32 v4, s3, s72, v0
	s_wait_alu 0xf1ff
	v_add_co_ci_u32_e64 v5, null, s73, v1, s3
	s_wait_dscnt 0x0
	v_fma_mix_f32 v1, v3, v6, v8 op_sel_hi:[0,1,0]
	v_fma_mix_f32 v2, v3, v6, v9 op_sel:[0,1,0] op_sel_hi:[0,1,0]
	v_mov_b32_e32 v0, 0
	v_fma_mix_f32 v6, v3, v7, v10 op_sel_hi:[0,1,0]
	v_fma_mix_f32 v7, v3, v7, v11 op_sel:[0,1,0] op_sel_hi:[0,1,0]
	s_clause 0x1
	global_store_b64 v[4:5], v[1:2], off
	global_store_b64 v[4:5], v[6:7], off offset:256
.LBB25_192:                             ;   in Loop: Header=BB25_12 Depth=1
	s_wait_alu 0xfffe
	s_or_b32 exec_lo, exec_lo, s4
	s_mov_b32 s4, -1
	s_mov_b32 s6, exec_lo
	v_cmpx_gt_i32_e32 0x47, v0
; %bb.193:                              ;   in Loop: Header=BB25_12 Depth=1
	v_cmp_eq_u32_e64 s3, 0, v0
	s_or_not1_b32 s4, s3, exec_lo
; %bb.194:                              ;   in Loop: Header=BB25_12 Depth=1
	s_wait_alu 0xfffe
	s_or_b32 exec_lo, exec_lo, s6
	s_delay_alu instid0(SALU_CYCLE_1)
	s_and_b32 exec_lo, exec_lo, s4
	s_cbranch_execz .LBB25_207
; %bb.195:                              ;   in Loop: Header=BB25_12 Depth=1
	s_clause 0x1
	scratch_load_b32 v0, off, off offset:292
	scratch_load_b64 v[2:3], off, off offset:276
	s_wait_loadcnt 0x1
	v_add_nc_u32_e32 v1, s56, v0
	s_wait_loadcnt 0x0
	v_or_b32_e32 v0, s34, v2
	s_delay_alu instid0(VALU_DEP_1)
	v_cmp_gt_i32_e64 s4, s96, v0
	v_mov_b32_e32 v0, 0x47
	v_cmp_gt_i32_e64 s3, s24, v1
	s_and_b32 s3, s3, s4
	s_wait_alu 0xfffe
	s_and_saveexec_b32 s4, s3
	s_cbranch_execz .LBB25_197
; %bb.196:                              ;   in Loop: Header=BB25_12 Depth=1
	s_clause 0x2
	scratch_load_b32 v0, off, off offset:296
	scratch_load_b32 v6, off, off offset:304
	scratch_load_b64 v[7:8], off, off offset:276
	s_wait_loadcnt 0x2
	ds_load_2addr_stride64_b32 v[2:3], v0 offset0:1 offset1:18
	s_wait_loadcnt 0x1
	ds_load_2addr_b32 v[4:5], v6 offset1:32
	s_wait_loadcnt 0x0
	v_mad_co_u64_u32 v[0:1], null, v1, s25, v[7:8]
	v_add_nc_u32_e32 v1, 0x1000, v6
	ds_load_2addr_b32 v[6:7], v1 offset0:64 offset1:96
	v_lshl_add_u32 v0, v0, 6, v72
	s_delay_alu instid0(VALU_DEP_1) | instskip(NEXT) | instid1(VALU_DEP_1)
	v_ashrrev_i32_e32 v1, 31, v0
	v_lshlrev_b64_e32 v[0:1], 3, v[0:1]
	s_wait_dscnt 0x1
	v_fma_mix_f32 v8, v2, v4, 0 op_sel_hi:[0,1,0]
	v_fma_mix_f32 v9, v2, v4, 0 op_sel:[0,1,0] op_sel_hi:[0,1,0]
	v_fma_mix_f32 v10, v2, v5, 0 op_sel_hi:[0,1,0]
	v_fma_mix_f32 v11, v2, v5, 0 op_sel:[0,1,0] op_sel_hi:[0,1,0]
	v_add_co_u32 v4, s3, s72, v0
	s_wait_alu 0xf1ff
	v_add_co_ci_u32_e64 v5, null, s73, v1, s3
	s_wait_dscnt 0x0
	v_fma_mix_f32 v1, v3, v6, v8 op_sel_hi:[0,1,0]
	v_fma_mix_f32 v2, v3, v6, v9 op_sel:[0,1,0] op_sel_hi:[0,1,0]
	v_mov_b32_e32 v0, 0
	v_fma_mix_f32 v6, v3, v7, v10 op_sel_hi:[0,1,0]
	v_fma_mix_f32 v7, v3, v7, v11 op_sel:[0,1,0] op_sel_hi:[0,1,0]
	s_clause 0x1
	global_store_b64 v[4:5], v[1:2], off
	global_store_b64 v[4:5], v[6:7], off offset:256
.LBB25_197:                             ;   in Loop: Header=BB25_12 Depth=1
	s_wait_alu 0xfffe
	s_or_b32 exec_lo, exec_lo, s4
	s_mov_b32 s4, -1
	s_mov_b32 s6, exec_lo
	v_cmpx_gt_i32_e32 0x47, v0
; %bb.198:                              ;   in Loop: Header=BB25_12 Depth=1
	v_cmp_eq_u32_e64 s3, 0, v0
	s_or_not1_b32 s4, s3, exec_lo
; %bb.199:                              ;   in Loop: Header=BB25_12 Depth=1
	s_wait_alu 0xfffe
	s_or_b32 exec_lo, exec_lo, s6
	s_delay_alu instid0(SALU_CYCLE_1)
	s_and_b32 exec_lo, exec_lo, s4
	s_cbranch_execz .LBB25_207
; %bb.200:                              ;   in Loop: Header=BB25_12 Depth=1
	scratch_load_b32 v0, off, off offset:300 ; 4-byte Folded Reload
	s_wait_loadcnt 0x0
	v_dual_mov_b32 v0, 0x47 :: v_dual_add_nc_u32 v1, s56, v0
	s_delay_alu instid0(VALU_DEP_1)
	v_cmp_gt_i32_e64 s3, s24, v1
	s_and_b32 s4, s3, vcc_lo
	s_wait_alu 0xfffe
	s_and_saveexec_b32 s3, s4
	s_cbranch_execz .LBB25_202
; %bb.201:                              ;   in Loop: Header=BB25_12 Depth=1
	s_clause 0x1
	scratch_load_b32 v0, off, off offset:316
	scratch_load_b32 v6, off, off offset:320
	s_wait_loadcnt 0x1
	ds_load_2addr_stride64_b32 v[2:3], v0 offset0:1 offset1:18
	v_mad_co_u64_u32 v[0:1], null, v1, s25, v[116:117]
	s_wait_loadcnt 0x0
	ds_load_2addr_b32 v[4:5], v6 offset1:32
	v_add_nc_u32_e32 v1, 0x1000, v6
	ds_load_2addr_b32 v[6:7], v1 offset0:64 offset1:96
	v_lshl_add_u32 v0, v0, 6, v72
	s_delay_alu instid0(VALU_DEP_1) | instskip(NEXT) | instid1(VALU_DEP_1)
	v_ashrrev_i32_e32 v1, 31, v0
	v_lshlrev_b64_e32 v[0:1], 3, v[0:1]
	s_wait_dscnt 0x1
	v_fma_mix_f32 v8, v2, v4, 0 op_sel_hi:[0,1,0]
	v_fma_mix_f32 v9, v2, v4, 0 op_sel:[0,1,0] op_sel_hi:[0,1,0]
	v_fma_mix_f32 v10, v2, v5, 0 op_sel_hi:[0,1,0]
	v_fma_mix_f32 v11, v2, v5, 0 op_sel:[0,1,0] op_sel_hi:[0,1,0]
	v_add_co_u32 v4, vcc_lo, s72, v0
	s_wait_alu 0xfffd
	v_add_co_ci_u32_e64 v5, null, s73, v1, vcc_lo
	s_wait_dscnt 0x0
	v_fma_mix_f32 v1, v3, v6, v8 op_sel_hi:[0,1,0]
	v_fma_mix_f32 v2, v3, v6, v9 op_sel:[0,1,0] op_sel_hi:[0,1,0]
	v_mov_b32_e32 v0, 0
	v_fma_mix_f32 v6, v3, v7, v10 op_sel_hi:[0,1,0]
	v_fma_mix_f32 v7, v3, v7, v11 op_sel:[0,1,0] op_sel_hi:[0,1,0]
	s_clause 0x1
	global_store_b64 v[4:5], v[1:2], off
	global_store_b64 v[4:5], v[6:7], off offset:256
.LBB25_202:                             ;   in Loop: Header=BB25_12 Depth=1
	s_wait_alu 0xfffe
	s_or_b32 exec_lo, exec_lo, s3
	s_mov_b32 s3, -1
	s_mov_b32 s4, exec_lo
	v_cmpx_gt_i32_e32 0x47, v0
; %bb.203:                              ;   in Loop: Header=BB25_12 Depth=1
	v_cmp_eq_u32_e32 vcc_lo, 0, v0
	s_or_not1_b32 s3, vcc_lo, exec_lo
; %bb.204:                              ;   in Loop: Header=BB25_12 Depth=1
	s_wait_alu 0xfffe
	s_or_b32 exec_lo, exec_lo, s4
	s_delay_alu instid0(SALU_CYCLE_1)
	s_and_b32 exec_lo, exec_lo, s3
	s_cbranch_execz .LBB25_207
; %bb.205:                              ;   in Loop: Header=BB25_12 Depth=1
	s_clause 0x1
	scratch_load_b32 v0, off, off offset:324
	scratch_load_b64 v[1:2], off, off offset:308
	s_wait_loadcnt 0x1
	v_add_nc_u32_e32 v0, s56, v0
	s_wait_loadcnt 0x0
	v_or_b32_e32 v1, s34, v1
	s_delay_alu instid0(VALU_DEP_2) | instskip(NEXT) | instid1(VALU_DEP_2)
	v_cmp_gt_i32_e32 vcc_lo, s24, v0
	v_cmp_gt_i32_e64 s3, s96, v1
	s_and_b32 s3, vcc_lo, s3
	s_wait_alu 0xfffe
	s_and_b32 exec_lo, exec_lo, s3
	s_cbranch_execz .LBB25_207
; %bb.206:                              ;   in Loop: Header=BB25_12 Depth=1
	s_clause 0x2
	scratch_load_b32 v1, off, off offset:328
	scratch_load_b32 v7, off, off offset:332
	scratch_load_b64 v[5:6], off, off offset:308
	s_wait_loadcnt 0x2
	ds_load_2addr_stride64_b32 v[1:2], v1 offset0:1 offset1:18
	s_wait_loadcnt 0x1
	ds_load_2addr_b32 v[3:4], v7 offset1:32
	s_wait_loadcnt 0x0
	v_mad_co_u64_u32 v[5:6], null, v0, s25, v[5:6]
	v_add_nc_u32_e32 v0, 0x1000, v7
	ds_load_2addr_b32 v[6:7], v0 offset0:64 offset1:96
	v_lshl_add_u32 v8, v5, 6, v72
	s_delay_alu instid0(VALU_DEP_1) | instskip(NEXT) | instid1(VALU_DEP_1)
	v_ashrrev_i32_e32 v9, 31, v8
	v_lshlrev_b64_e32 v[8:9], 3, v[8:9]
	s_wait_dscnt 0x1
	v_fma_mix_f32 v5, v1, v3, 0 op_sel_hi:[0,1,0]
	v_fma_mix_f32 v10, v1, v3, 0 op_sel:[0,1,0] op_sel_hi:[0,1,0]
	v_fma_mix_f32 v11, v1, v4, 0 op_sel_hi:[0,1,0]
	v_fma_mix_f32 v12, v1, v4, 0 op_sel:[0,1,0] op_sel_hi:[0,1,0]
	v_add_co_u32 v0, vcc_lo, s72, v8
	s_wait_alu 0xfffd
	v_add_co_ci_u32_e64 v1, null, s73, v9, vcc_lo
	s_wait_dscnt 0x0
	v_fma_mix_f32 v3, v2, v6, v5 op_sel_hi:[0,1,0]
	v_fma_mix_f32 v4, v2, v6, v10 op_sel:[0,1,0] op_sel_hi:[0,1,0]
	v_fma_mix_f32 v5, v2, v7, v11 op_sel_hi:[0,1,0]
	v_fma_mix_f32 v6, v2, v7, v12 op_sel:[0,1,0] op_sel_hi:[0,1,0]
	s_clause 0x1
	global_store_b64 v[0:1], v[3:4], off
	global_store_b64 v[0:1], v[5:6], off offset:256
.LBB25_207:                             ;   in Loop: Header=BB25_12 Depth=1
	s_wait_alu 0xfffe
	s_or_b32 exec_lo, exec_lo, s5
	s_wait_loadcnt 0x0
	s_wait_storecnt 0x0
	s_barrier_signal -1
	s_barrier_wait -1
	s_branch .LBB25_11
.LBB25_208:                             ;   in Loop: Header=BB25_12 Depth=1
	s_lshl_b32 s94, s43, 3
	v_cmp_le_i32_e64 s4, s96, v184
	s_wait_alu 0xfffe
	v_add_nc_u32_e32 v0, s94, v139
	v_cmp_gt_i32_e32 vcc_lo, s96, v184
	s_delay_alu instid0(VALU_DEP_2)
	v_cmp_le_i32_e64 s3, s24, v0
	s_or_b32 s3, s3, s4
	s_wait_alu 0xfffe
	s_and_saveexec_b32 s4, s3
	s_wait_alu 0xfffe
	s_xor_b32 s3, exec_lo, s4
; %bb.209:                              ;   in Loop: Header=BB25_12 Depth=1
	v_add_nc_u32_e32 v0, v171, v202
	ds_store_2addr_b32 v0, v190, v190 offset1:32
                                        ; implicit-def: $vgpr0
; %bb.210:                              ;   in Loop: Header=BB25_12 Depth=1
	s_wait_alu 0xfffe
	s_and_not1_saveexec_b32 s4, s3
	s_cbranch_execz .LBB25_212
; %bb.211:                              ;   in Loop: Header=BB25_12 Depth=1
	v_mad_co_u64_u32 v[0:1], null, v0, s35, v[115:116]
	s_delay_alu instid0(VALU_DEP_1) | instskip(NEXT) | instid1(VALU_DEP_1)
	v_ashrrev_i32_e32 v1, 31, v0
	v_lshlrev_b64_e32 v[0:1], 3, v[0:1]
	s_delay_alu instid0(VALU_DEP_1) | instskip(SKIP_1) | instid1(VALU_DEP_2)
	v_add_co_u32 v0, s3, s92, v0
	s_wait_alu 0xf1ff
	v_add_co_ci_u32_e64 v1, null, s93, v1, s3
	s_clause 0x1
	global_load_b64 v[2:3], v[0:1], off
	global_load_b64 v[0:1], v[0:1], off offset:256
	s_wait_loadcnt 0x1
	v_cvt_f16_f32_e32 v2, v2
	v_cvt_f16_f32_e32 v3, v3
	s_wait_loadcnt 0x0
	v_cvt_f16_f32_e32 v0, v0
	v_cvt_f16_f32_e32 v1, v1
	s_delay_alu instid0(VALU_DEP_3) | instskip(NEXT) | instid1(VALU_DEP_2)
	v_pack_b32_f16 v2, v2, v3
	v_pack_b32_f16 v0, v0, v1
	s_delay_alu instid0(VALU_DEP_2) | instskip(NEXT) | instid1(VALU_DEP_2)
	v_pk_mul_f16 v1, v2, s104
	v_pk_mul_f16 v0, v0, s104
	ds_store_2addr_b32 v199, v1, v0 offset1:32
.LBB25_212:                             ;   in Loop: Header=BB25_12 Depth=1
	s_wait_alu 0xfffe
	s_or_b32 exec_lo, exec_lo, s4
	v_add_nc_u32_e32 v0, s94, v203
	s_xor_b32 s4, vcc_lo, -1
	s_delay_alu instid0(VALU_DEP_1)
	v_cmp_le_i32_e64 s3, s24, v0
	s_wait_alu 0xfffe
	s_or_b32 s3, s3, s4
	s_wait_alu 0xfffe
	s_and_saveexec_b32 s5, s3
	s_wait_alu 0xfffe
	s_xor_b32 s3, exec_lo, s5
; %bb.213:                              ;   in Loop: Header=BB25_12 Depth=1
	v_add_nc_u32_e32 v0, v171, v202
	ds_store_2addr_b32 v0, v190, v190 offset0:136 offset1:168
                                        ; implicit-def: $vgpr0
; %bb.214:                              ;   in Loop: Header=BB25_12 Depth=1
	s_wait_alu 0xfffe
	s_and_not1_saveexec_b32 s3, s3
	s_cbranch_execz .LBB25_216
; %bb.215:                              ;   in Loop: Header=BB25_12 Depth=1
	v_mad_co_u64_u32 v[0:1], null, v0, s35, v[115:116]
	s_delay_alu instid0(VALU_DEP_1) | instskip(NEXT) | instid1(VALU_DEP_1)
	v_ashrrev_i32_e32 v1, 31, v0
	v_lshlrev_b64_e32 v[0:1], 3, v[0:1]
	s_delay_alu instid0(VALU_DEP_1) | instskip(SKIP_1) | instid1(VALU_DEP_2)
	v_add_co_u32 v0, vcc_lo, s92, v0
	s_wait_alu 0xfffd
	v_add_co_ci_u32_e64 v1, null, s93, v1, vcc_lo
	s_clause 0x1
	global_load_b64 v[2:3], v[0:1], off
	global_load_b64 v[0:1], v[0:1], off offset:256
	s_wait_loadcnt 0x1
	v_cvt_f16_f32_e32 v2, v2
	v_cvt_f16_f32_e32 v3, v3
	s_wait_loadcnt 0x0
	v_cvt_f16_f32_e32 v0, v0
	v_cvt_f16_f32_e32 v1, v1
	s_delay_alu instid0(VALU_DEP_3) | instskip(NEXT) | instid1(VALU_DEP_2)
	v_pack_b32_f16 v2, v2, v3
	v_pack_b32_f16 v0, v0, v1
	s_delay_alu instid0(VALU_DEP_2) | instskip(NEXT) | instid1(VALU_DEP_2)
	v_pk_mul_f16 v1, v2, s104
	v_pk_mul_f16 v0, v0, s104
	ds_store_2addr_b32 v204, v1, v0 offset1:32
.LBB25_216:                             ;   in Loop: Header=BB25_12 Depth=1
	s_wait_alu 0xfffe
	s_or_b32 exec_lo, exec_lo, s3
	v_add_nc_u32_e32 v0, s94, v205
	s_delay_alu instid0(VALU_DEP_1)
	v_cmp_le_i32_e32 vcc_lo, s24, v0
	s_or_b32 s3, vcc_lo, s4
	s_wait_alu 0xfffe
	s_and_saveexec_b32 s5, s3
	s_wait_alu 0xfffe
	s_xor_b32 s3, exec_lo, s5
; %bb.217:                              ;   in Loop: Header=BB25_12 Depth=1
	v_add_nc_u32_e32 v0, v171, v202
	s_delay_alu instid0(VALU_DEP_1)
	v_add_nc_u32_e32 v0, 0x400, v0
	ds_store_2addr_b32 v0, v190, v190 offset0:16 offset1:48
                                        ; implicit-def: $vgpr0
; %bb.218:                              ;   in Loop: Header=BB25_12 Depth=1
	s_wait_alu 0xfffe
	s_and_not1_saveexec_b32 s3, s3
	s_cbranch_execz .LBB25_220
; %bb.219:                              ;   in Loop: Header=BB25_12 Depth=1
	v_mad_co_u64_u32 v[0:1], null, v0, s35, v[115:116]
	s_delay_alu instid0(VALU_DEP_1) | instskip(NEXT) | instid1(VALU_DEP_1)
	v_ashrrev_i32_e32 v1, 31, v0
	v_lshlrev_b64_e32 v[0:1], 3, v[0:1]
	s_delay_alu instid0(VALU_DEP_1) | instskip(SKIP_1) | instid1(VALU_DEP_2)
	v_add_co_u32 v0, vcc_lo, s92, v0
	s_wait_alu 0xfffd
	v_add_co_ci_u32_e64 v1, null, s93, v1, vcc_lo
	s_clause 0x1
	global_load_b64 v[2:3], v[0:1], off
	global_load_b64 v[0:1], v[0:1], off offset:256
	s_wait_loadcnt 0x1
	v_cvt_f16_f32_e32 v2, v2
	v_cvt_f16_f32_e32 v3, v3
	s_wait_loadcnt 0x0
	v_cvt_f16_f32_e32 v0, v0
	v_cvt_f16_f32_e32 v1, v1
	s_delay_alu instid0(VALU_DEP_3) | instskip(NEXT) | instid1(VALU_DEP_2)
	v_pack_b32_f16 v2, v2, v3
	v_pack_b32_f16 v0, v0, v1
	s_delay_alu instid0(VALU_DEP_2) | instskip(NEXT) | instid1(VALU_DEP_2)
	v_pk_mul_f16 v1, v2, s104
	v_pk_mul_f16 v0, v0, s104
	ds_store_2addr_b32 v206, v1, v0 offset1:32
.LBB25_220:                             ;   in Loop: Header=BB25_12 Depth=1
	s_wait_alu 0xfffe
	s_or_b32 exec_lo, exec_lo, s3
	v_add_nc_u32_e32 v0, s94, v207
	s_delay_alu instid0(VALU_DEP_1)
	v_cmp_le_i32_e32 vcc_lo, s24, v0
	s_or_b32 s3, vcc_lo, s4
	s_wait_alu 0xfffe
	s_and_saveexec_b32 s5, s3
	s_wait_alu 0xfffe
	s_xor_b32 s3, exec_lo, s5
; %bb.221:                              ;   in Loop: Header=BB25_12 Depth=1
	v_add_nc_u32_e32 v0, v171, v202
	s_delay_alu instid0(VALU_DEP_1)
	;; [unrolled: 46-line block ×6, first 2 shown]
	v_add_nc_u32_e32 v0, 0xc00, v0
	ds_store_2addr_b32 v0, v190, v190 offset0:184 offset1:216
                                        ; implicit-def: $vgpr0
; %bb.238:                              ;   in Loop: Header=BB25_12 Depth=1
	s_wait_alu 0xfffe
	s_and_not1_saveexec_b32 s3, s3
	s_cbranch_execz .LBB25_240
; %bb.239:                              ;   in Loop: Header=BB25_12 Depth=1
	v_mad_co_u64_u32 v[0:1], null, v0, s35, v[115:116]
	s_delay_alu instid0(VALU_DEP_1) | instskip(NEXT) | instid1(VALU_DEP_1)
	v_ashrrev_i32_e32 v1, 31, v0
	v_lshlrev_b64_e32 v[0:1], 3, v[0:1]
	s_delay_alu instid0(VALU_DEP_1) | instskip(SKIP_1) | instid1(VALU_DEP_2)
	v_add_co_u32 v0, vcc_lo, s92, v0
	s_wait_alu 0xfffd
	v_add_co_ci_u32_e64 v1, null, s93, v1, vcc_lo
	s_clause 0x1
	global_load_b64 v[2:3], v[0:1], off
	global_load_b64 v[0:1], v[0:1], off offset:256
	s_wait_loadcnt 0x1
	v_cvt_f16_f32_e32 v2, v2
	v_cvt_f16_f32_e32 v3, v3
	s_wait_loadcnt 0x0
	v_cvt_f16_f32_e32 v0, v0
	v_cvt_f16_f32_e32 v1, v1
	s_delay_alu instid0(VALU_DEP_3) | instskip(NEXT) | instid1(VALU_DEP_2)
	v_pack_b32_f16 v2, v2, v3
	v_pack_b32_f16 v0, v0, v1
	s_delay_alu instid0(VALU_DEP_2) | instskip(NEXT) | instid1(VALU_DEP_2)
	v_pk_mul_f16 v1, v2, s104
	v_pk_mul_f16 v0, v0, s104
	ds_store_2addr_b32 v216, v1, v0 offset1:32
.LBB25_240:                             ;   in Loop: Header=BB25_12 Depth=1
	s_wait_alu 0xfffe
	s_or_b32 exec_lo, exec_lo, s3
	s_wait_storecnt_dscnt 0x0
	s_barrier_signal -1
	s_barrier_wait -1
	global_inv scope:SCOPE_SE
	ds_load_b128 v[68:71], v135
	ds_load_b128 v[64:67], v135 offset:32
	ds_load_b128 v[60:63], v135 offset:64
	;; [unrolled: 1-line block ×7, first 2 shown]
	s_cmp_gt_i32 s44, 1
	s_mov_b32 s3, -1
	s_wait_loadcnt_dscnt 0x0
	s_barrier_signal -1
	s_barrier_wait -1
	global_inv scope:SCOPE_SE
                                        ; implicit-def: $vgpr2_vgpr3
                                        ; implicit-def: $vgpr0_vgpr1
	s_cbranch_scc1 .LBB25_242
; %bb.241:                              ;   in Loop: Header=BB25_12 Depth=1
	v_add_nc_u32_e32 v0, s94, v133
	v_add_nc_u32_e32 v1, s94, v192
	s_mov_b32 s3, 0
	s_delay_alu instid0(VALU_DEP_2) | instskip(NEXT) | instid1(VALU_DEP_2)
	v_mul_hi_u32 v2, s38, v0
	v_mul_hi_u32 v3, s38, v1
	s_delay_alu instid0(VALU_DEP_2) | instskip(NEXT) | instid1(VALU_DEP_2)
	v_add_nc_u32_e32 v2, v0, v2
	v_add_nc_u32_e32 v3, v1, v3
	s_delay_alu instid0(VALU_DEP_2) | instskip(NEXT) | instid1(VALU_DEP_2)
	v_lshrrev_b32_e32 v2, s39, v2
	v_lshrrev_b32_e32 v3, s39, v3
	s_delay_alu instid0(VALU_DEP_2) | instskip(NEXT) | instid1(VALU_DEP_2)
	v_mul_lo_u32 v2, v2, s24
	v_mul_lo_u32 v3, v3, s24
	s_delay_alu instid0(VALU_DEP_2) | instskip(NEXT) | instid1(VALU_DEP_2)
	v_sub_nc_u32_e32 v0, v0, v2
	v_sub_nc_u32_e32 v1, v1, v3
	s_delay_alu instid0(VALU_DEP_2) | instskip(NEXT) | instid1(VALU_DEP_2)
	v_mad_co_i64_i32 v[2:3], null, v0, s40, 0
	v_mad_co_i64_i32 v[0:1], null, v1, s40, 0
.LBB25_242:                             ;   in Loop: Header=BB25_12 Depth=1
	v_xor_b32_e32 v184, 16, v124
	s_wait_alu 0xfffe
	s_and_not1_b32 vcc_lo, exec_lo, s3
	s_wait_alu 0xfffe
	s_cbranch_vccnz .LBB25_278
; %bb.243:                              ;   in Loop: Header=BB25_12 Depth=1
	v_dual_mov_b32 v219, 0 :: v_dual_add_nc_u32 v0, s94, v133
	v_add_nc_u32_e32 v2, s94, v192
	v_readlane_b32 s4, v255, 10
	v_readlane_b32 s5, v255, 11
	s_delay_alu instid0(VALU_DEP_4)
	v_mul_hi_u32 v1, s38, v0
	v_mov_b32_e32 v9, v219
	v_mul_hi_u32 v3, s38, v2
	v_dual_mov_b32 v11, v219 :: v_dual_mov_b32 v12, 0
	s_add_nc_u64 s[82:83], s[84:85], s[82:83]
	v_dual_mov_b32 v16, 0 :: v_dual_mov_b32 v17, v219
	v_dual_mov_b32 v18, v219 :: v_dual_add_nc_u32 v1, v0, v1
	s_delay_alu instid0(VALU_DEP_4) | instskip(SKIP_2) | instid1(VALU_DEP_4)
	v_dual_mov_b32 v8, 0 :: v_dual_add_nc_u32 v3, v2, v3
	v_dual_mov_b32 v10, v219 :: v_dual_mov_b32 v13, v12
	v_mov_b32_e32 v14, v12
	v_lshrrev_b32_e32 v1, s39, v1
	s_delay_alu instid0(VALU_DEP_4) | instskip(SKIP_2) | instid1(VALU_DEP_4)
	v_lshrrev_b32_e32 v3, s39, v3
	v_mov_b32_e32 v15, v12
	v_dual_mov_b32 v19, v219 :: v_dual_mov_b32 v20, v12
	v_mul_lo_u32 v1, v1, s24
	s_delay_alu instid0(VALU_DEP_4)
	v_mul_lo_u32 v3, v3, s24
	v_dual_mov_b32 v21, v12 :: v_dual_mov_b32 v22, v12
	v_dual_mov_b32 v24, 0 :: v_dual_mov_b32 v27, v219
	;; [unrolled: 1-line block ×3, first 2 shown]
	v_sub_nc_u32_e32 v183, v0, v1
	v_sub_nc_u32_e32 v225, v2, v3
	v_dual_mov_b32 v32, v12 :: v_dual_mov_b32 v35, v12
	v_dual_mov_b32 v34, v12 :: v_dual_mov_b32 v29, v219
	s_delay_alu instid0(VALU_DEP_4) | instskip(SKIP_3) | instid1(VALU_DEP_4)
	v_mad_co_i64_i32 v[0:1], null, s4, v183, s[86:87]
	v_dual_mov_b32 v28, 0 :: v_dual_mov_b32 v31, v219
	v_dual_mov_b32 v30, v219 :: v_dual_mov_b32 v37, v12
	v_dual_mov_b32 v36, v12 :: v_dual_mov_b32 v39, v12
	v_add_co_u32 v117, vcc_lo, v226, v0
	s_wait_alu 0xfffd
	v_add_co_ci_u32_e64 v118, null, v227, v1, vcc_lo
	v_mad_co_i64_i32 v[0:1], null, s4, v225, s[86:87]
	s_add_nc_u64 s[4:5], s[88:89], s[90:91]
	v_mov_b32_e32 v38, v12
	v_mov_b32_e32 v182, 0xfeffffff
	s_add_co_i32 s6, s44, -1
	v_mov_b32_e32 v25, v219
	s_wait_alu 0xfffe
	s_mov_b32 s42, s6
	v_add_co_u32 v119, vcc_lo, v226, v0
	s_wait_alu 0xfffd
	v_add_co_ci_u32_e64 v120, null, v227, v1, vcc_lo
	v_cmp_gt_i32_e32 vcc_lo, 32, v184
	s_wait_alu 0xfffd
	v_cndmask_b32_e32 v0, v124, v184, vcc_lo
	s_delay_alu instid0(VALU_DEP_1)
	v_dual_mov_b32 v23, v12 :: v_dual_lshlrev_b32 v224, 2, v0
	scratch_load_b32 v0, off, off           ; 4-byte Folded Reload
	s_wait_loadcnt 0x0
	v_add_co_u32 v113, vcc_lo, v0, s4
	scratch_load_b32 v0, off, off offset:4  ; 4-byte Folded Reload
	s_wait_loadcnt 0x0
	s_wait_alu 0xfffd
	v_add_co_ci_u32_e64 v162, null, s5, v0, vcc_lo
	scratch_load_b32 v0, off, off offset:8  ; 4-byte Folded Reload
	s_wait_loadcnt 0x0
	v_add_co_u32 v223, vcc_lo, v0, s4
	scratch_load_b32 v0, off, off offset:12 ; 4-byte Folded Reload
	s_wait_loadcnt 0x0
	s_wait_alu 0xfffd
	v_add_co_ci_u32_e64 v112, null, s5, v0, vcc_lo
	scratch_load_b32 v0, off, off offset:16 ; 4-byte Folded Reload
	s_wait_loadcnt 0x0
	v_add_co_u32 v181, vcc_lo, v0, s4
	scratch_load_b32 v0, off, off offset:20 ; 4-byte Folded Reload
	s_wait_loadcnt 0x0
	s_wait_alu 0xfffd
	v_add_co_ci_u32_e64 v222, null, s5, v0, vcc_lo
	scratch_load_b32 v0, off, off offset:24 ; 4-byte Folded Reload
	;; [unrolled: 7-line block ×10, first 2 shown]
	s_wait_loadcnt 0x0
	v_add_co_u32 v163, vcc_lo, v0, s82
	scratch_load_b32 v0, off, off offset:92 ; 4-byte Folded Reload
	s_wait_loadcnt 0x0
	s_wait_alu 0xfffd
	v_add_co_ci_u32_e64 v161, null, s83, v0, vcc_lo
	v_add_co_u32 v160, vcc_lo, v252, s82
	s_wait_alu 0xfffd
	v_add_co_ci_u32_e64 v158, null, s83, v253, vcc_lo
	v_add_co_u32 v153, vcc_lo, v254, s82
	;; [unrolled: 3-line block ×4, first 2 shown]
	s_wait_alu 0xfffd
	v_add_co_ci_u32_e64 v175, null, s83, v165, vcc_lo
.LBB25_244:                             ;   Parent Loop BB25_12 Depth=1
                                        ; =>  This Inner Loop Header: Depth=2
	global_load_b32 v1, v[117:118], off
	global_load_b32 v2, v[119:120], off
	v_add_nc_u32_e32 v0, v193, v191
                                        ; implicit-def: $vgpr114
	s_delay_alu instid0(VALU_DEP_1)
	v_add_nc_u32_e32 v0, 0x2000, v0
	s_wait_loadcnt 0x0
	ds_store_2addr_b32 v0, v1, v2 offset0:128 offset1:208
	v_add_co_u32 v0, vcc_lo, v109, v188
	s_wait_alu 0xfffd
	v_add_co_ci_u32_e64 v1, null, 0, v170, vcc_lo
	v_add_co_u32 v4, vcc_lo, v169, v188
	s_wait_alu 0xfffd
	v_add_co_ci_u32_e64 v5, null, 0, v167, vcc_lo
	global_load_b128 v[0:3], v[0:1], off
	global_load_b128 v[4:7], v[4:5], off
	s_wait_loadcnt 0x1
	ds_store_b128 v136, v[0:3]
	s_wait_loadcnt 0x0
	ds_store_b128 v194, v[4:7]
	v_add_co_u32 v0, vcc_lo, v166, v188
	s_wait_alu 0xfffd
	v_add_co_ci_u32_e64 v1, null, 0, v164, vcc_lo
	v_add_co_u32 v4, vcc_lo, v163, v188
	s_wait_alu 0xfffd
	v_add_co_ci_u32_e64 v5, null, 0, v161, vcc_lo
	global_load_b128 v[0:3], v[0:1], off
	global_load_b128 v[4:7], v[4:5], off
	s_wait_loadcnt 0x1
	ds_store_b128 v195, v[0:3]
	s_wait_loadcnt 0x0
	ds_store_b128 v196, v[4:7]
	;; [unrolled: 12-line block ×4, first 2 shown]
	s_wait_dscnt 0x0
	s_barrier_signal -1
	s_barrier_wait -1
	global_inv scope:SCOPE_SE
	ds_load_b128 v[125:128], v137
	ds_load_b128 v[129:132], v137 offset:32
	s_wait_dscnt 0x1
	v_wmma_f32_16x16x16_f16 v[0:7], v[125:128], v[68:71], 0
	s_wait_dscnt 0x0
	s_delay_alu instid0(VALU_DEP_1)
	v_wmma_f32_16x16x16_f16 v[0:7], v[129:132], v[64:67], v[0:7]
	ds_load_b128 v[125:128], v137 offset:64
	ds_load_b128 v[129:132], v137 offset:96
	s_wait_dscnt 0x1
	v_wmma_f32_16x16x16_f16 v[0:7], v[125:128], v[60:63], v[0:7]
	s_wait_dscnt 0x0
	s_delay_alu instid0(VALU_DEP_1)
	v_wmma_f32_16x16x16_f16 v[0:7], v[129:132], v[56:59], v[0:7]
	ds_load_b128 v[125:128], v137 offset:128
	;; [unrolled: 7-line block ×3, first 2 shown]
	ds_load_b128 v[129:132], v137 offset:224
	s_wait_loadcnt_dscnt 0x0
	s_barrier_signal -1
	s_barrier_wait -1
	global_inv scope:SCOPE_SE
	v_wmma_f32_16x16x16_f16 v[0:7], v[125:128], v[44:47], v[0:7]
	s_delay_alu instid0(VALU_DEP_1) | instskip(NEXT) | instid1(VALU_DEP_1)
	v_wmma_f32_16x16x16_f16 v[0:7], v[129:132], v[40:43], v[0:7]
	v_cmp_ngt_f32_e64 s3, 0x3f200000, |v0|
	s_and_saveexec_b32 s4, s3
	s_wait_alu 0xfffe
	s_xor_b32 s3, exec_lo, s4
	s_cbranch_execz .LBB25_246
; %bb.245:                              ;   in Loop: Header=BB25_244 Depth=2
	v_add_f32_e64 v73, |v0|, |v0|
	s_delay_alu instid0(VALU_DEP_1) | instskip(SKIP_1) | instid1(VALU_DEP_2)
	v_mul_f32_e32 v74, 0x3fb8aa3b, v73
	v_cmp_ngt_f32_e32 vcc_lo, 0xc2ce8ed0, v73
	v_rndne_f32_e32 v108, v74
	v_fma_f32 v114, 0x3fb8aa3b, v73, -v74
	s_delay_alu instid0(VALU_DEP_2) | instskip(NEXT) | instid1(VALU_DEP_2)
	v_sub_f32_e32 v74, v74, v108
	v_fmac_f32_e32 v114, 0x32a5705f, v73
	v_cvt_i32_f32_e32 v108, v108
	s_delay_alu instid0(VALU_DEP_2) | instskip(NEXT) | instid1(VALU_DEP_1)
	v_add_f32_e32 v74, v74, v114
	v_exp_f32_e32 v74, v74
	s_delay_alu instid0(TRANS32_DEP_1) | instskip(SKIP_1) | instid1(VALU_DEP_1)
	v_ldexp_f32 v74, v74, v108
	s_wait_alu 0xfffd
	v_cndmask_b32_e32 v74, 0, v74, vcc_lo
	v_cmp_nlt_f32_e32 vcc_lo, 0x42b17218, v73
	s_wait_alu 0xfffd
	s_delay_alu instid0(VALU_DEP_2) | instskip(NEXT) | instid1(VALU_DEP_1)
	v_cndmask_b32_e32 v73, 0x7f800000, v74, vcc_lo
	v_add_f32_e32 v73, 1.0, v73
	s_delay_alu instid0(VALU_DEP_1) | instskip(NEXT) | instid1(TRANS32_DEP_1)
	v_rcp_f32_e32 v73, v73
	v_fma_f32 v114, v73, -2.0, 1.0
.LBB25_246:                             ;   in Loop: Header=BB25_244 Depth=2
	s_wait_alu 0xfffe
	s_and_not1_saveexec_b32 s3, s3
	s_cbranch_execz .LBB25_248
; %bb.247:                              ;   in Loop: Header=BB25_244 Depth=2
	v_mul_f32_e32 v73, v0, v0
	s_delay_alu instid0(VALU_DEP_1) | instskip(NEXT) | instid1(VALU_DEP_1)
	v_fmaak_f32 v74, s41, v73, 0x3ca908c9
	v_fmaak_f32 v74, v73, v74, 0xbd5c1c4e
	s_delay_alu instid0(VALU_DEP_1) | instskip(NEXT) | instid1(VALU_DEP_1)
	v_fmaak_f32 v74, v73, v74, 0x3e088382
	v_fmaak_f32 v74, v73, v74, 0xbeaaaa99
	s_delay_alu instid0(VALU_DEP_1) | instskip(NEXT) | instid1(VALU_DEP_1)
	v_mul_f32_e64 v74, |v0|, v74
	v_fma_f32 v114, v73, v74, |v0|
.LBB25_248:                             ;   in Loop: Header=BB25_244 Depth=2
	s_wait_alu 0xfffe
	s_or_b32 exec_lo, exec_lo, s3
	v_cmp_ngt_f32_e64 s3, 0x3f200000, |v1|
                                        ; implicit-def: $vgpr152
	s_and_saveexec_b32 s4, s3
	s_wait_alu 0xfffe
	s_xor_b32 s3, exec_lo, s4
	s_cbranch_execz .LBB25_250
; %bb.249:                              ;   in Loop: Header=BB25_244 Depth=2
	v_add_f32_e64 v73, |v1|, |v1|
	s_delay_alu instid0(VALU_DEP_1) | instskip(SKIP_1) | instid1(VALU_DEP_2)
	v_mul_f32_e32 v74, 0x3fb8aa3b, v73
	v_cmp_ngt_f32_e32 vcc_lo, 0xc2ce8ed0, v73
	v_rndne_f32_e32 v108, v74
	v_fma_f32 v122, 0x3fb8aa3b, v73, -v74
	s_delay_alu instid0(VALU_DEP_2) | instskip(NEXT) | instid1(VALU_DEP_2)
	v_sub_f32_e32 v74, v74, v108
	v_fmac_f32_e32 v122, 0x32a5705f, v73
	v_cvt_i32_f32_e32 v108, v108
	s_delay_alu instid0(VALU_DEP_2) | instskip(NEXT) | instid1(VALU_DEP_1)
	v_add_f32_e32 v74, v74, v122
	v_exp_f32_e32 v74, v74
	s_delay_alu instid0(TRANS32_DEP_1) | instskip(SKIP_1) | instid1(VALU_DEP_1)
	v_ldexp_f32 v74, v74, v108
	s_wait_alu 0xfffd
	v_cndmask_b32_e32 v74, 0, v74, vcc_lo
	v_cmp_nlt_f32_e32 vcc_lo, 0x42b17218, v73
	s_wait_alu 0xfffd
	s_delay_alu instid0(VALU_DEP_2) | instskip(NEXT) | instid1(VALU_DEP_1)
	v_cndmask_b32_e32 v73, 0x7f800000, v74, vcc_lo
	v_add_f32_e32 v73, 1.0, v73
	s_delay_alu instid0(VALU_DEP_1) | instskip(NEXT) | instid1(TRANS32_DEP_1)
	v_rcp_f32_e32 v73, v73
	v_fma_f32 v152, v73, -2.0, 1.0
.LBB25_250:                             ;   in Loop: Header=BB25_244 Depth=2
	s_wait_alu 0xfffe
	s_and_not1_saveexec_b32 s3, s3
	s_cbranch_execz .LBB25_252
; %bb.251:                              ;   in Loop: Header=BB25_244 Depth=2
	v_mul_f32_e32 v73, v1, v1
	s_delay_alu instid0(VALU_DEP_1) | instskip(NEXT) | instid1(VALU_DEP_1)
	v_fmaak_f32 v74, s41, v73, 0x3ca908c9
	v_fmaak_f32 v74, v73, v74, 0xbd5c1c4e
	s_delay_alu instid0(VALU_DEP_1) | instskip(NEXT) | instid1(VALU_DEP_1)
	v_fmaak_f32 v74, v73, v74, 0x3e088382
	v_fmaak_f32 v74, v73, v74, 0xbeaaaa99
	s_delay_alu instid0(VALU_DEP_1) | instskip(NEXT) | instid1(VALU_DEP_1)
	v_mul_f32_e64 v74, |v1|, v74
	v_fma_f32 v152, v73, v74, |v1|
.LBB25_252:                             ;   in Loop: Header=BB25_244 Depth=2
	s_wait_alu 0xfffe
	s_or_b32 exec_lo, exec_lo, s3
	v_cmp_ngt_f32_e64 s3, 0x3f200000, |v2|
                                        ; implicit-def: $vgpr122
	s_and_saveexec_b32 s4, s3
	s_wait_alu 0xfffe
	s_xor_b32 s3, exec_lo, s4
	s_cbranch_execz .LBB25_254
; %bb.253:                              ;   in Loop: Header=BB25_244 Depth=2
	v_add_f32_e64 v73, |v2|, |v2|
	s_delay_alu instid0(VALU_DEP_1) | instskip(SKIP_1) | instid1(VALU_DEP_2)
	v_mul_f32_e32 v74, 0x3fb8aa3b, v73
	v_cmp_ngt_f32_e32 vcc_lo, 0xc2ce8ed0, v73
	v_rndne_f32_e32 v108, v74
	v_fma_f32 v122, 0x3fb8aa3b, v73, -v74
	s_delay_alu instid0(VALU_DEP_2) | instskip(NEXT) | instid1(VALU_DEP_2)
	v_sub_f32_e32 v74, v74, v108
	v_fmac_f32_e32 v122, 0x32a5705f, v73
	v_cvt_i32_f32_e32 v108, v108
	s_delay_alu instid0(VALU_DEP_2) | instskip(NEXT) | instid1(VALU_DEP_1)
	v_add_f32_e32 v74, v74, v122
	v_exp_f32_e32 v74, v74
	s_delay_alu instid0(TRANS32_DEP_1) | instskip(SKIP_1) | instid1(VALU_DEP_1)
	v_ldexp_f32 v74, v74, v108
	s_wait_alu 0xfffd
	v_cndmask_b32_e32 v74, 0, v74, vcc_lo
	v_cmp_nlt_f32_e32 vcc_lo, 0x42b17218, v73
	s_wait_alu 0xfffd
	s_delay_alu instid0(VALU_DEP_2) | instskip(NEXT) | instid1(VALU_DEP_1)
	v_cndmask_b32_e32 v73, 0x7f800000, v74, vcc_lo
	v_add_f32_e32 v73, 1.0, v73
	s_delay_alu instid0(VALU_DEP_1) | instskip(NEXT) | instid1(TRANS32_DEP_1)
	v_rcp_f32_e32 v73, v73
	v_fma_f32 v122, v73, -2.0, 1.0
.LBB25_254:                             ;   in Loop: Header=BB25_244 Depth=2
	s_wait_alu 0xfffe
	s_and_not1_saveexec_b32 s3, s3
	s_cbranch_execz .LBB25_256
; %bb.255:                              ;   in Loop: Header=BB25_244 Depth=2
	v_mul_f32_e32 v73, v2, v2
	s_delay_alu instid0(VALU_DEP_1) | instskip(NEXT) | instid1(VALU_DEP_1)
	v_fmaak_f32 v74, s41, v73, 0x3ca908c9
	v_fmaak_f32 v74, v73, v74, 0xbd5c1c4e
	s_delay_alu instid0(VALU_DEP_1) | instskip(NEXT) | instid1(VALU_DEP_1)
	v_fmaak_f32 v74, v73, v74, 0x3e088382
	v_fmaak_f32 v74, v73, v74, 0xbeaaaa99
	s_delay_alu instid0(VALU_DEP_1) | instskip(NEXT) | instid1(VALU_DEP_1)
	v_mul_f32_e64 v74, |v2|, v74
	v_fma_f32 v122, v73, v74, |v2|
.LBB25_256:                             ;   in Loop: Header=BB25_244 Depth=2
	s_wait_alu 0xfffe
	s_or_b32 exec_lo, exec_lo, s3
	v_cmp_ngt_f32_e64 s3, 0x3f200000, |v3|
                                        ; implicit-def: $vgpr108
	s_and_saveexec_b32 s4, s3
	s_wait_alu 0xfffe
	s_xor_b32 s3, exec_lo, s4
	s_cbranch_execz .LBB25_258
; %bb.257:                              ;   in Loop: Header=BB25_244 Depth=2
	v_add_f32_e64 v73, |v3|, |v3|
	s_delay_alu instid0(VALU_DEP_1) | instskip(SKIP_1) | instid1(VALU_DEP_2)
	v_mul_f32_e32 v74, 0x3fb8aa3b, v73
	v_cmp_ngt_f32_e32 vcc_lo, 0xc2ce8ed0, v73
	v_rndne_f32_e32 v108, v74
	v_fma_f32 v125, 0x3fb8aa3b, v73, -v74
	s_delay_alu instid0(VALU_DEP_1) | instskip(SKIP_1) | instid1(VALU_DEP_2)
	v_dual_sub_f32 v74, v74, v108 :: v_dual_fmac_f32 v125, 0x32a5705f, v73
	v_cvt_i32_f32_e32 v108, v108
	v_add_f32_e32 v74, v74, v125
	s_delay_alu instid0(VALU_DEP_1) | instskip(NEXT) | instid1(TRANS32_DEP_1)
	v_exp_f32_e32 v74, v74
	v_ldexp_f32 v74, v74, v108
	s_wait_alu 0xfffd
	s_delay_alu instid0(VALU_DEP_1) | instskip(SKIP_2) | instid1(VALU_DEP_2)
	v_cndmask_b32_e32 v74, 0, v74, vcc_lo
	v_cmp_nlt_f32_e32 vcc_lo, 0x42b17218, v73
	s_wait_alu 0xfffd
	v_cndmask_b32_e32 v73, 0x7f800000, v74, vcc_lo
	s_delay_alu instid0(VALU_DEP_1) | instskip(NEXT) | instid1(VALU_DEP_1)
	v_add_f32_e32 v73, 1.0, v73
	v_rcp_f32_e32 v73, v73
	s_delay_alu instid0(TRANS32_DEP_1)
	v_fma_f32 v108, v73, -2.0, 1.0
.LBB25_258:                             ;   in Loop: Header=BB25_244 Depth=2
	s_wait_alu 0xfffe
	s_and_not1_saveexec_b32 s3, s3
	s_cbranch_execz .LBB25_260
; %bb.259:                              ;   in Loop: Header=BB25_244 Depth=2
	v_mul_f32_e32 v73, v3, v3
	s_delay_alu instid0(VALU_DEP_1) | instskip(NEXT) | instid1(VALU_DEP_1)
	v_fmaak_f32 v74, s41, v73, 0x3ca908c9
	v_fmaak_f32 v74, v73, v74, 0xbd5c1c4e
	s_delay_alu instid0(VALU_DEP_1) | instskip(NEXT) | instid1(VALU_DEP_1)
	v_fmaak_f32 v74, v73, v74, 0x3e088382
	v_fmaak_f32 v74, v73, v74, 0xbeaaaa99
	s_delay_alu instid0(VALU_DEP_1) | instskip(NEXT) | instid1(VALU_DEP_1)
	v_mul_f32_e64 v74, |v3|, v74
	v_fma_f32 v108, v73, v74, |v3|
.LBB25_260:                             ;   in Loop: Header=BB25_244 Depth=2
	s_wait_alu 0xfffe
	s_or_b32 exec_lo, exec_lo, s3
	v_cmp_ngt_f32_e64 s3, 0x3f200000, |v4|
                                        ; implicit-def: $vgpr125
	s_and_saveexec_b32 s4, s3
	s_wait_alu 0xfffe
	s_xor_b32 s3, exec_lo, s4
	s_cbranch_execz .LBB25_262
; %bb.261:                              ;   in Loop: Header=BB25_244 Depth=2
	v_add_f32_e64 v73, |v4|, |v4|
	s_delay_alu instid0(VALU_DEP_1) | instskip(SKIP_1) | instid1(VALU_DEP_2)
	v_mul_f32_e32 v74, 0x3fb8aa3b, v73
	v_cmp_ngt_f32_e32 vcc_lo, 0xc2ce8ed0, v73
	v_rndne_f32_e32 v125, v74
	v_fma_f32 v126, 0x3fb8aa3b, v73, -v74
	s_delay_alu instid0(VALU_DEP_2) | instskip(NEXT) | instid1(VALU_DEP_2)
	v_sub_f32_e32 v74, v74, v125
	v_fmac_f32_e32 v126, 0x32a5705f, v73
	v_cvt_i32_f32_e32 v125, v125
	s_delay_alu instid0(VALU_DEP_2) | instskip(NEXT) | instid1(VALU_DEP_1)
	v_add_f32_e32 v74, v74, v126
	v_exp_f32_e32 v74, v74
	s_delay_alu instid0(TRANS32_DEP_1) | instskip(SKIP_1) | instid1(VALU_DEP_1)
	v_ldexp_f32 v74, v74, v125
	s_wait_alu 0xfffd
	v_cndmask_b32_e32 v74, 0, v74, vcc_lo
	v_cmp_nlt_f32_e32 vcc_lo, 0x42b17218, v73
	s_wait_alu 0xfffd
	s_delay_alu instid0(VALU_DEP_2) | instskip(NEXT) | instid1(VALU_DEP_1)
	v_cndmask_b32_e32 v73, 0x7f800000, v74, vcc_lo
	v_add_f32_e32 v73, 1.0, v73
	s_delay_alu instid0(VALU_DEP_1) | instskip(NEXT) | instid1(TRANS32_DEP_1)
	v_rcp_f32_e32 v73, v73
	v_fma_f32 v125, v73, -2.0, 1.0
.LBB25_262:                             ;   in Loop: Header=BB25_244 Depth=2
	s_wait_alu 0xfffe
	s_and_not1_saveexec_b32 s3, s3
	s_cbranch_execz .LBB25_264
; %bb.263:                              ;   in Loop: Header=BB25_244 Depth=2
	v_mul_f32_e32 v73, v4, v4
	s_delay_alu instid0(VALU_DEP_1) | instskip(NEXT) | instid1(VALU_DEP_1)
	v_fmaak_f32 v74, s41, v73, 0x3ca908c9
	v_fmaak_f32 v74, v73, v74, 0xbd5c1c4e
	s_delay_alu instid0(VALU_DEP_1) | instskip(NEXT) | instid1(VALU_DEP_1)
	v_fmaak_f32 v74, v73, v74, 0x3e088382
	v_fmaak_f32 v74, v73, v74, 0xbeaaaa99
	s_delay_alu instid0(VALU_DEP_1) | instskip(NEXT) | instid1(VALU_DEP_1)
	v_mul_f32_e64 v74, |v4|, v74
	v_fma_f32 v125, v73, v74, |v4|
.LBB25_264:                             ;   in Loop: Header=BB25_244 Depth=2
	s_wait_alu 0xfffe
	s_or_b32 exec_lo, exec_lo, s3
	v_cmp_ngt_f32_e64 s3, 0x3f200000, |v5|
                                        ; implicit-def: $vgpr126
	s_and_saveexec_b32 s4, s3
	s_wait_alu 0xfffe
	s_xor_b32 s3, exec_lo, s4
	s_cbranch_execz .LBB25_266
; %bb.265:                              ;   in Loop: Header=BB25_244 Depth=2
	v_add_f32_e64 v73, |v5|, |v5|
	s_delay_alu instid0(VALU_DEP_1) | instskip(SKIP_1) | instid1(VALU_DEP_2)
	v_mul_f32_e32 v74, 0x3fb8aa3b, v73
	v_cmp_ngt_f32_e32 vcc_lo, 0xc2ce8ed0, v73
	v_rndne_f32_e32 v126, v74
	v_fma_f32 v127, 0x3fb8aa3b, v73, -v74
	s_delay_alu instid0(VALU_DEP_1) | instskip(SKIP_1) | instid1(VALU_DEP_2)
	v_dual_sub_f32 v74, v74, v126 :: v_dual_fmac_f32 v127, 0x32a5705f, v73
	v_cvt_i32_f32_e32 v126, v126
	v_add_f32_e32 v74, v74, v127
	s_delay_alu instid0(VALU_DEP_1) | instskip(NEXT) | instid1(TRANS32_DEP_1)
	v_exp_f32_e32 v74, v74
	v_ldexp_f32 v74, v74, v126
	s_wait_alu 0xfffd
	s_delay_alu instid0(VALU_DEP_1) | instskip(SKIP_2) | instid1(VALU_DEP_2)
	v_cndmask_b32_e32 v74, 0, v74, vcc_lo
	v_cmp_nlt_f32_e32 vcc_lo, 0x42b17218, v73
	s_wait_alu 0xfffd
	v_cndmask_b32_e32 v73, 0x7f800000, v74, vcc_lo
	s_delay_alu instid0(VALU_DEP_1) | instskip(NEXT) | instid1(VALU_DEP_1)
	v_add_f32_e32 v73, 1.0, v73
	v_rcp_f32_e32 v73, v73
	s_delay_alu instid0(TRANS32_DEP_1)
	v_fma_f32 v126, v73, -2.0, 1.0
.LBB25_266:                             ;   in Loop: Header=BB25_244 Depth=2
	s_wait_alu 0xfffe
	s_and_not1_saveexec_b32 s3, s3
	s_cbranch_execz .LBB25_268
; %bb.267:                              ;   in Loop: Header=BB25_244 Depth=2
	v_mul_f32_e32 v73, v5, v5
	s_delay_alu instid0(VALU_DEP_1) | instskip(NEXT) | instid1(VALU_DEP_1)
	v_fmaak_f32 v74, s41, v73, 0x3ca908c9
	v_fmaak_f32 v74, v73, v74, 0xbd5c1c4e
	s_delay_alu instid0(VALU_DEP_1) | instskip(NEXT) | instid1(VALU_DEP_1)
	v_fmaak_f32 v74, v73, v74, 0x3e088382
	v_fmaak_f32 v74, v73, v74, 0xbeaaaa99
	s_delay_alu instid0(VALU_DEP_1) | instskip(NEXT) | instid1(VALU_DEP_1)
	v_mul_f32_e64 v74, |v5|, v74
	v_fma_f32 v126, v73, v74, |v5|
.LBB25_268:                             ;   in Loop: Header=BB25_244 Depth=2
	s_wait_alu 0xfffe
	s_or_b32 exec_lo, exec_lo, s3
	v_cmp_ngt_f32_e64 s3, 0x3f200000, |v6|
                                        ; implicit-def: $vgpr127
	s_and_saveexec_b32 s4, s3
	s_wait_alu 0xfffe
	s_xor_b32 s3, exec_lo, s4
	s_cbranch_execz .LBB25_270
; %bb.269:                              ;   in Loop: Header=BB25_244 Depth=2
	v_add_f32_e64 v73, |v6|, |v6|
	s_delay_alu instid0(VALU_DEP_1) | instskip(SKIP_1) | instid1(VALU_DEP_2)
	v_mul_f32_e32 v74, 0x3fb8aa3b, v73
	v_cmp_ngt_f32_e32 vcc_lo, 0xc2ce8ed0, v73
	v_rndne_f32_e32 v127, v74
	v_fma_f32 v128, 0x3fb8aa3b, v73, -v74
	s_delay_alu instid0(VALU_DEP_2) | instskip(NEXT) | instid1(VALU_DEP_2)
	v_sub_f32_e32 v74, v74, v127
	v_fmac_f32_e32 v128, 0x32a5705f, v73
	v_cvt_i32_f32_e32 v127, v127
	s_delay_alu instid0(VALU_DEP_2) | instskip(NEXT) | instid1(VALU_DEP_1)
	v_add_f32_e32 v74, v74, v128
	v_exp_f32_e32 v74, v74
	s_delay_alu instid0(TRANS32_DEP_1) | instskip(SKIP_1) | instid1(VALU_DEP_1)
	v_ldexp_f32 v74, v74, v127
	s_wait_alu 0xfffd
	v_cndmask_b32_e32 v74, 0, v74, vcc_lo
	v_cmp_nlt_f32_e32 vcc_lo, 0x42b17218, v73
	s_wait_alu 0xfffd
	s_delay_alu instid0(VALU_DEP_2) | instskip(NEXT) | instid1(VALU_DEP_1)
	v_cndmask_b32_e32 v73, 0x7f800000, v74, vcc_lo
	v_add_f32_e32 v73, 1.0, v73
	s_delay_alu instid0(VALU_DEP_1) | instskip(NEXT) | instid1(TRANS32_DEP_1)
	v_rcp_f32_e32 v73, v73
	v_fma_f32 v127, v73, -2.0, 1.0
.LBB25_270:                             ;   in Loop: Header=BB25_244 Depth=2
	s_wait_alu 0xfffe
	s_and_not1_saveexec_b32 s3, s3
	s_cbranch_execz .LBB25_272
; %bb.271:                              ;   in Loop: Header=BB25_244 Depth=2
	v_mul_f32_e32 v73, v6, v6
	s_delay_alu instid0(VALU_DEP_1) | instskip(NEXT) | instid1(VALU_DEP_1)
	v_fmaak_f32 v74, s41, v73, 0x3ca908c9
	v_fmaak_f32 v74, v73, v74, 0xbd5c1c4e
	s_delay_alu instid0(VALU_DEP_1) | instskip(NEXT) | instid1(VALU_DEP_1)
	v_fmaak_f32 v74, v73, v74, 0x3e088382
	v_fmaak_f32 v74, v73, v74, 0xbeaaaa99
	s_delay_alu instid0(VALU_DEP_1) | instskip(NEXT) | instid1(VALU_DEP_1)
	v_mul_f32_e64 v74, |v6|, v74
	v_fma_f32 v127, v73, v74, |v6|
.LBB25_272:                             ;   in Loop: Header=BB25_244 Depth=2
	s_wait_alu 0xfffe
	s_or_b32 exec_lo, exec_lo, s3
	v_cmp_ngt_f32_e64 s3, 0x3f200000, |v7|
                                        ; implicit-def: $vgpr128
	s_and_saveexec_b32 s4, s3
	s_wait_alu 0xfffe
	s_xor_b32 s3, exec_lo, s4
	s_cbranch_execz .LBB25_274
; %bb.273:                              ;   in Loop: Header=BB25_244 Depth=2
	v_add_f32_e64 v73, |v7|, |v7|
	s_delay_alu instid0(VALU_DEP_1) | instskip(SKIP_1) | instid1(VALU_DEP_2)
	v_mul_f32_e32 v74, 0x3fb8aa3b, v73
	v_cmp_ngt_f32_e32 vcc_lo, 0xc2ce8ed0, v73
	v_rndne_f32_e32 v128, v74
	v_fma_f32 v129, 0x3fb8aa3b, v73, -v74
	s_delay_alu instid0(VALU_DEP_1) | instskip(SKIP_1) | instid1(VALU_DEP_2)
	v_dual_sub_f32 v74, v74, v128 :: v_dual_fmac_f32 v129, 0x32a5705f, v73
	v_cvt_i32_f32_e32 v128, v128
	v_add_f32_e32 v74, v74, v129
	s_delay_alu instid0(VALU_DEP_1) | instskip(NEXT) | instid1(TRANS32_DEP_1)
	v_exp_f32_e32 v74, v74
	v_ldexp_f32 v74, v74, v128
	s_wait_alu 0xfffd
	s_delay_alu instid0(VALU_DEP_1) | instskip(SKIP_2) | instid1(VALU_DEP_2)
	v_cndmask_b32_e32 v74, 0, v74, vcc_lo
	v_cmp_nlt_f32_e32 vcc_lo, 0x42b17218, v73
	s_wait_alu 0xfffd
	v_cndmask_b32_e32 v73, 0x7f800000, v74, vcc_lo
	s_delay_alu instid0(VALU_DEP_1) | instskip(NEXT) | instid1(VALU_DEP_1)
	v_add_f32_e32 v73, 1.0, v73
	v_rcp_f32_e32 v73, v73
	s_delay_alu instid0(TRANS32_DEP_1)
	v_fma_f32 v128, v73, -2.0, 1.0
.LBB25_274:                             ;   in Loop: Header=BB25_244 Depth=2
	s_wait_alu 0xfffe
	s_and_not1_saveexec_b32 s3, s3
	s_cbranch_execz .LBB25_276
; %bb.275:                              ;   in Loop: Header=BB25_244 Depth=2
	v_mul_f32_e32 v73, v7, v7
	s_delay_alu instid0(VALU_DEP_1) | instskip(NEXT) | instid1(VALU_DEP_1)
	v_fmaak_f32 v74, s41, v73, 0x3ca908c9
	v_fmaak_f32 v74, v73, v74, 0xbd5c1c4e
	s_delay_alu instid0(VALU_DEP_1) | instskip(NEXT) | instid1(VALU_DEP_1)
	v_fmaak_f32 v74, v73, v74, 0x3e088382
	v_fmaak_f32 v74, v73, v74, 0xbeaaaa99
	s_delay_alu instid0(VALU_DEP_1) | instskip(NEXT) | instid1(VALU_DEP_1)
	v_mul_f32_e64 v74, |v7|, v74
	v_fma_f32 v128, v73, v74, |v7|
.LBB25_276:                             ;   in Loop: Header=BB25_244 Depth=2
	s_wait_alu 0xfffe
	s_or_b32 exec_lo, exec_lo, s3
	v_bfi_b32 v114, 0x7fffffff, v114, v0
	v_add_co_u32 v0, vcc_lo, v113, v188
	v_bfi_b32 v174, 0x7fffffff, v152, v1
	v_bfi_b32 v246, 0x7fffffff, v125, v4
	s_wait_alu 0xfffd
	v_add_co_ci_u32_e64 v1, null, 0, v162, vcc_lo
	v_add_co_u32 v4, vcc_lo, v223, v188
	v_bfi_b32 v122, 0x7fffffff, v122, v2
	v_add_nc_u32_e32 v2, 0x2200, v138
	v_bfi_b32 v108, 0x7fffffff, v108, v3
	v_bfi_b32 v247, 0x7fffffff, v126, v5
	s_wait_alu 0xfffd
	v_add_co_ci_u32_e64 v5, null, 0, v112, vcc_lo
	v_add_nc_u32_e32 v3, 0x2208, v138
	v_bfi_b32 v248, 0x7fffffff, v127, v6
	v_bfi_b32 v249, 0x7fffffff, v128, v7
	ds_load_2addr_b32 v[240:241], v2 offset1:1
	ds_load_2addr_b32 v[242:243], v3 offset1:1
	global_load_b128 v[0:3], v[0:1], off
	global_load_b128 v[4:7], v[4:5], off
	v_add_nc_u32_e32 v73, 0x400, v140
	s_add_co_i32 s42, s42, -1
	s_wait_loadcnt 0x1
	ds_store_b128 v136, v[0:3]
	s_wait_loadcnt 0x0
	ds_store_b128 v194, v[4:7]
	v_add_co_u32 v0, vcc_lo, v181, v188
	s_wait_alu 0xfffd
	v_add_co_ci_u32_e64 v1, null, 0, v222, vcc_lo
	v_add_co_u32 v4, vcc_lo, v111, v188
	s_wait_alu 0xfffd
	v_add_co_ci_u32_e64 v5, null, 0, v159, vcc_lo
	global_load_b128 v[0:3], v[0:1], off
	global_load_b128 v[4:7], v[4:5], off
	s_wait_dscnt 0x3
	v_fma_mix_f32 v122, s33, v122, v241 op_sel_hi:[0,0,1]
	v_fma_mix_f32 v108, s33, v108, v241 op_sel:[0,0,1] op_sel_hi:[0,0,1]
	s_wait_dscnt 0x2
	v_fma_mix_f32 v241, s33, v248, v243 op_sel_hi:[0,0,1]
	s_wait_alu 0xfffe
	s_cmp_lg_u32 s42, 0
	s_wait_loadcnt 0x1
	ds_store_b128 v195, v[0:3]
	s_wait_loadcnt 0x0
	ds_store_b128 v196, v[4:7]
	v_add_co_u32 v0, vcc_lo, v180, v188
	s_wait_alu 0xfffd
	v_add_co_ci_u32_e64 v1, null, 0, v179, vcc_lo
	v_add_co_u32 v4, vcc_lo, v221, v188
	s_wait_alu 0xfffd
	v_add_co_ci_u32_e64 v5, null, 0, v110, vcc_lo
	global_load_b128 v[0:3], v[0:1], off
	global_load_b128 v[4:7], v[4:5], off
	s_wait_loadcnt 0x1
	ds_store_b128 v197, v[0:3]
	s_wait_loadcnt 0x0
	ds_store_b128 v198, v[4:7]
	v_add_co_u32 v0, vcc_lo, v156, v188
	s_wait_alu 0xfffd
	v_add_co_ci_u32_e64 v1, null, 0, v178, vcc_lo
	v_add_co_u32 v4, vcc_lo, v177, v188
	s_wait_alu 0xfffd
	v_add_co_ci_u32_e64 v5, null, 0, v220, vcc_lo
	global_load_b128 v[0:3], v[0:1], off
	global_load_b128 v[4:7], v[4:5], off
	s_wait_loadcnt 0x1
	ds_store_b128 v200, v[0:3]
	s_wait_loadcnt 0x0
	ds_store_b128 v201, v[4:7]
	s_wait_dscnt 0x0
	s_barrier_signal -1
	s_barrier_wait -1
	global_inv scope:SCOPE_SE
	ds_load_2addr_b32 v[0:1], v73 offset0:16 offset1:32
	ds_load_2addr_b32 v[4:5], v73 offset0:84 offset1:100
	ds_load_2addr_b32 v[125:126], v141 offset1:16
	ds_load_2addr_b32 v[128:129], v142 offset1:16
	s_wait_dscnt 0x2
	v_perm_b32 v127, v5, v1, 0x7060302
	v_perm_b32 v131, v5, v1, 0x5040100
	s_wait_dscnt 0x0
	v_perm_b32 v3, v128, v125, 0x7060302
	v_perm_b32 v7, v128, v125, 0x5040100
	;; [unrolled: 1-line block ×4, first 2 shown]
	ds_load_2addr_b32 v[129:130], v140 offset0:136 offset1:152
	ds_load_2addr_b32 v[149:150], v140 offset0:204 offset1:220
	v_perm_b32 v2, v4, v0, 0x7060302
	v_perm_b32 v6, v4, v0, 0x5040100
	s_wait_dscnt 0x0
	v_perm_b32 v1, v149, v129, 0x7060302
	v_perm_b32 v5, v149, v129, 0x5040100
	;; [unrolled: 1-line block ×4, first 2 shown]
	ds_load_2addr_b32 v[149:150], v140 offset1:16
	ds_load_2addr_b32 v[151:152], v140 offset0:68 offset1:84
	s_wait_dscnt 0x0
	v_perm_b32 v0, v151, v149, 0x7060302
	v_perm_b32 v4, v151, v149, 0x5040100
	;; [unrolled: 1-line block ×4, first 2 shown]
	ds_load_2addr_b32 v[149:150], v73 offset0:48 offset1:64
	ds_load_2addr_b32 v[228:229], v73 offset0:116 offset1:132
	;; [unrolled: 1-line block ×4, first 2 shown]
	s_wait_dscnt 0x2
	v_perm_b32 v234, v229, v150, 0x7060302
	v_perm_b32 v238, v229, v150, 0x5040100
	s_wait_dscnt 0x0
	v_perm_b32 v152, v235, v231, 0x7060302
	v_perm_b32 v231, v235, v231, 0x5040100
	;; [unrolled: 1-line block ×4, first 2 shown]
	ds_load_2addr_b32 v[236:237], v140 offset0:168 offset1:184
	ds_load_2addr_b32 v[73:74], v140 offset0:236 offset1:252
	v_perm_b32 v151, v228, v149, 0x7060302
	v_perm_b32 v230, v228, v149, 0x5040100
	s_wait_dscnt 0x0
	v_perm_b32 v150, v73, v236, 0x7060302
	v_perm_b32 v229, v73, v236, 0x5040100
	;; [unrolled: 1-line block ×4, first 2 shown]
	ds_load_2addr_b32 v[73:74], v140 offset0:32 offset1:48
	ds_load_2addr_b32 v[244:245], v140 offset0:100 offset1:116
	s_wait_loadcnt_dscnt 0x0
	s_barrier_signal -1
	s_barrier_wait -1
	global_inv scope:SCOPE_SE
	v_perm_b32 v149, v244, v73, 0x7060302
	v_perm_b32 v228, v244, v73, 0x5040100
	;; [unrolled: 1-line block ×4, first 2 shown]
	v_fma_mix_f32 v73, s33, v114, v240 op_sel_hi:[0,0,1]
	v_fma_mix_f32 v74, s33, v174, v240 op_sel:[0,0,1] op_sel_hi:[0,0,1]
	v_fma_mix_f32 v174, s33, v246, v242 op_sel_hi:[0,0,1]
	v_fma_mix_f32 v240, s33, v247, v242 op_sel:[0,0,1] op_sel_hi:[0,0,1]
	v_fma_mix_f32 v242, s33, v249, v243 op_sel:[0,0,1] op_sel_hi:[0,0,1]
	s_delay_alu instid0(VALU_DEP_4) | instskip(SKIP_1) | instid1(VALU_DEP_2)
	v_dual_add_f32 v114, 0x40051340, v73 :: v_dual_add_f32 v243, 0x40051340, v74
	v_add_f32_e32 v244, 0x40051340, v108
	v_max3_num_f32 v114, v182, v114, v243
	v_add_f32_e32 v243, 0x40051340, v122
	s_delay_alu instid0(VALU_DEP_1) | instskip(SKIP_1) | instid1(VALU_DEP_1)
	v_max3_num_f32 v114, v114, v243, v244
	v_dual_add_f32 v243, 0x40051340, v174 :: v_dual_add_f32 v244, 0x40051340, v240
	v_max3_num_f32 v114, v114, v243, v244
	v_dual_add_f32 v243, 0x40051340, v241 :: v_dual_add_f32 v244, 0x40051340, v242
	s_delay_alu instid0(VALU_DEP_1) | instskip(SKIP_3) | instid1(VALU_DEP_1)
	v_max3_num_f32 v114, v114, v243, v244
	ds_bpermute_b32 v243, v224, v114
	s_wait_dscnt 0x0
	v_max_num_f32_e32 v243, v243, v243
	v_max_num_f32_e32 v114, v114, v243
	s_delay_alu instid0(VALU_DEP_1)
	v_sub_f32_e32 v174, v174, v114
	v_sub_f32_e32 v108, v108, v114
	;; [unrolled: 1-line block ×5, first 2 shown]
	v_mul_f32_e32 v243, 0x3fb8aa3b, v174
	v_sub_f32_e32 v74, v74, v114
	v_sub_f32_e32 v73, v73, v114
	;; [unrolled: 1-line block ×3, first 2 shown]
	v_cmp_ngt_f32_e32 vcc_lo, 0xc2ce8ed0, v240
	v_fma_f32 v244, 0x3fb8aa3b, v174, -v243
	v_rndne_f32_e32 v245, v243
	v_cmp_ngt_f32_e64 s3, 0xc2ce8ed0, v241
	v_cmp_ngt_f32_e64 s4, 0xc2ce8ed0, v242
	;; [unrolled: 1-line block ×3, first 2 shown]
	s_delay_alu instid0(VALU_DEP_4) | instskip(SKIP_1) | instid1(VALU_DEP_2)
	v_dual_fmac_f32 v244, 0x32a5705f, v174 :: v_dual_sub_f32 v243, v243, v245
	v_cvt_i32_f32_e32 v245, v245
	v_dual_sub_f32 v182, v182, v114 :: v_dual_add_f32 v243, v243, v244
	v_mul_f32_e32 v244, 0x3fb8aa3b, v240
	s_delay_alu instid0(VALU_DEP_1) | instskip(SKIP_1) | instid1(VALU_DEP_2)
	v_fma_f32 v246, 0x3fb8aa3b, v240, -v244
	v_rndne_f32_e32 v247, v244
	v_fmac_f32_e32 v246, 0x32a5705f, v240
	s_delay_alu instid0(VALU_DEP_2) | instskip(SKIP_1) | instid1(VALU_DEP_1)
	v_sub_f32_e32 v244, v244, v247
	v_exp_f32_e32 v243, v243
	v_add_f32_e32 v244, v244, v246
	v_mul_f32_e32 v246, 0x3fb8aa3b, v241
	s_delay_alu instid0(VALU_DEP_2) | instskip(NEXT) | instid1(VALU_DEP_1)
	v_exp_f32_e32 v244, v244
	v_fma_f32 v248, 0x3fb8aa3b, v241, -v246
	v_rndne_f32_e32 v249, v246
	s_delay_alu instid0(TRANS32_DEP_2) | instskip(SKIP_1) | instid1(VALU_DEP_4)
	v_ldexp_f32 v243, v243, v245
	v_cvt_i32_f32_e32 v245, v247
	v_fmac_f32_e32 v248, 0x32a5705f, v241
	s_delay_alu instid0(VALU_DEP_4)
	v_sub_f32_e32 v246, v246, v249
	s_delay_alu instid0(TRANS32_DEP_1) | instid1(VALU_DEP_3)
	v_ldexp_f32 v244, v244, v245
	s_delay_alu instid0(VALU_DEP_2) | instskip(SKIP_2) | instid1(VALU_DEP_3)
	v_add_f32_e32 v246, v246, v248
	v_mul_f32_e32 v248, 0x3fb8aa3b, v242
	s_wait_alu 0xfffd
	v_cndmask_b32_e32 v244, 0, v244, vcc_lo
	v_cmp_nlt_f32_e32 vcc_lo, 0x42b17218, v240
	v_exp_f32_e32 v245, v246
	v_fma_f32 v250, 0x3fb8aa3b, v242, -v248
	v_rndne_f32_e32 v251, v248
	v_cvt_i32_f32_e32 v246, v249
	s_wait_alu 0xfffd
	v_cndmask_b32_e32 v244, 0x7f800000, v244, vcc_lo
	v_cmp_ngt_f32_e32 vcc_lo, 0xc2ce8ed0, v108
	v_fmac_f32_e32 v250, 0x32a5705f, v242
	v_sub_f32_e32 v248, v248, v251
	v_cvt_i32_f32_e32 v247, v251
	v_ldexp_f32 v245, v245, v246
	s_delay_alu instid0(VALU_DEP_3) | instskip(SKIP_1) | instid1(VALU_DEP_2)
	v_add_f32_e32 v248, v248, v250
	s_wait_alu 0xf1ff
	v_cndmask_b32_e64 v240, 0, v245, s3
	v_cmp_nlt_f32_e64 s3, 0x42b17218, v241
	s_delay_alu instid0(VALU_DEP_3) | instskip(SKIP_1) | instid1(VALU_DEP_1)
	v_exp_f32_e32 v246, v248
	s_wait_alu 0xf1ff
	v_cndmask_b32_e64 v245, 0x7f800000, v240, s3
	v_cmp_ngt_f32_e64 s3, 0xc2ce8ed0, v122
	s_delay_alu instid0(TRANS32_DEP_1) | instskip(SKIP_1) | instid1(VALU_DEP_2)
	v_ldexp_f32 v246, v246, v247
	v_cvt_f16_f32_e64 v247, v244
	v_cndmask_b32_e64 v241, 0, v246, s4
	v_cmp_nlt_f32_e64 s4, 0x42b17218, v242
	v_cndmask_b32_e64 v242, 0, v243, s5
	v_cmp_nlt_f32_e64 s5, 0x42b17218, v174
	s_wait_alu 0xf1ff
	s_delay_alu instid0(VALU_DEP_3) | instskip(SKIP_1) | instid1(VALU_DEP_3)
	v_cndmask_b32_e64 v246, 0x7f800000, v241, s4
	v_cvt_f16_f32_e64 v241, v245
	v_cndmask_b32_e64 v174, 0x7f800000, v242, s5
	s_delay_alu instid0(VALU_DEP_3) | instskip(NEXT) | instid1(VALU_DEP_2)
	v_cvt_f16_f32_e64 v242, v246
	v_cvt_f16_f32_e64 v240, v174
	s_delay_alu instid0(VALU_DEP_2) | instskip(NEXT) | instid1(VALU_DEP_2)
	v_perm_b32 v243, v242, v241, 0x5040100
	v_perm_b32 v242, v247, v240, 0x5040100
	v_mul_f32_e32 v240, 0x3fb8aa3b, v108
	s_delay_alu instid0(VALU_DEP_1) | instskip(SKIP_1) | instid1(VALU_DEP_1)
	v_fma_f32 v241, 0x3fb8aa3b, v108, -v240
	v_rndne_f32_e32 v247, v240
	v_dual_fmac_f32 v241, 0x32a5705f, v108 :: v_dual_sub_f32 v240, v240, v247
	v_cvt_i32_f32_e32 v247, v247
	s_delay_alu instid0(VALU_DEP_2) | instskip(NEXT) | instid1(VALU_DEP_1)
	v_dual_add_f32 v240, v240, v241 :: v_dual_mul_f32 v241, 0x3fb8aa3b, v122
	v_exp_f32_e32 v240, v240
	s_delay_alu instid0(VALU_DEP_1) | instskip(SKIP_1) | instid1(VALU_DEP_1)
	v_fma_f32 v248, 0x3fb8aa3b, v122, -v241
	v_rndne_f32_e32 v249, v241
	v_dual_fmac_f32 v248, 0x32a5705f, v122 :: v_dual_sub_f32 v241, v241, v249
	s_delay_alu instid0(TRANS32_DEP_1) | instskip(SKIP_1) | instid1(VALU_DEP_3)
	v_ldexp_f32 v240, v240, v247
	v_cvt_i32_f32_e32 v247, v249
	v_add_f32_e32 v241, v241, v248
	s_wait_alu 0xfffd
	s_delay_alu instid0(VALU_DEP_3) | instskip(SKIP_1) | instid1(VALU_DEP_3)
	v_cndmask_b32_e32 v240, 0, v240, vcc_lo
	v_cmp_nlt_f32_e32 vcc_lo, 0x42b17218, v108
	v_exp_f32_e32 v241, v241
	s_delay_alu instid0(TRANS32_DEP_1) | instskip(NEXT) | instid1(VALU_DEP_1)
	v_ldexp_f32 v241, v241, v247
	v_cndmask_b32_e64 v108, 0, v241, s3
	v_cmp_nlt_f32_e64 s3, 0x42b17218, v122
	s_wait_alu 0xfffd
	v_cndmask_b32_e32 v122, 0x7f800000, v240, vcc_lo
	v_cmp_ngt_f32_e32 vcc_lo, 0xc2ce8ed0, v74
	s_wait_alu 0xf1ff
	v_cndmask_b32_e64 v108, 0x7f800000, v108, s3
	s_delay_alu instid0(VALU_DEP_3) | instskip(SKIP_1) | instid1(VALU_DEP_3)
	v_cvt_f16_f32_e64 v241, v122
	v_cmp_ngt_f32_e64 s3, 0xc2ce8ed0, v73
	v_cvt_f16_f32_e64 v240, v108
	s_delay_alu instid0(VALU_DEP_1) | instskip(SKIP_1) | instid1(VALU_DEP_1)
	v_perm_b32 v241, v241, v240, 0x5040100
	v_mul_f32_e32 v240, 0x3fb8aa3b, v74
	v_fma_f32 v247, 0x3fb8aa3b, v74, -v240
	v_rndne_f32_e32 v248, v240
	s_delay_alu instid0(VALU_DEP_1) | instskip(SKIP_1) | instid1(VALU_DEP_2)
	v_dual_fmac_f32 v247, 0x32a5705f, v74 :: v_dual_sub_f32 v240, v240, v248
	v_cvt_i32_f32_e32 v248, v248
	v_dual_add_f32 v240, v240, v247 :: v_dual_mul_f32 v247, 0x3fb8aa3b, v73
	s_delay_alu instid0(VALU_DEP_1) | instskip(NEXT) | instid1(VALU_DEP_1)
	v_exp_f32_e32 v240, v240
	v_fma_f32 v249, 0x3fb8aa3b, v73, -v247
	v_rndne_f32_e32 v250, v247
	s_delay_alu instid0(VALU_DEP_2) | instskip(NEXT) | instid1(VALU_DEP_2)
	v_fmac_f32_e32 v249, 0x32a5705f, v73
	v_sub_f32_e32 v247, v247, v250
	s_delay_alu instid0(TRANS32_DEP_1) | instskip(SKIP_2) | instid1(VALU_DEP_2)
	v_ldexp_f32 v240, v240, v248
	v_cvt_i32_f32_e32 v248, v250
	s_wait_alu 0xfffd
	v_dual_add_f32 v247, v247, v249 :: v_dual_cndmask_b32 v240, 0, v240
	v_cmp_nlt_f32_e32 vcc_lo, 0x42b17218, v74
	s_delay_alu instid0(VALU_DEP_2) | instskip(NEXT) | instid1(TRANS32_DEP_1)
	v_exp_f32_e32 v247, v247
	v_ldexp_f32 v247, v247, v248
	s_wait_alu 0xf1ff
	s_delay_alu instid0(VALU_DEP_1) | instskip(SKIP_2) | instid1(VALU_DEP_1)
	v_cndmask_b32_e64 v74, 0, v247, s3
	v_cmp_nlt_f32_e64 s3, 0x42b17218, v73
	s_wait_alu 0xf1ff
	v_cndmask_b32_e64 v73, 0x7f800000, v74, s3
	s_wait_alu 0xfffd
	v_cndmask_b32_e32 v74, 0x7f800000, v240, vcc_lo
	v_cmp_ngt_f32_e32 vcc_lo, 0xc2ce8ed0, v182
	s_delay_alu instid0(VALU_DEP_3) | instskip(NEXT) | instid1(VALU_DEP_3)
	v_cvt_f16_f32_e64 v240, v73
	v_cvt_f16_f32_e64 v247, v74
	s_delay_alu instid0(VALU_DEP_1) | instskip(SKIP_1) | instid1(VALU_DEP_1)
	v_perm_b32 v240, v247, v240, 0x5040100
	v_mul_f32_e32 v247, 0x3fb8aa3b, v182
	v_fma_f32 v248, 0x3fb8aa3b, v182, -v247
	v_rndne_f32_e32 v249, v247
	s_delay_alu instid0(VALU_DEP_1) | instskip(NEXT) | instid1(VALU_DEP_1)
	v_dual_fmac_f32 v248, 0x32a5705f, v182 :: v_dual_sub_f32 v247, v247, v249
	v_add_f32_e32 v247, v247, v248
	v_cvt_i32_f32_e32 v248, v249
	s_delay_alu instid0(VALU_DEP_2) | instskip(NEXT) | instid1(TRANS32_DEP_1)
	v_exp_f32_e32 v247, v247
	v_ldexp_f32 v247, v247, v248
	s_wait_alu 0xfffd
	s_delay_alu instid0(VALU_DEP_1) | instskip(SKIP_2) | instid1(VALU_DEP_2)
	v_cndmask_b32_e32 v247, 0, v247, vcc_lo
	v_cmp_nlt_f32_e32 vcc_lo, 0x42b17218, v182
	s_wait_alu 0xfffd
	v_cndmask_b32_e32 v247, 0x7f800000, v247, vcc_lo
	v_cmp_le_f32_e32 vcc_lo, 0xc1a00000, v182
	s_wait_alu 0xfffd
	s_delay_alu instid0(VALU_DEP_2) | instskip(SKIP_3) | instid1(VALU_DEP_3)
	v_cndmask_b32_e32 v247, 0, v247, vcc_lo
	v_add_co_u32 v117, vcc_lo, v117, 64
	s_wait_alu 0xfffd
	v_add_co_ci_u32_e64 v118, null, 0, v118, vcc_lo
	v_cvt_f16_f32_e64 v182, v247
	v_add_co_u32 v119, vcc_lo, v119, 64
	s_wait_alu 0xfffd
	v_add_co_ci_u32_e64 v120, null, 0, v120, vcc_lo
	s_delay_alu instid0(VALU_DEP_3) | instskip(SKIP_3) | instid1(VALU_DEP_3)
	v_and_b32_e32 v182, 0xffff, v182
	v_add_co_u32 v113, vcc_lo, v113, s68
	s_wait_alu 0xfffd
	v_add_co_ci_u32_e64 v162, null, s69, v162, vcc_lo
	v_mul_u32_u24_e32 v182, 0x10001, v182
	v_add_co_u32 v223, vcc_lo, v223, s68
	s_wait_alu 0xfffd
	v_add_co_ci_u32_e64 v112, null, s69, v112, vcc_lo
	s_delay_alu instid0(VALU_DEP_3)
	v_pk_mul_f16 v28, v28, v182
	v_pk_mul_f16 v29, v29, v182
	;; [unrolled: 1-line block ×4, first 2 shown]
	v_add_co_u32 v181, vcc_lo, v181, s68
	s_wait_alu 0xfffd
	v_add_co_ci_u32_e64 v222, null, s69, v222, vcc_lo
	s_delay_alu instid0(VALU_DEP_3) | instskip(SKIP_4) | instid1(VALU_DEP_3)
	v_wmma_f16_16x16x16_f16 v[28:31], v[0:3], v[240:243], v[28:31]
	v_add_f32_e32 v0, v73, v74
	v_add_co_u32 v111, vcc_lo, v111, s68
	s_wait_alu 0xfffd
	v_add_co_ci_u32_e64 v159, null, s69, v159, vcc_lo
	v_add_f32_e32 v0, v108, v0
	v_add_co_u32 v180, vcc_lo, v180, s68
	s_wait_alu 0xfffd
	v_add_co_ci_u32_e64 v179, null, s69, v179, vcc_lo
	s_delay_alu instid0(VALU_DEP_3) | instskip(SKIP_3) | instid1(VALU_DEP_3)
	v_add_f32_e32 v0, v122, v0
	v_add_co_u32 v221, vcc_lo, v221, s68
	s_wait_alu 0xfffd
	v_add_co_ci_u32_e64 v110, null, s69, v110, vcc_lo
	v_add_f32_e32 v0, v174, v0
	v_add_co_u32 v156, vcc_lo, v156, s68
	s_wait_alu 0xfffd
	v_add_co_ci_u32_e64 v178, null, s69, v178, vcc_lo
	v_add_co_u32 v177, vcc_lo, v177, s68
	s_wait_alu 0xfffd
	v_add_co_ci_u32_e64 v220, null, s69, v220, vcc_lo
	v_add_co_u32 v109, vcc_lo, v109, s70
	v_add_f32_e32 v0, v244, v0
	s_wait_alu 0xfffd
	v_add_co_ci_u32_e64 v170, null, s71, v170, vcc_lo
	v_add_co_u32 v169, vcc_lo, v169, s70
	s_wait_alu 0xfffd
	v_add_co_ci_u32_e64 v167, null, s71, v167, vcc_lo
	v_add_co_u32 v166, vcc_lo, v166, s70
	v_add_f32_e32 v0, v245, v0
	s_wait_alu 0xfffd
	v_add_co_ci_u32_e64 v164, null, s71, v164, vcc_lo
	v_add_co_u32 v163, vcc_lo, v163, s70
	s_wait_alu 0xfffd
	v_add_co_ci_u32_e64 v161, null, s71, v161, vcc_lo
	v_add_co_u32 v160, vcc_lo, v160, s70
	;; [unrolled: 3-line block ×3, first 2 shown]
	v_pk_mul_f16 v36, v36, v182
	v_pk_mul_f16 v37, v37, v182
	;; [unrolled: 1-line block ×28, first 2 shown]
	v_add_f32_e32 v182, v246, v0
	s_wait_alu 0xfffd
	v_add_co_ci_u32_e64 v176, null, s71, v176, vcc_lo
	v_add_co_u32 v157, vcc_lo, v157, s70
	s_wait_alu 0xfffd
	v_add_co_ci_u32_e64 v155, null, s71, v155, vcc_lo
	v_add_co_u32 v154, vcc_lo, v154, s70
	v_wmma_f16_16x16x16_f16 v[36:39], v[4:7], v[240:243], v[36:39]
	v_wmma_f16_16x16x16_f16 v[32:35], v[129:132], v[240:243], v[32:35]
	;; [unrolled: 1-line block ×7, first 2 shown]
	v_fmac_f32_e32 v182, v219, v247
	s_wait_alu 0xfffd
	v_add_co_ci_u32_e64 v175, null, s71, v175, vcc_lo
	s_cbranch_scc0 .LBB25_279
; %bb.277:                              ;   in Loop: Header=BB25_244 Depth=2
	v_dual_mov_b32 v219, v182 :: v_dual_mov_b32 v182, v114
	s_branch .LBB25_244
.LBB25_278:                             ;   in Loop: Header=BB25_12 Depth=1
	v_dual_mov_b32 v39, 0 :: v_dual_mov_b32 v114, 0xfeffffff
	v_dual_mov_b32 v31, 0 :: v_dual_mov_b32 v182, 0
	s_mov_b64 s[4:5], 0
	s_delay_alu instid0(VALU_DEP_2) | instskip(NEXT) | instid1(VALU_DEP_2)
	v_dual_mov_b32 v38, v39 :: v_dual_mov_b32 v37, v39
	v_dual_mov_b32 v36, v39 :: v_dual_mov_b32 v29, v31
	;; [unrolled: 1-line block ×14, first 2 shown]
	v_mov_b32_e32 v10, v31
	v_mov_b32_e32 v8, v31
	s_branch .LBB25_280
.LBB25_279:                             ;   in Loop: Header=BB25_12 Depth=1
	v_mad_co_i64_i32 v[2:3], null, v183, s40, 0
	v_mad_co_i64_i32 v[0:1], null, v225, s40, 0
	s_lshl_b32 s56, s6, 5
	s_wait_alu 0xfffe
	s_mov_b64 s[4:5], s[56:57]
.LBB25_280:                             ;   in Loop: Header=BB25_12 Depth=1
	v_lshlrev_b32_e32 v4, 1, v134
	s_wait_alu 0xfffe
	s_lshl_b64 s[42:43], s[4:5], 1
	v_lshlrev_b64_e32 v[2:3], 1, v[2:3]
	s_wait_alu 0xfffe
	s_add_nc_u64 s[42:43], s[80:81], s[42:43]
	v_lshlrev_b64_e32 v[0:1], 1, v[0:1]
	s_wait_alu 0xfffe
	v_add_co_u32 v4, s3, s42, v4
	s_wait_alu 0xf1ff
	v_add_co_ci_u32_e64 v5, null, s43, 0, s3
	s_mul_u64 s[42:43], s[4:5], s[36:37]
	v_add_co_u32 v2, vcc_lo, v4, v2
	s_wait_alu 0xfffd
	v_add_co_ci_u32_e64 v3, null, v5, v3, vcc_lo
	v_add_co_u32 v0, vcc_lo, v4, v0
	s_wait_alu 0xfffd
	v_add_co_ci_u32_e64 v1, null, v5, v1, vcc_lo
	s_clause 0x1
	global_load_b32 v2, v[2:3], off
	global_load_b32 v0, v[0:1], off
	v_add_nc_u32_e32 v1, v193, v191
	s_wait_alu 0xfffe
	s_lshl_b64 s[42:43], s[42:43], 2
	s_wait_alu 0xfffe
	s_add_nc_u64 s[42:43], s[78:79], s[42:43]
	v_add_nc_u32_e32 v1, 0x2000, v1
	s_wait_loadcnt 0x0
	ds_store_2addr_b32 v1, v2, v0 offset0:128 offset1:208
	s_wait_alu 0xfffe
	v_add_co_u32 v0, vcc_lo, s42, v91
	s_wait_alu 0xfffd
	v_add_co_ci_u32_e64 v1, null, s43, v92, vcc_lo
	s_delay_alu instid0(VALU_DEP_2) | instskip(SKIP_1) | instid1(VALU_DEP_2)
	v_add_co_u32 v0, vcc_lo, v0, v189
	s_wait_alu 0xfffd
	v_add_co_ci_u32_e64 v1, null, 0, v1, vcc_lo
	v_add_co_u32 v2, vcc_lo, s42, v93
	s_wait_alu 0xfffd
	v_add_co_ci_u32_e64 v3, null, s43, v94, vcc_lo
	s_delay_alu instid0(VALU_DEP_2) | instskip(SKIP_1) | instid1(VALU_DEP_2)
	v_add_co_u32 v4, vcc_lo, v2, v189
	s_wait_alu 0xfffd
	v_add_co_ci_u32_e64 v5, null, 0, v3, vcc_lo
	s_clause 0x1
	global_load_b128 v[0:3], v[0:1], off
	global_load_b128 v[4:7], v[4:5], off
	s_wait_loadcnt 0x1
	ds_store_b128 v136, v[0:3]
	s_wait_loadcnt 0x0
	ds_store_b128 v194, v[4:7]
	v_add_co_u32 v0, vcc_lo, s42, v95
	s_wait_alu 0xfffd
	v_add_co_ci_u32_e64 v1, null, s43, v96, vcc_lo
	s_delay_alu instid0(VALU_DEP_2) | instskip(SKIP_1) | instid1(VALU_DEP_2)
	v_add_co_u32 v0, vcc_lo, v0, v189
	s_wait_alu 0xfffd
	v_add_co_ci_u32_e64 v1, null, 0, v1, vcc_lo
	v_add_co_u32 v2, vcc_lo, s42, v97
	s_wait_alu 0xfffd
	v_add_co_ci_u32_e64 v3, null, s43, v98, vcc_lo
	s_delay_alu instid0(VALU_DEP_2) | instskip(SKIP_1) | instid1(VALU_DEP_2)
	v_add_co_u32 v4, vcc_lo, v2, v189
	s_wait_alu 0xfffd
	v_add_co_ci_u32_e64 v5, null, 0, v3, vcc_lo
	s_clause 0x1
	global_load_b128 v[0:3], v[0:1], off
	global_load_b128 v[4:7], v[4:5], off
	s_wait_loadcnt 0x1
	ds_store_b128 v195, v[0:3]
	s_wait_loadcnt 0x0
	ds_store_b128 v196, v[4:7]
	;; [unrolled: 21-line block ×4, first 2 shown]
	s_wait_dscnt 0x0
	s_barrier_signal -1
	s_barrier_wait -1
	global_inv scope:SCOPE_SE
	ds_load_b128 v[108:111], v137
	ds_load_b128 v[117:120], v137 offset:32
	s_wait_dscnt 0x1
	v_wmma_f32_16x16x16_f16 v[0:7], v[108:111], v[68:71], 0
	s_wait_dscnt 0x0
	s_delay_alu instid0(VALU_DEP_1)
	v_wmma_f32_16x16x16_f16 v[0:7], v[117:120], v[64:67], v[0:7]
	ds_load_b128 v[64:67], v137 offset:64
	ds_load_b128 v[68:71], v137 offset:96
	s_wait_dscnt 0x1
	v_wmma_f32_16x16x16_f16 v[0:7], v[64:67], v[60:63], v[0:7]
	s_wait_dscnt 0x0
	s_delay_alu instid0(VALU_DEP_1)
	v_wmma_f32_16x16x16_f16 v[0:7], v[68:71], v[56:59], v[0:7]
	ds_load_b128 v[56:59], v137 offset:128
	;; [unrolled: 7-line block ×3, first 2 shown]
	ds_load_b128 v[52:55], v137 offset:224
	s_wait_loadcnt_dscnt 0x0
	s_barrier_signal -1
	s_barrier_wait -1
	global_inv scope:SCOPE_SE
	v_wmma_f32_16x16x16_f16 v[0:7], v[48:51], v[44:47], v[0:7]
	s_delay_alu instid0(VALU_DEP_1) | instskip(NEXT) | instid1(VALU_DEP_1)
	v_wmma_f32_16x16x16_f16 v[0:7], v[52:55], v[40:43], v[0:7]
                                        ; implicit-def: $vgpr40
	v_cmp_ngt_f32_e64 s3, 0x3f200000, |v0|
	s_and_saveexec_b32 s6, s3
	s_wait_alu 0xfffe
	s_xor_b32 s3, exec_lo, s6
	s_cbranch_execz .LBB25_282
; %bb.281:                              ;   in Loop: Header=BB25_12 Depth=1
	v_add_f32_e64 v40, |v0|, |v0|
	s_delay_alu instid0(VALU_DEP_1) | instskip(SKIP_1) | instid1(VALU_DEP_2)
	v_mul_f32_e32 v41, 0x3fb8aa3b, v40
	v_cmp_ngt_f32_e32 vcc_lo, 0xc2ce8ed0, v40
	v_rndne_f32_e32 v42, v41
	v_fma_f32 v43, 0x3fb8aa3b, v40, -v41
	s_delay_alu instid0(VALU_DEP_2) | instskip(NEXT) | instid1(VALU_DEP_2)
	v_sub_f32_e32 v41, v41, v42
	v_fmac_f32_e32 v43, 0x32a5705f, v40
	v_cvt_i32_f32_e32 v42, v42
	s_delay_alu instid0(VALU_DEP_2) | instskip(NEXT) | instid1(VALU_DEP_1)
	v_add_f32_e32 v41, v41, v43
	v_exp_f32_e32 v41, v41
	s_delay_alu instid0(TRANS32_DEP_1) | instskip(SKIP_1) | instid1(VALU_DEP_1)
	v_ldexp_f32 v41, v41, v42
	s_wait_alu 0xfffd
	v_cndmask_b32_e32 v41, 0, v41, vcc_lo
	v_cmp_nlt_f32_e32 vcc_lo, 0x42b17218, v40
	s_wait_alu 0xfffd
	s_delay_alu instid0(VALU_DEP_2) | instskip(NEXT) | instid1(VALU_DEP_1)
	v_cndmask_b32_e32 v40, 0x7f800000, v41, vcc_lo
	v_add_f32_e32 v40, 1.0, v40
	s_delay_alu instid0(VALU_DEP_1) | instskip(NEXT) | instid1(TRANS32_DEP_1)
	v_rcp_f32_e32 v40, v40
	v_fma_f32 v40, v40, -2.0, 1.0
.LBB25_282:                             ;   in Loop: Header=BB25_12 Depth=1
	s_wait_alu 0xfffe
	s_and_not1_saveexec_b32 s3, s3
	s_cbranch_execz .LBB25_284
; %bb.283:                              ;   in Loop: Header=BB25_12 Depth=1
	v_mul_f32_e32 v40, v0, v0
	s_delay_alu instid0(VALU_DEP_1) | instskip(NEXT) | instid1(VALU_DEP_1)
	v_fmaak_f32 v41, s41, v40, 0x3ca908c9
	v_fmaak_f32 v41, v40, v41, 0xbd5c1c4e
	s_delay_alu instid0(VALU_DEP_1) | instskip(NEXT) | instid1(VALU_DEP_1)
	v_fmaak_f32 v41, v40, v41, 0x3e088382
	v_fmaak_f32 v41, v40, v41, 0xbeaaaa99
	s_delay_alu instid0(VALU_DEP_1) | instskip(NEXT) | instid1(VALU_DEP_1)
	v_mul_f32_e64 v41, |v0|, v41
	v_fma_f32 v40, v40, v41, |v0|
.LBB25_284:                             ;   in Loop: Header=BB25_12 Depth=1
	s_wait_alu 0xfffe
	s_or_b32 exec_lo, exec_lo, s3
	v_cmp_ngt_f32_e64 s3, 0x3f200000, |v1|
                                        ; implicit-def: $vgpr41
	s_and_saveexec_b32 s6, s3
	s_wait_alu 0xfffe
	s_xor_b32 s3, exec_lo, s6
	s_cbranch_execz .LBB25_286
; %bb.285:                              ;   in Loop: Header=BB25_12 Depth=1
	v_add_f32_e64 v41, |v1|, |v1|
	s_delay_alu instid0(VALU_DEP_1) | instskip(SKIP_1) | instid1(VALU_DEP_2)
	v_mul_f32_e32 v42, 0x3fb8aa3b, v41
	v_cmp_ngt_f32_e32 vcc_lo, 0xc2ce8ed0, v41
	v_rndne_f32_e32 v43, v42
	v_fma_f32 v44, 0x3fb8aa3b, v41, -v42
	s_delay_alu instid0(VALU_DEP_2) | instskip(NEXT) | instid1(VALU_DEP_2)
	v_sub_f32_e32 v42, v42, v43
	v_fmac_f32_e32 v44, 0x32a5705f, v41
	v_cvt_i32_f32_e32 v43, v43
	s_delay_alu instid0(VALU_DEP_2) | instskip(NEXT) | instid1(VALU_DEP_1)
	v_add_f32_e32 v42, v42, v44
	v_exp_f32_e32 v42, v42
	s_delay_alu instid0(TRANS32_DEP_1) | instskip(SKIP_1) | instid1(VALU_DEP_1)
	v_ldexp_f32 v42, v42, v43
	s_wait_alu 0xfffd
	v_cndmask_b32_e32 v42, 0, v42, vcc_lo
	v_cmp_nlt_f32_e32 vcc_lo, 0x42b17218, v41
	s_wait_alu 0xfffd
	s_delay_alu instid0(VALU_DEP_2) | instskip(NEXT) | instid1(VALU_DEP_1)
	v_cndmask_b32_e32 v41, 0x7f800000, v42, vcc_lo
	v_add_f32_e32 v41, 1.0, v41
	s_delay_alu instid0(VALU_DEP_1) | instskip(NEXT) | instid1(TRANS32_DEP_1)
	v_rcp_f32_e32 v41, v41
	v_fma_f32 v41, v41, -2.0, 1.0
.LBB25_286:                             ;   in Loop: Header=BB25_12 Depth=1
	s_wait_alu 0xfffe
	s_and_not1_saveexec_b32 s3, s3
	s_cbranch_execz .LBB25_288
; %bb.287:                              ;   in Loop: Header=BB25_12 Depth=1
	v_mul_f32_e32 v41, v1, v1
	s_delay_alu instid0(VALU_DEP_1) | instskip(NEXT) | instid1(VALU_DEP_1)
	v_fmaak_f32 v42, s41, v41, 0x3ca908c9
	v_fmaak_f32 v42, v41, v42, 0xbd5c1c4e
	s_delay_alu instid0(VALU_DEP_1) | instskip(NEXT) | instid1(VALU_DEP_1)
	v_fmaak_f32 v42, v41, v42, 0x3e088382
	v_fmaak_f32 v42, v41, v42, 0xbeaaaa99
	s_delay_alu instid0(VALU_DEP_1) | instskip(NEXT) | instid1(VALU_DEP_1)
	v_mul_f32_e64 v42, |v1|, v42
	v_fma_f32 v41, v41, v42, |v1|
.LBB25_288:                             ;   in Loop: Header=BB25_12 Depth=1
	s_wait_alu 0xfffe
	s_or_b32 exec_lo, exec_lo, s3
	v_cmp_ngt_f32_e64 s3, 0x3f200000, |v2|
                                        ; implicit-def: $vgpr42
	s_and_saveexec_b32 s6, s3
	s_wait_alu 0xfffe
	s_xor_b32 s3, exec_lo, s6
	s_cbranch_execz .LBB25_290
; %bb.289:                              ;   in Loop: Header=BB25_12 Depth=1
	v_add_f32_e64 v42, |v2|, |v2|
	s_delay_alu instid0(VALU_DEP_1) | instskip(SKIP_1) | instid1(VALU_DEP_2)
	v_mul_f32_e32 v43, 0x3fb8aa3b, v42
	v_cmp_ngt_f32_e32 vcc_lo, 0xc2ce8ed0, v42
	v_rndne_f32_e32 v44, v43
	v_fma_f32 v45, 0x3fb8aa3b, v42, -v43
	s_delay_alu instid0(VALU_DEP_2) | instskip(NEXT) | instid1(VALU_DEP_2)
	v_sub_f32_e32 v43, v43, v44
	v_fmac_f32_e32 v45, 0x32a5705f, v42
	v_cvt_i32_f32_e32 v44, v44
	s_delay_alu instid0(VALU_DEP_2) | instskip(NEXT) | instid1(VALU_DEP_1)
	v_add_f32_e32 v43, v43, v45
	v_exp_f32_e32 v43, v43
	s_delay_alu instid0(TRANS32_DEP_1) | instskip(SKIP_1) | instid1(VALU_DEP_1)
	v_ldexp_f32 v43, v43, v44
	s_wait_alu 0xfffd
	v_cndmask_b32_e32 v43, 0, v43, vcc_lo
	v_cmp_nlt_f32_e32 vcc_lo, 0x42b17218, v42
	s_wait_alu 0xfffd
	s_delay_alu instid0(VALU_DEP_2) | instskip(NEXT) | instid1(VALU_DEP_1)
	v_cndmask_b32_e32 v42, 0x7f800000, v43, vcc_lo
	v_add_f32_e32 v42, 1.0, v42
	s_delay_alu instid0(VALU_DEP_1) | instskip(NEXT) | instid1(TRANS32_DEP_1)
	v_rcp_f32_e32 v42, v42
	v_fma_f32 v42, v42, -2.0, 1.0
.LBB25_290:                             ;   in Loop: Header=BB25_12 Depth=1
	s_wait_alu 0xfffe
	s_and_not1_saveexec_b32 s3, s3
	s_cbranch_execz .LBB25_292
; %bb.291:                              ;   in Loop: Header=BB25_12 Depth=1
	v_mul_f32_e32 v42, v2, v2
	s_delay_alu instid0(VALU_DEP_1) | instskip(NEXT) | instid1(VALU_DEP_1)
	v_fmaak_f32 v43, s41, v42, 0x3ca908c9
	v_fmaak_f32 v43, v42, v43, 0xbd5c1c4e
	s_delay_alu instid0(VALU_DEP_1) | instskip(NEXT) | instid1(VALU_DEP_1)
	v_fmaak_f32 v43, v42, v43, 0x3e088382
	v_fmaak_f32 v43, v42, v43, 0xbeaaaa99
	s_delay_alu instid0(VALU_DEP_1) | instskip(NEXT) | instid1(VALU_DEP_1)
	v_mul_f32_e64 v43, |v2|, v43
	v_fma_f32 v42, v42, v43, |v2|
.LBB25_292:                             ;   in Loop: Header=BB25_12 Depth=1
	s_wait_alu 0xfffe
	s_or_b32 exec_lo, exec_lo, s3
	v_cmp_ngt_f32_e64 s3, 0x3f200000, |v3|
                                        ; implicit-def: $vgpr43
	s_and_saveexec_b32 s6, s3
	s_wait_alu 0xfffe
	s_xor_b32 s3, exec_lo, s6
	s_cbranch_execz .LBB25_294
; %bb.293:                              ;   in Loop: Header=BB25_12 Depth=1
	v_add_f32_e64 v43, |v3|, |v3|
	s_delay_alu instid0(VALU_DEP_1) | instskip(SKIP_1) | instid1(VALU_DEP_2)
	v_mul_f32_e32 v44, 0x3fb8aa3b, v43
	v_cmp_ngt_f32_e32 vcc_lo, 0xc2ce8ed0, v43
	v_rndne_f32_e32 v45, v44
	v_fma_f32 v46, 0x3fb8aa3b, v43, -v44
	s_delay_alu instid0(VALU_DEP_2) | instskip(NEXT) | instid1(VALU_DEP_2)
	v_sub_f32_e32 v44, v44, v45
	v_fmac_f32_e32 v46, 0x32a5705f, v43
	v_cvt_i32_f32_e32 v45, v45
	s_delay_alu instid0(VALU_DEP_2) | instskip(NEXT) | instid1(VALU_DEP_1)
	v_add_f32_e32 v44, v44, v46
	v_exp_f32_e32 v44, v44
	s_delay_alu instid0(TRANS32_DEP_1) | instskip(SKIP_1) | instid1(VALU_DEP_1)
	v_ldexp_f32 v44, v44, v45
	s_wait_alu 0xfffd
	v_cndmask_b32_e32 v44, 0, v44, vcc_lo
	v_cmp_nlt_f32_e32 vcc_lo, 0x42b17218, v43
	s_wait_alu 0xfffd
	s_delay_alu instid0(VALU_DEP_2) | instskip(NEXT) | instid1(VALU_DEP_1)
	v_cndmask_b32_e32 v43, 0x7f800000, v44, vcc_lo
	v_add_f32_e32 v43, 1.0, v43
	s_delay_alu instid0(VALU_DEP_1) | instskip(NEXT) | instid1(TRANS32_DEP_1)
	v_rcp_f32_e32 v43, v43
	v_fma_f32 v43, v43, -2.0, 1.0
.LBB25_294:                             ;   in Loop: Header=BB25_12 Depth=1
	s_wait_alu 0xfffe
	s_and_not1_saveexec_b32 s3, s3
	s_cbranch_execz .LBB25_296
; %bb.295:                              ;   in Loop: Header=BB25_12 Depth=1
	v_mul_f32_e32 v43, v3, v3
	s_delay_alu instid0(VALU_DEP_1) | instskip(NEXT) | instid1(VALU_DEP_1)
	v_fmaak_f32 v44, s41, v43, 0x3ca908c9
	v_fmaak_f32 v44, v43, v44, 0xbd5c1c4e
	s_delay_alu instid0(VALU_DEP_1) | instskip(NEXT) | instid1(VALU_DEP_1)
	v_fmaak_f32 v44, v43, v44, 0x3e088382
	v_fmaak_f32 v44, v43, v44, 0xbeaaaa99
	s_delay_alu instid0(VALU_DEP_1) | instskip(NEXT) | instid1(VALU_DEP_1)
	v_mul_f32_e64 v44, |v3|, v44
	v_fma_f32 v43, v43, v44, |v3|
.LBB25_296:                             ;   in Loop: Header=BB25_12 Depth=1
	s_wait_alu 0xfffe
	s_or_b32 exec_lo, exec_lo, s3
	v_cmp_ngt_f32_e64 s3, 0x3f200000, |v4|
                                        ; implicit-def: $vgpr44
	s_and_saveexec_b32 s6, s3
	s_wait_alu 0xfffe
	s_xor_b32 s3, exec_lo, s6
	s_cbranch_execz .LBB25_298
; %bb.297:                              ;   in Loop: Header=BB25_12 Depth=1
	v_add_f32_e64 v44, |v4|, |v4|
	s_delay_alu instid0(VALU_DEP_1) | instskip(SKIP_1) | instid1(VALU_DEP_2)
	v_mul_f32_e32 v45, 0x3fb8aa3b, v44
	v_cmp_ngt_f32_e32 vcc_lo, 0xc2ce8ed0, v44
	v_rndne_f32_e32 v46, v45
	v_fma_f32 v47, 0x3fb8aa3b, v44, -v45
	s_delay_alu instid0(VALU_DEP_2) | instskip(NEXT) | instid1(VALU_DEP_2)
	v_sub_f32_e32 v45, v45, v46
	v_fmac_f32_e32 v47, 0x32a5705f, v44
	v_cvt_i32_f32_e32 v46, v46
	s_delay_alu instid0(VALU_DEP_2) | instskip(NEXT) | instid1(VALU_DEP_1)
	v_add_f32_e32 v45, v45, v47
	v_exp_f32_e32 v45, v45
	s_delay_alu instid0(TRANS32_DEP_1) | instskip(SKIP_1) | instid1(VALU_DEP_1)
	v_ldexp_f32 v45, v45, v46
	s_wait_alu 0xfffd
	v_cndmask_b32_e32 v45, 0, v45, vcc_lo
	v_cmp_nlt_f32_e32 vcc_lo, 0x42b17218, v44
	s_wait_alu 0xfffd
	s_delay_alu instid0(VALU_DEP_2) | instskip(NEXT) | instid1(VALU_DEP_1)
	v_cndmask_b32_e32 v44, 0x7f800000, v45, vcc_lo
	v_add_f32_e32 v44, 1.0, v44
	s_delay_alu instid0(VALU_DEP_1) | instskip(NEXT) | instid1(TRANS32_DEP_1)
	v_rcp_f32_e32 v44, v44
	v_fma_f32 v44, v44, -2.0, 1.0
.LBB25_298:                             ;   in Loop: Header=BB25_12 Depth=1
	s_wait_alu 0xfffe
	s_and_not1_saveexec_b32 s3, s3
	s_cbranch_execz .LBB25_300
; %bb.299:                              ;   in Loop: Header=BB25_12 Depth=1
	v_mul_f32_e32 v44, v4, v4
	s_delay_alu instid0(VALU_DEP_1) | instskip(NEXT) | instid1(VALU_DEP_1)
	v_fmaak_f32 v45, s41, v44, 0x3ca908c9
	v_fmaak_f32 v45, v44, v45, 0xbd5c1c4e
	s_delay_alu instid0(VALU_DEP_1) | instskip(NEXT) | instid1(VALU_DEP_1)
	v_fmaak_f32 v45, v44, v45, 0x3e088382
	v_fmaak_f32 v45, v44, v45, 0xbeaaaa99
	s_delay_alu instid0(VALU_DEP_1) | instskip(NEXT) | instid1(VALU_DEP_1)
	v_mul_f32_e64 v45, |v4|, v45
	v_fma_f32 v44, v44, v45, |v4|
.LBB25_300:                             ;   in Loop: Header=BB25_12 Depth=1
	s_wait_alu 0xfffe
	s_or_b32 exec_lo, exec_lo, s3
	v_cmp_ngt_f32_e64 s3, 0x3f200000, |v5|
                                        ; implicit-def: $vgpr45
	s_and_saveexec_b32 s6, s3
	s_wait_alu 0xfffe
	s_xor_b32 s3, exec_lo, s6
	s_cbranch_execz .LBB25_302
; %bb.301:                              ;   in Loop: Header=BB25_12 Depth=1
	v_add_f32_e64 v45, |v5|, |v5|
	s_delay_alu instid0(VALU_DEP_1) | instskip(SKIP_1) | instid1(VALU_DEP_2)
	v_mul_f32_e32 v46, 0x3fb8aa3b, v45
	v_cmp_ngt_f32_e32 vcc_lo, 0xc2ce8ed0, v45
	v_rndne_f32_e32 v47, v46
	v_fma_f32 v48, 0x3fb8aa3b, v45, -v46
	s_delay_alu instid0(VALU_DEP_2) | instskip(NEXT) | instid1(VALU_DEP_2)
	v_sub_f32_e32 v46, v46, v47
	v_fmac_f32_e32 v48, 0x32a5705f, v45
	v_cvt_i32_f32_e32 v47, v47
	s_delay_alu instid0(VALU_DEP_2) | instskip(NEXT) | instid1(VALU_DEP_1)
	v_add_f32_e32 v46, v46, v48
	v_exp_f32_e32 v46, v46
	s_delay_alu instid0(TRANS32_DEP_1) | instskip(SKIP_1) | instid1(VALU_DEP_1)
	v_ldexp_f32 v46, v46, v47
	s_wait_alu 0xfffd
	v_cndmask_b32_e32 v46, 0, v46, vcc_lo
	v_cmp_nlt_f32_e32 vcc_lo, 0x42b17218, v45
	s_wait_alu 0xfffd
	s_delay_alu instid0(VALU_DEP_2) | instskip(NEXT) | instid1(VALU_DEP_1)
	v_cndmask_b32_e32 v45, 0x7f800000, v46, vcc_lo
	v_add_f32_e32 v45, 1.0, v45
	s_delay_alu instid0(VALU_DEP_1) | instskip(NEXT) | instid1(TRANS32_DEP_1)
	v_rcp_f32_e32 v45, v45
	v_fma_f32 v45, v45, -2.0, 1.0
.LBB25_302:                             ;   in Loop: Header=BB25_12 Depth=1
	s_wait_alu 0xfffe
	s_and_not1_saveexec_b32 s3, s3
	s_cbranch_execz .LBB25_304
; %bb.303:                              ;   in Loop: Header=BB25_12 Depth=1
	v_mul_f32_e32 v45, v5, v5
	s_delay_alu instid0(VALU_DEP_1) | instskip(NEXT) | instid1(VALU_DEP_1)
	v_fmaak_f32 v46, s41, v45, 0x3ca908c9
	v_fmaak_f32 v46, v45, v46, 0xbd5c1c4e
	s_delay_alu instid0(VALU_DEP_1) | instskip(NEXT) | instid1(VALU_DEP_1)
	v_fmaak_f32 v46, v45, v46, 0x3e088382
	v_fmaak_f32 v46, v45, v46, 0xbeaaaa99
	s_delay_alu instid0(VALU_DEP_1) | instskip(NEXT) | instid1(VALU_DEP_1)
	v_mul_f32_e64 v46, |v5|, v46
	v_fma_f32 v45, v45, v46, |v5|
.LBB25_304:                             ;   in Loop: Header=BB25_12 Depth=1
	s_wait_alu 0xfffe
	s_or_b32 exec_lo, exec_lo, s3
	v_cmp_ngt_f32_e64 s3, 0x3f200000, |v6|
                                        ; implicit-def: $vgpr46
	s_and_saveexec_b32 s6, s3
	s_wait_alu 0xfffe
	s_xor_b32 s3, exec_lo, s6
	s_cbranch_execz .LBB25_306
; %bb.305:                              ;   in Loop: Header=BB25_12 Depth=1
	v_add_f32_e64 v46, |v6|, |v6|
	s_delay_alu instid0(VALU_DEP_1) | instskip(SKIP_1) | instid1(VALU_DEP_2)
	v_mul_f32_e32 v47, 0x3fb8aa3b, v46
	v_cmp_ngt_f32_e32 vcc_lo, 0xc2ce8ed0, v46
	v_rndne_f32_e32 v48, v47
	v_fma_f32 v49, 0x3fb8aa3b, v46, -v47
	s_delay_alu instid0(VALU_DEP_2) | instskip(NEXT) | instid1(VALU_DEP_2)
	v_sub_f32_e32 v47, v47, v48
	v_fmac_f32_e32 v49, 0x32a5705f, v46
	v_cvt_i32_f32_e32 v48, v48
	s_delay_alu instid0(VALU_DEP_2) | instskip(NEXT) | instid1(VALU_DEP_1)
	v_add_f32_e32 v47, v47, v49
	v_exp_f32_e32 v47, v47
	s_delay_alu instid0(TRANS32_DEP_1) | instskip(SKIP_1) | instid1(VALU_DEP_1)
	v_ldexp_f32 v47, v47, v48
	s_wait_alu 0xfffd
	v_cndmask_b32_e32 v47, 0, v47, vcc_lo
	v_cmp_nlt_f32_e32 vcc_lo, 0x42b17218, v46
	s_wait_alu 0xfffd
	s_delay_alu instid0(VALU_DEP_2) | instskip(NEXT) | instid1(VALU_DEP_1)
	v_cndmask_b32_e32 v46, 0x7f800000, v47, vcc_lo
	v_add_f32_e32 v46, 1.0, v46
	s_delay_alu instid0(VALU_DEP_1) | instskip(NEXT) | instid1(TRANS32_DEP_1)
	v_rcp_f32_e32 v46, v46
	v_fma_f32 v46, v46, -2.0, 1.0
.LBB25_306:                             ;   in Loop: Header=BB25_12 Depth=1
	s_wait_alu 0xfffe
	s_and_not1_saveexec_b32 s3, s3
	s_cbranch_execz .LBB25_308
; %bb.307:                              ;   in Loop: Header=BB25_12 Depth=1
	v_mul_f32_e32 v46, v6, v6
	s_delay_alu instid0(VALU_DEP_1) | instskip(NEXT) | instid1(VALU_DEP_1)
	v_fmaak_f32 v47, s41, v46, 0x3ca908c9
	v_fmaak_f32 v47, v46, v47, 0xbd5c1c4e
	s_delay_alu instid0(VALU_DEP_1) | instskip(NEXT) | instid1(VALU_DEP_1)
	v_fmaak_f32 v47, v46, v47, 0x3e088382
	v_fmaak_f32 v47, v46, v47, 0xbeaaaa99
	s_delay_alu instid0(VALU_DEP_1) | instskip(NEXT) | instid1(VALU_DEP_1)
	v_mul_f32_e64 v47, |v6|, v47
	v_fma_f32 v46, v46, v47, |v6|
.LBB25_308:                             ;   in Loop: Header=BB25_12 Depth=1
	s_wait_alu 0xfffe
	s_or_b32 exec_lo, exec_lo, s3
	v_cmp_ngt_f32_e64 s3, 0x3f200000, |v7|
                                        ; implicit-def: $vgpr47
	s_and_saveexec_b32 s6, s3
	s_wait_alu 0xfffe
	s_xor_b32 s3, exec_lo, s6
	s_cbranch_execz .LBB25_310
; %bb.309:                              ;   in Loop: Header=BB25_12 Depth=1
	v_add_f32_e64 v47, |v7|, |v7|
	s_delay_alu instid0(VALU_DEP_1) | instskip(SKIP_1) | instid1(VALU_DEP_2)
	v_mul_f32_e32 v48, 0x3fb8aa3b, v47
	v_cmp_ngt_f32_e32 vcc_lo, 0xc2ce8ed0, v47
	v_rndne_f32_e32 v49, v48
	v_fma_f32 v50, 0x3fb8aa3b, v47, -v48
	s_delay_alu instid0(VALU_DEP_2) | instskip(NEXT) | instid1(VALU_DEP_2)
	v_sub_f32_e32 v48, v48, v49
	v_fmac_f32_e32 v50, 0x32a5705f, v47
	v_cvt_i32_f32_e32 v49, v49
	s_delay_alu instid0(VALU_DEP_2) | instskip(NEXT) | instid1(VALU_DEP_1)
	v_add_f32_e32 v48, v48, v50
	v_exp_f32_e32 v48, v48
	s_delay_alu instid0(TRANS32_DEP_1) | instskip(SKIP_1) | instid1(VALU_DEP_1)
	v_ldexp_f32 v48, v48, v49
	s_wait_alu 0xfffd
	v_cndmask_b32_e32 v48, 0, v48, vcc_lo
	v_cmp_nlt_f32_e32 vcc_lo, 0x42b17218, v47
	s_wait_alu 0xfffd
	s_delay_alu instid0(VALU_DEP_2) | instskip(NEXT) | instid1(VALU_DEP_1)
	v_cndmask_b32_e32 v47, 0x7f800000, v48, vcc_lo
	v_add_f32_e32 v47, 1.0, v47
	s_delay_alu instid0(VALU_DEP_1) | instskip(NEXT) | instid1(TRANS32_DEP_1)
	v_rcp_f32_e32 v47, v47
	v_fma_f32 v47, v47, -2.0, 1.0
.LBB25_310:                             ;   in Loop: Header=BB25_12 Depth=1
	s_wait_alu 0xfffe
	s_and_not1_saveexec_b32 s3, s3
	s_cbranch_execz .LBB25_312
; %bb.311:                              ;   in Loop: Header=BB25_12 Depth=1
	v_mul_f32_e32 v47, v7, v7
	s_delay_alu instid0(VALU_DEP_1) | instskip(NEXT) | instid1(VALU_DEP_1)
	v_fmaak_f32 v48, s41, v47, 0x3ca908c9
	v_fmaak_f32 v48, v47, v48, 0xbd5c1c4e
	s_delay_alu instid0(VALU_DEP_1) | instskip(NEXT) | instid1(VALU_DEP_1)
	v_fmaak_f32 v48, v47, v48, 0x3e088382
	v_fmaak_f32 v48, v47, v48, 0xbeaaaa99
	s_delay_alu instid0(VALU_DEP_1) | instskip(NEXT) | instid1(VALU_DEP_1)
	v_mul_f32_e64 v48, |v7|, v48
	v_fma_f32 v47, v47, v48, |v7|
.LBB25_312:                             ;   in Loop: Header=BB25_12 Depth=1
	s_wait_alu 0xfffe
	s_or_b32 exec_lo, exec_lo, s3
	v_bfi_b32 v40, 0x7fffffff, v40, v0
	v_cmp_gt_i32_e32 vcc_lo, 32, v184
	v_add_nc_u32_e32 v0, 0x2200, v138
	v_bfi_b32 v42, 0x7fffffff, v42, v2
	v_add_nc_u32_e32 v2, 0x2208, v138
	v_bfi_b32 v41, 0x7fffffff, v41, v1
	v_bfi_b32 v43, 0x7fffffff, v43, v3
	ds_load_2addr_b32 v[0:1], v0 offset1:1
	ds_load_2addr_b32 v[2:3], v2 offset1:1
	v_bfi_b32 v6, 0x7fffffff, v46, v6
	v_bfi_b32 v7, 0x7fffffff, v47, v7
	;; [unrolled: 1-line block ×4, first 2 shown]
	s_mul_u64 s[4:5], s[4:5], s[26:27]
	v_add_nc_u32_e32 v58, 0x400, v140
	s_wait_alu 0xfffe
	s_lshl_b64 s[4:5], s[4:5], 2
	s_cmp_eq_u64 s[74:75], 0
	s_wait_alu 0xfffe
	s_add_nc_u64 s[4:5], s[76:77], s[4:5]
	s_wait_dscnt 0x1
	v_fma_mix_f32 v46, s33, v40, v0 op_sel_hi:[0,0,1]
	v_fma_mix_f32 v47, s33, v41, v0 op_sel:[0,0,1] op_sel_hi:[0,0,1]
	v_fma_mix_f32 v48, s33, v42, v1 op_sel_hi:[0,0,1]
	v_fma_mix_f32 v49, s33, v43, v1 op_sel:[0,0,1] op_sel_hi:[0,0,1]
	s_wait_dscnt 0x0
	v_fma_mix_f32 v108, s33, v4, v2 op_sel_hi:[0,0,1]
	v_dual_add_f32 v0, 0x40051340, v46 :: v_dual_add_f32 v1, 0x40051340, v47
	v_fma_mix_f32 v109, s33, v5, v2 op_sel:[0,0,1] op_sel_hi:[0,0,1]
	v_add_f32_e32 v2, 0x40051340, v49
	v_fma_mix_f32 v110, s33, v6, v3 op_sel_hi:[0,0,1]
	v_fma_mix_f32 v111, s33, v7, v3 op_sel:[0,0,1] op_sel_hi:[0,0,1]
	v_max3_num_f32 v0, v114, v0, v1
	v_add_f32_e32 v1, 0x40051340, v48
	s_delay_alu instid0(VALU_DEP_1) | instskip(SKIP_1) | instid1(VALU_DEP_1)
	v_max3_num_f32 v0, v0, v1, v2
	v_dual_add_f32 v1, 0x40051340, v108 :: v_dual_add_f32 v2, 0x40051340, v109
	v_max3_num_f32 v0, v0, v1, v2
	v_dual_add_f32 v1, 0x40051340, v110 :: v_dual_add_f32 v2, 0x40051340, v111
	s_delay_alu instid0(VALU_DEP_1) | instskip(SKIP_2) | instid1(VALU_DEP_1)
	v_max3_num_f32 v0, v0, v1, v2
	s_wait_alu 0xfffd
	v_cndmask_b32_e32 v1, v124, v184, vcc_lo
	v_lshlrev_b32_e32 v44, 2, v1
	ds_bpermute_b32 v1, v44, v0
	s_wait_dscnt 0x0
	v_max_num_f32_e32 v1, v1, v1
	s_delay_alu instid0(VALU_DEP_1) | instskip(NEXT) | instid1(VALU_DEP_1)
	v_max_num_f32_e32 v45, v0, v1
	v_sub_f32_e32 v0, v114, v45
	s_delay_alu instid0(VALU_DEP_1) | instskip(NEXT) | instid1(VALU_DEP_1)
	v_mul_f32_e32 v1, 0x3fb8aa3b, v0
	v_fma_f32 v2, 0x3fb8aa3b, v0, -v1
	v_rndne_f32_e32 v3, v1
	s_delay_alu instid0(VALU_DEP_1) | instskip(SKIP_3) | instid1(VALU_DEP_4)
	v_dual_sub_f32 v1, v1, v3 :: v_dual_fmac_f32 v2, 0x32a5705f, v0
	v_cmp_ngt_f32_e32 vcc_lo, 0xc2ce8ed0, v0
	v_sub_f32_e32 v111, v111, v45
	v_sub_f32_e32 v48, v48, v45
	v_dual_sub_f32 v46, v46, v45 :: v_dual_add_f32 v1, v1, v2
	v_cvt_i32_f32_e32 v2, v3
	v_sub_f32_e32 v47, v47, v45
	v_sub_f32_e32 v49, v49, v45
	s_delay_alu instid0(VALU_DEP_4) | instskip(NEXT) | instid1(TRANS32_DEP_1)
	v_exp_f32_e32 v1, v1
	v_ldexp_f32 v1, v1, v2
	s_wait_alu 0xfffd
	s_delay_alu instid0(VALU_DEP_1) | instskip(SKIP_2) | instid1(VALU_DEP_2)
	v_cndmask_b32_e32 v1, 0, v1, vcc_lo
	v_cmp_nlt_f32_e32 vcc_lo, 0x42b17218, v0
	s_wait_alu 0xfffd
	v_cndmask_b32_e32 v1, 0x7f800000, v1, vcc_lo
	v_cmp_le_f32_e32 vcc_lo, 0xc1a00000, v0
	s_wait_alu 0xfffd
	s_delay_alu instid0(VALU_DEP_2) | instskip(NEXT) | instid1(VALU_DEP_1)
	v_cndmask_b32_e32 v112, 0, v1, vcc_lo
	v_cvt_f16_f32_e32 v0, v112
	s_delay_alu instid0(VALU_DEP_1) | instskip(NEXT) | instid1(VALU_DEP_1)
	v_and_b32_e32 v0, 0xffff, v0
	v_mul_u32_u24_e32 v50, 0x10001, v0
	s_delay_alu instid0(VALU_DEP_1)
	v_pk_mul_f16 v0, v12, v50
	s_wait_alu 0xfffe
	v_add_co_u32 v12, vcc_lo, s4, v75
	v_pk_mul_f16 v1, v13, v50
	s_wait_alu 0xfffd
	v_add_co_ci_u32_e64 v13, null, s5, v76, vcc_lo
	s_delay_alu instid0(VALU_DEP_3) | instskip(SKIP_2) | instid1(VALU_DEP_3)
	v_add_co_u32 v12, vcc_lo, v12, v189
	v_pk_mul_f16 v2, v14, v50
	s_wait_alu 0xfffd
	v_add_co_ci_u32_e64 v13, null, 0, v13, vcc_lo
	v_add_co_u32 v14, vcc_lo, s4, v77
	v_pk_mul_f16 v3, v15, v50
	s_wait_alu 0xfffd
	v_add_co_ci_u32_e64 v15, null, s5, v78, vcc_lo
	v_pk_mul_f16 v4, v20, v50
	v_add_co_u32 v20, vcc_lo, v14, v189
	v_pk_mul_f16 v5, v21, v50
	s_wait_alu 0xfffd
	v_add_co_ci_u32_e64 v21, null, 0, v15, vcc_lo
	v_pk_mul_f16 v6, v22, v50
	v_pk_mul_f16 v7, v23, v50
	s_clause 0x1
	global_load_b128 v[12:15], v[12:13], off
	global_load_b128 v[20:23], v[20:21], off
	s_wait_loadcnt 0x1
	ds_store_b128 v136, v[12:15]
	s_wait_loadcnt 0x0
	ds_store_b128 v194, v[20:23]
	v_add_co_u32 v12, vcc_lo, s4, v79
	s_wait_alu 0xfffd
	v_add_co_ci_u32_e64 v13, null, s5, v80, vcc_lo
	v_pk_mul_f16 v36, v36, v50
	s_delay_alu instid0(VALU_DEP_3) | instskip(SKIP_1) | instid1(VALU_DEP_3)
	v_add_co_u32 v12, vcc_lo, v12, v189
	s_wait_alu 0xfffd
	v_add_co_ci_u32_e64 v13, null, 0, v13, vcc_lo
	v_add_co_u32 v14, vcc_lo, s4, v81
	s_wait_alu 0xfffd
	v_add_co_ci_u32_e64 v15, null, s5, v82, vcc_lo
	v_pk_mul_f16 v37, v37, v50
	s_delay_alu instid0(VALU_DEP_3) | instskip(SKIP_1) | instid1(VALU_DEP_3)
	v_add_co_u32 v20, vcc_lo, v14, v189
	s_wait_alu 0xfffd
	v_add_co_ci_u32_e64 v21, null, 0, v15, vcc_lo
	s_clause 0x1
	global_load_b128 v[12:15], v[12:13], off
	global_load_b128 v[20:23], v[20:21], off
	s_wait_loadcnt 0x1
	ds_store_b128 v195, v[12:15]
	s_wait_loadcnt 0x0
	ds_store_b128 v196, v[20:23]
	v_add_co_u32 v12, vcc_lo, s4, v83
	s_wait_alu 0xfffd
	v_add_co_ci_u32_e64 v13, null, s5, v84, vcc_lo
	v_pk_mul_f16 v38, v38, v50
	s_delay_alu instid0(VALU_DEP_3) | instskip(SKIP_1) | instid1(VALU_DEP_3)
	v_add_co_u32 v12, vcc_lo, v12, v189
	s_wait_alu 0xfffd
	v_add_co_ci_u32_e64 v13, null, 0, v13, vcc_lo
	v_add_co_u32 v14, vcc_lo, s4, v85
	s_wait_alu 0xfffd
	v_add_co_ci_u32_e64 v15, null, s5, v86, vcc_lo
	v_pk_mul_f16 v39, v39, v50
	s_delay_alu instid0(VALU_DEP_3) | instskip(SKIP_1) | instid1(VALU_DEP_3)
	v_add_co_u32 v20, vcc_lo, v14, v189
	s_wait_alu 0xfffd
	v_add_co_ci_u32_e64 v21, null, 0, v15, vcc_lo
	;; [unrolled: 23-line block ×3, first 2 shown]
	s_clause 0x1
	global_load_b128 v[12:15], v[12:13], off
	global_load_b128 v[20:23], v[20:21], off
	v_pk_mul_f16 v42, v30, v50
	v_pk_mul_f16 v43, v31, v50
	;; [unrolled: 1-line block ×18, first 2 shown]
	s_wait_loadcnt 0x1
	ds_store_b128 v200, v[12:15]
	s_wait_loadcnt 0x0
	ds_store_b128 v201, v[20:23]
	s_wait_dscnt 0x0
	s_barrier_signal -1
	s_barrier_wait -1
	global_inv scope:SCOPE_SE
	ds_load_2addr_b32 v[12:13], v58 offset0:16 offset1:32
	ds_load_2addr_b32 v[20:21], v58 offset0:84 offset1:100
	ds_load_2addr_b32 v[32:33], v141 offset1:16
	ds_load_2addr_b32 v[50:51], v142 offset1:16
	s_wait_dscnt 0x2
	v_perm_b32 v34, v21, v13, 0x7060302
	v_perm_b32 v52, v21, v13, 0x5040100
	s_wait_dscnt 0x0
	v_perm_b32 v15, v50, v32, 0x7060302
	v_perm_b32 v23, v50, v32, 0x5040100
	;; [unrolled: 1-line block ×4, first 2 shown]
	ds_load_2addr_b32 v[50:51], v140 offset0:136 offset1:152
	ds_load_2addr_b32 v[54:55], v140 offset0:204 offset1:220
	v_perm_b32 v14, v20, v12, 0x7060302
	v_perm_b32 v22, v20, v12, 0x5040100
	s_wait_dscnt 0x0
	v_perm_b32 v13, v54, v50, 0x7060302
	v_perm_b32 v21, v54, v50, 0x5040100
	v_perm_b32 v33, v55, v51, 0x7060302
	v_perm_b32 v51, v55, v51, 0x5040100
	ds_load_2addr_b32 v[54:55], v140 offset1:16
	ds_load_2addr_b32 v[56:57], v140 offset0:68 offset1:84
	s_wait_dscnt 0x0
	v_perm_b32 v12, v56, v54, 0x7060302
	v_perm_b32 v20, v56, v54, 0x5040100
	;; [unrolled: 1-line block ×4, first 2 shown]
	ds_load_2addr_b32 v[54:55], v58 offset0:48 offset1:64
	ds_load_2addr_b32 v[58:59], v58 offset0:116 offset1:132
	;; [unrolled: 1-line block ×4, first 2 shown]
	s_wait_dscnt 0x2
	v_perm_b32 v64, v59, v55, 0x7060302
	v_perm_b32 v68, v59, v55, 0x5040100
	s_wait_dscnt 0x0
	v_perm_b32 v57, v65, v61, 0x7060302
	v_perm_b32 v61, v65, v61, 0x5040100
	v_perm_b32 v65, v66, v62, 0x7060302
	v_perm_b32 v69, v66, v62, 0x5040100
	ds_load_2addr_b32 v[66:67], v140 offset0:168 offset1:184
	ds_load_2addr_b32 v[70:71], v140 offset0:236 offset1:252
	v_perm_b32 v56, v58, v54, 0x7060302
	v_perm_b32 v60, v58, v54, 0x5040100
	s_wait_dscnt 0x0
	v_perm_b32 v55, v70, v66, 0x7060302
	v_perm_b32 v59, v70, v66, 0x5040100
	;; [unrolled: 1-line block ×4, first 2 shown]
	ds_load_2addr_b32 v[70:71], v140 offset0:32 offset1:48
	ds_load_2addr_b32 v[73:74], v140 offset0:100 offset1:116
	s_wait_loadcnt_dscnt 0x0
	s_barrier_signal -1
	s_barrier_wait -1
	global_inv scope:SCOPE_SE
	v_perm_b32 v54, v73, v70, 0x7060302
	v_perm_b32 v58, v73, v70, 0x5040100
	v_sub_f32_e32 v70, v108, v45
	v_perm_b32 v62, v74, v71, 0x7060302
	v_perm_b32 v66, v74, v71, 0x5040100
	s_delay_alu instid0(VALU_DEP_3) | instskip(NEXT) | instid1(VALU_DEP_1)
	v_mul_f32_e32 v71, 0x3fb8aa3b, v70
	v_fma_f32 v73, 0x3fb8aa3b, v70, -v71
	v_rndne_f32_e32 v74, v71
	s_delay_alu instid0(VALU_DEP_1) | instskip(NEXT) | instid1(VALU_DEP_3)
	v_sub_f32_e32 v71, v71, v74
	v_fmac_f32_e32 v73, 0x32a5705f, v70
	v_cvt_i32_f32_e32 v74, v74
	v_cmp_ngt_f32_e64 s5, 0xc2ce8ed0, v70
	s_delay_alu instid0(VALU_DEP_3) | instskip(SKIP_1) | instid1(VALU_DEP_1)
	v_add_f32_e32 v71, v71, v73
	v_sub_f32_e32 v73, v109, v45
	v_mul_f32_e32 v108, 0x3fb8aa3b, v73
	s_delay_alu instid0(VALU_DEP_1) | instskip(SKIP_1) | instid1(VALU_DEP_2)
	v_fma_f32 v109, 0x3fb8aa3b, v73, -v108
	v_rndne_f32_e32 v113, v108
	v_fmac_f32_e32 v109, 0x32a5705f, v73
	s_delay_alu instid0(VALU_DEP_2) | instskip(NEXT) | instid1(VALU_DEP_1)
	v_sub_f32_e32 v108, v108, v113
	v_add_f32_e32 v108, v108, v109
	v_sub_f32_e32 v109, v110, v45
	s_delay_alu instid0(VALU_DEP_1) | instskip(NEXT) | instid1(VALU_DEP_1)
	v_mul_f32_e32 v110, 0x3fb8aa3b, v109
	v_fma_f32 v114, 0x3fb8aa3b, v109, -v110
	v_rndne_f32_e32 v117, v110
	s_delay_alu instid0(VALU_DEP_2) | instskip(NEXT) | instid1(VALU_DEP_2)
	v_fmac_f32_e32 v114, 0x32a5705f, v109
	v_sub_f32_e32 v110, v110, v117
	s_delay_alu instid0(VALU_DEP_1) | instskip(SKIP_2) | instid1(VALU_DEP_1)
	v_add_f32_e32 v110, v110, v114
	v_mul_f32_e32 v114, 0x3fb8aa3b, v111
	v_exp_f32_e32 v71, v71
	v_fma_f32 v118, 0x3fb8aa3b, v111, -v114
	v_rndne_f32_e32 v119, v114
	s_delay_alu instid0(VALU_DEP_2) | instskip(NEXT) | instid1(TRANS32_DEP_1)
	v_fmac_f32_e32 v118, 0x32a5705f, v111
	v_ldexp_f32 v71, v71, v74
	v_exp_f32_e32 v74, v108
	v_cvt_i32_f32_e32 v108, v113
	v_sub_f32_e32 v114, v114, v119
	v_cvt_i32_f32_e32 v113, v119
	v_cmp_ngt_f32_e32 vcc_lo, 0xc2ce8ed0, v73
	s_wait_alu 0xf1ff
	v_cndmask_b32_e64 v71, 0, v71, s5
	v_cmp_nlt_f32_e64 s5, 0x42b17218, v70
	v_add_f32_e32 v114, v114, v118
	v_cmp_ngt_f32_e64 s4, 0xc2ce8ed0, v111
	v_ldexp_f32 v74, v74, v108
	v_exp_f32_e32 v108, v110
	v_cvt_i32_f32_e32 v110, v117
	s_wait_alu 0xf1ff
	v_cndmask_b32_e64 v70, 0x7f800000, v71, s5
	s_wait_alu 0xfffd
	v_cndmask_b32_e32 v74, 0, v74, vcc_lo
	v_cmp_ngt_f32_e64 s3, 0xc2ce8ed0, v109
	v_cmp_nlt_f32_e32 vcc_lo, 0x42b17218, v73
	s_delay_alu instid0(TRANS32_DEP_1)
	v_ldexp_f32 v108, v108, v110
	v_exp_f32_e32 v110, v114
	s_wait_alu 0xfffd
	v_cndmask_b32_e32 v74, 0x7f800000, v74, vcc_lo
	v_cmp_ngt_f32_e32 vcc_lo, 0xc2ce8ed0, v49
	s_wait_alu 0xf1ff
	v_cndmask_b32_e64 v73, 0, v108, s3
	v_cmp_nlt_f32_e64 s3, 0x42b17218, v109
	s_delay_alu instid0(TRANS32_DEP_1) | instskip(SKIP_1) | instid1(VALU_DEP_2)
	v_ldexp_f32 v110, v110, v113
	s_wait_alu 0xf1ff
	v_cndmask_b32_e64 v71, 0x7f800000, v73, s3
	v_cvt_f16_f32_e32 v113, v74
	v_cmp_ngt_f32_e64 s3, 0xc2ce8ed0, v48
	v_cndmask_b32_e64 v108, 0, v110, s4
	v_cmp_nlt_f32_e64 s4, 0x42b17218, v111
	v_cvt_f16_f32_e32 v109, v71
	s_wait_alu 0xf1ff
	s_delay_alu instid0(VALU_DEP_2) | instskip(SKIP_1) | instid1(VALU_DEP_2)
	v_cndmask_b32_e64 v73, 0x7f800000, v108, s4
	v_cvt_f16_f32_e32 v108, v70
	v_cvt_f16_f32_e32 v110, v73
	s_delay_alu instid0(VALU_DEP_1) | instskip(NEXT) | instid1(VALU_DEP_3)
	v_perm_b32 v111, v110, v109, 0x5040100
	v_perm_b32 v110, v113, v108, 0x5040100
	v_mul_f32_e32 v108, 0x3fb8aa3b, v49
	s_delay_alu instid0(VALU_DEP_1) | instskip(SKIP_1) | instid1(VALU_DEP_2)
	v_fma_f32 v109, 0x3fb8aa3b, v49, -v108
	v_rndne_f32_e32 v113, v108
	v_fmac_f32_e32 v109, 0x32a5705f, v49
	s_delay_alu instid0(VALU_DEP_2) | instskip(SKIP_1) | instid1(VALU_DEP_2)
	v_sub_f32_e32 v108, v108, v113
	v_cvt_i32_f32_e32 v113, v113
	v_dual_add_f32 v108, v108, v109 :: v_dual_mul_f32 v109, 0x3fb8aa3b, v48
	s_delay_alu instid0(VALU_DEP_1) | instskip(NEXT) | instid1(VALU_DEP_1)
	v_exp_f32_e32 v108, v108
	v_fma_f32 v114, 0x3fb8aa3b, v48, -v109
	v_rndne_f32_e32 v117, v109
	s_delay_alu instid0(VALU_DEP_2) | instskip(NEXT) | instid1(TRANS32_DEP_1)
	v_fmac_f32_e32 v114, 0x32a5705f, v48
	v_ldexp_f32 v108, v108, v113
	s_delay_alu instid0(VALU_DEP_3) | instskip(SKIP_2) | instid1(VALU_DEP_2)
	v_sub_f32_e32 v109, v109, v117
	v_cvt_i32_f32_e32 v113, v117
	s_wait_alu 0xfffd
	v_dual_cndmask_b32 v108, 0, v108 :: v_dual_add_f32 v109, v109, v114
	v_cmp_nlt_f32_e32 vcc_lo, 0x42b17218, v49
	s_delay_alu instid0(VALU_DEP_2) | instskip(NEXT) | instid1(TRANS32_DEP_1)
	v_exp_f32_e32 v109, v109
	v_ldexp_f32 v109, v109, v113
	s_delay_alu instid0(VALU_DEP_1) | instskip(SKIP_2) | instid1(VALU_DEP_1)
	v_cndmask_b32_e64 v49, 0, v109, s3
	v_cmp_nlt_f32_e64 s3, 0x42b17218, v48
	s_wait_alu 0xf1ff
	v_cndmask_b32_e64 v48, 0x7f800000, v49, s3
	s_wait_alu 0xfffd
	v_cndmask_b32_e32 v49, 0x7f800000, v108, vcc_lo
	v_cmp_ngt_f32_e64 s3, 0xc2ce8ed0, v46
	s_delay_alu instid0(VALU_DEP_3) | instskip(NEXT) | instid1(VALU_DEP_3)
	v_cvt_f16_f32_e32 v108, v48
	v_cvt_f16_f32_e32 v109, v49
	s_delay_alu instid0(VALU_DEP_1) | instskip(SKIP_1) | instid1(VALU_DEP_1)
	v_perm_b32 v109, v109, v108, 0x5040100
	v_mul_f32_e32 v108, 0x3fb8aa3b, v47
	v_fma_f32 v113, 0x3fb8aa3b, v47, -v108
	v_rndne_f32_e32 v114, v108
	s_delay_alu instid0(VALU_DEP_1) | instskip(SKIP_2) | instid1(VALU_DEP_3)
	v_dual_sub_f32 v108, v108, v114 :: v_dual_fmac_f32 v113, 0x32a5705f, v47
	v_cvt_i32_f32_e32 v114, v114
	v_cmp_ngt_f32_e32 vcc_lo, 0xc2ce8ed0, v47
	v_dual_add_f32 v108, v108, v113 :: v_dual_mul_f32 v113, 0x3fb8aa3b, v46
	s_delay_alu instid0(VALU_DEP_1) | instskip(NEXT) | instid1(VALU_DEP_1)
	v_exp_f32_e32 v108, v108
	v_fma_f32 v117, 0x3fb8aa3b, v46, -v113
	v_rndne_f32_e32 v118, v113
	s_delay_alu instid0(VALU_DEP_2) | instskip(NEXT) | instid1(VALU_DEP_2)
	v_fmac_f32_e32 v117, 0x32a5705f, v46
	v_sub_f32_e32 v113, v113, v118
	s_delay_alu instid0(TRANS32_DEP_1) | instskip(SKIP_2) | instid1(VALU_DEP_2)
	v_ldexp_f32 v108, v108, v114
	v_cvt_i32_f32_e32 v114, v118
	s_wait_alu 0xfffd
	v_dual_add_f32 v113, v113, v117 :: v_dual_cndmask_b32 v108, 0, v108
	v_cmp_nlt_f32_e32 vcc_lo, 0x42b17218, v47
	s_delay_alu instid0(VALU_DEP_2) | instskip(NEXT) | instid1(TRANS32_DEP_1)
	v_exp_f32_e32 v113, v113
	v_ldexp_f32 v113, v113, v114
	s_wait_alu 0xf1ff
	s_delay_alu instid0(VALU_DEP_1) | instskip(SKIP_2) | instid1(VALU_DEP_1)
	v_cndmask_b32_e64 v47, 0, v113, s3
	v_cmp_nlt_f32_e64 s3, 0x42b17218, v46
	s_wait_alu 0xf1ff
	v_cndmask_b32_e64 v46, 0x7f800000, v47, s3
	s_wait_alu 0xfffd
	v_cndmask_b32_e32 v47, 0x7f800000, v108, vcc_lo
	s_cselect_b32 s3, -1, 0
	s_xor_b32 s4, s0, -1
	v_cvt_f16_f32_e32 v108, v46
	s_delay_alu instid0(VALU_DEP_2) | instskip(SKIP_2) | instid1(VALU_DEP_1)
	v_cvt_f16_f32_e32 v113, v47
	s_wait_alu 0xfffe
	s_or_b32 s3, s4, s3
	v_perm_b32 v108, v113, v108, 0x5040100
	s_delay_alu instid0(VALU_DEP_1)
	v_wmma_f16_16x16x16_f16 v[40:43], v[12:15], v[108:111], v[40:43]
	v_add_f32_e32 v12, v46, v47
	v_wmma_f16_16x16x16_f16 v[36:39], v[20:23], v[108:111], v[36:39]
	v_wmma_f16_16x16x16_f16 v[28:31], v[50:53], v[108:111], v[28:31]
	v_wmma_f16_16x16x16_f16 v[24:27], v[32:35], v[108:111], v[24:27]
	v_wmma_f16_16x16x16_f16 v[4:7], v[58:61], v[108:111], v[4:7]
	v_add_f32_e32 v12, v48, v12
	v_wmma_f16_16x16x16_f16 v[16:19], v[54:57], v[108:111], v[16:19]
	v_wmma_f16_16x16x16_f16 v[0:3], v[66:69], v[108:111], v[0:3]
	;; [unrolled: 1-line block ×3, first 2 shown]
	s_delay_alu instid0(VALU_DEP_4) | instskip(NEXT) | instid1(VALU_DEP_1)
	v_add_f32_e32 v12, v49, v12
	v_add_f32_e32 v12, v70, v12
	s_delay_alu instid0(VALU_DEP_1) | instskip(NEXT) | instid1(VALU_DEP_1)
	v_add_f32_e32 v12, v74, v12
	v_add_f32_e32 v12, v71, v12
	s_delay_alu instid0(VALU_DEP_1) | instskip(NEXT) | instid1(VALU_DEP_1)
	v_add_f32_e32 v12, v73, v12
	v_fmac_f32_e32 v12, v182, v112
	ds_bpermute_b32 v13, v44, v12
	s_wait_alu 0xfffe
	s_and_saveexec_b32 s4, s3
	s_wait_alu 0xfffe
	s_xor_b32 s3, exec_lo, s4
	s_wait_alu 0xfffe
	s_or_saveexec_b32 s3, s3
	s_wait_dscnt 0x0
	v_add_f32_e32 v12, v12, v13
	s_wait_alu 0xfffe
	s_xor_b32 exec_lo, exec_lo, s3
	s_cbranch_execz .LBB25_314
; %bb.313:                              ;   in Loop: Header=BB25_12 Depth=1
	v_dual_max_num_f32 v14, v45, v45 :: v_dual_lshlrev_b32 v13, 2, v143
	global_load_b32 v13, v13, s[74:75]
	s_wait_loadcnt 0x0
	v_max_num_f32_e32 v15, v13, v13
	s_delay_alu instid0(VALU_DEP_1) | instskip(NEXT) | instid1(VALU_DEP_1)
	v_max_num_f32_e32 v14, v14, v15
	v_sub_f32_e32 v15, v45, v14
	s_delay_alu instid0(VALU_DEP_1) | instskip(NEXT) | instid1(VALU_DEP_1)
	v_dual_sub_f32 v13, v13, v14 :: v_dual_mul_f32 v20, 0x3fb8aa3b, v15
	v_fma_f32 v21, 0x3fb8aa3b, v15, -v20
	v_rndne_f32_e32 v22, v20
	s_delay_alu instid0(VALU_DEP_1) | instskip(SKIP_1) | instid1(VALU_DEP_2)
	v_dual_fmac_f32 v21, 0x32a5705f, v15 :: v_dual_sub_f32 v20, v20, v22
	v_cvt_i32_f32_e32 v22, v22
	v_add_f32_e32 v20, v20, v21
	v_cmp_ngt_f32_e32 vcc_lo, 0xc2ce8ed0, v15
	v_mul_f32_e32 v21, 0x3fb8aa3b, v13
	v_mov_b32_e32 v45, v14
	s_delay_alu instid0(VALU_DEP_4) | instskip(NEXT) | instid1(VALU_DEP_2)
	v_exp_f32_e32 v20, v20
	v_fma_f32 v23, 0x3fb8aa3b, v13, -v21
	v_rndne_f32_e32 v32, v21
	s_delay_alu instid0(VALU_DEP_1) | instskip(NEXT) | instid1(TRANS32_DEP_1)
	v_sub_f32_e32 v21, v21, v32
	v_ldexp_f32 v20, v20, v22
	v_cvt_i32_f32_e32 v22, v32
	s_wait_alu 0xfffd
	s_delay_alu instid0(VALU_DEP_2) | instskip(SKIP_2) | instid1(VALU_DEP_2)
	v_cndmask_b32_e32 v20, 0, v20, vcc_lo
	v_cmp_nlt_f32_e32 vcc_lo, 0x42b17218, v15
	s_wait_alu 0xfffd
	v_cndmask_b32_e32 v20, 0x7f800000, v20, vcc_lo
	v_cmp_le_f32_e32 vcc_lo, 0xc1a00000, v15
	s_wait_alu 0xfffd
	s_delay_alu instid0(VALU_DEP_2) | instskip(SKIP_2) | instid1(VALU_DEP_1)
	v_cndmask_b32_e32 v15, 0, v20, vcc_lo
	v_cmp_ngt_f32_e32 vcc_lo, 0xc2ce8ed0, v13
	v_fmac_f32_e32 v23, 0x32a5705f, v13
	v_add_f32_e32 v21, v21, v23
	s_delay_alu instid0(VALU_DEP_1) | instskip(NEXT) | instid1(TRANS32_DEP_1)
	v_exp_f32_e32 v21, v21
	v_ldexp_f32 v20, v21, v22
	s_wait_alu 0xfffd
	s_delay_alu instid0(VALU_DEP_1) | instskip(SKIP_2) | instid1(VALU_DEP_2)
	v_cndmask_b32_e32 v20, 0, v20, vcc_lo
	v_cmp_nlt_f32_e32 vcc_lo, 0x42b17218, v13
	s_wait_alu 0xfffd
	v_cndmask_b32_e32 v13, 0x7f800000, v20, vcc_lo
	s_delay_alu instid0(VALU_DEP_1) | instskip(NEXT) | instid1(VALU_DEP_1)
	v_fmac_f32_e32 v13, v12, v15
	v_mov_b32_e32 v12, v13
	v_cvt_f16_f32_e32 v21, v15
	s_delay_alu instid0(VALU_DEP_1) | instskip(NEXT) | instid1(VALU_DEP_1)
	v_and_b32_e32 v21, 0xffff, v21
	v_mul_u32_u24_e32 v20, 0x10001, v21
	s_delay_alu instid0(VALU_DEP_1)
	v_pk_mul_f16 v36, v36, v20
	v_pk_mul_f16 v37, v37, v20
	v_pk_mul_f16 v38, v38, v20
	v_pk_mul_f16 v39, v39, v20
	v_pk_mul_f16 v40, v40, v20
	v_pk_mul_f16 v41, v41, v20
	v_pk_mul_f16 v42, v42, v20
	v_pk_mul_f16 v43, v43, v20
	v_pk_mul_f16 v28, v28, v20
	v_pk_mul_f16 v29, v29, v20
	v_pk_mul_f16 v30, v30, v20
	v_pk_mul_f16 v31, v31, v20
	v_pk_mul_f16 v24, v24, v20
	v_pk_mul_f16 v25, v25, v20
	v_pk_mul_f16 v26, v26, v20
	v_pk_mul_f16 v27, v27, v20
	v_pk_mul_f16 v4, v4, v20
	v_pk_mul_f16 v5, v5, v20
	v_pk_mul_f16 v6, v6, v20
	v_pk_mul_f16 v7, v7, v20
	v_pk_mul_f16 v16, v16, v20
	v_pk_mul_f16 v17, v17, v20
	v_pk_mul_f16 v18, v18, v20
	v_pk_mul_f16 v19, v19, v20
	v_pk_mul_f16 v0, v0, v20
	v_pk_mul_f16 v1, v1, v20
	v_pk_mul_f16 v2, v2, v20
	v_pk_mul_f16 v3, v3, v20
	v_pk_mul_f16 v8, v8, v20
	v_pk_mul_f16 v9, v9, v20
	v_pk_mul_f16 v10, v10, v20
	v_pk_mul_f16 v11, v11, v20
.LBB25_314:                             ;   in Loop: Header=BB25_12 Depth=1
	s_or_b32 exec_lo, exec_lo, s3
	s_and_saveexec_b32 s3, s2
; %bb.315:                              ;   in Loop: Header=BB25_12 Depth=1
	v_add_nc_u32_e32 v13, 0, v145
	ds_store_2addr_b32 v13, v45, v12 offset0:64 offset1:65
; %bb.316:                              ;   in Loop: Header=BB25_12 Depth=1
	s_wait_alu 0xfffe
	s_or_b32 exec_lo, exec_lo, s3
	s_wait_loadcnt_dscnt 0x0
	s_barrier_signal -1
	s_barrier_wait -1
	global_inv scope:SCOPE_SE
	s_and_saveexec_b32 s3, s1
	s_wait_alu 0xfffe
	s_xor_b32 s3, exec_lo, s3
	s_cbranch_execz .LBB25_318
; %bb.317:                              ;   in Loop: Header=BB25_12 Depth=1
	s_wait_loadcnt 0x0
	s_barrier_signal -1
	s_barrier_wait -1
	global_inv scope:SCOPE_SE
                                        ; implicit-def: $vgpr44
.LBB25_318:                             ;   in Loop: Header=BB25_12 Depth=1
	s_wait_alu 0xfffe
	s_and_not1_saveexec_b32 s3, s3
	s_cbranch_execz .LBB25_320
; %bb.319:                              ;   in Loop: Header=BB25_12 Depth=1
	v_add_nc_u32_e32 v20, 0, v146
	ds_load_b64 v[12:13], v20 offset:256
	s_wait_loadcnt_dscnt 0x0
	s_barrier_signal -1
	s_barrier_wait -1
	global_inv scope:SCOPE_SE
	ds_bpermute_b32 v14, v44, v12
	s_wait_dscnt 0x0
	v_dual_max_num_f32 v15, v12, v12 :: v_dual_max_num_f32 v14, v14, v14
	s_delay_alu instid0(VALU_DEP_1) | instskip(NEXT) | instid1(VALU_DEP_1)
	v_max_num_f32_e32 v14, v15, v14
	v_sub_f32_e32 v12, v12, v14
	s_delay_alu instid0(VALU_DEP_1) | instskip(SKIP_1) | instid1(VALU_DEP_2)
	v_mul_f32_e32 v14, 0x3fb8aa3b, v12
	v_cmp_ngt_f32_e32 vcc_lo, 0xc2ce8ed0, v12
	v_fma_f32 v15, 0x3fb8aa3b, v12, -v14
	v_rndne_f32_e32 v21, v14
	s_delay_alu instid0(VALU_DEP_1) | instskip(NEXT) | instid1(VALU_DEP_1)
	v_dual_fmac_f32 v15, 0x32a5705f, v12 :: v_dual_sub_f32 v14, v14, v21
	v_add_f32_e32 v14, v14, v15
	v_cvt_i32_f32_e32 v15, v21
	s_delay_alu instid0(VALU_DEP_2) | instskip(NEXT) | instid1(TRANS32_DEP_1)
	v_exp_f32_e32 v14, v14
	v_ldexp_f32 v14, v14, v15
	s_wait_alu 0xfffd
	s_delay_alu instid0(VALU_DEP_1) | instskip(SKIP_2) | instid1(VALU_DEP_2)
	v_cndmask_b32_e32 v14, 0, v14, vcc_lo
	v_cmp_nlt_f32_e32 vcc_lo, 0x42b17218, v12
	s_wait_alu 0xfffd
	v_cndmask_b32_e32 v14, 0x7f800000, v14, vcc_lo
	s_delay_alu instid0(VALU_DEP_1)
	v_mul_f32_e32 v12, v13, v14
	ds_bpermute_b32 v15, v44, v12
	s_wait_dscnt 0x0
	v_fmac_f32_e32 v15, v13, v14
	ds_store_b64 v20, v[14:15] offset:256
.LBB25_320:                             ;   in Loop: Header=BB25_12 Depth=1
	s_wait_alu 0xfffe
	s_or_b32 exec_lo, exec_lo, s3
	v_perm_b32 v12, v40, v36, 0x5040100
	v_perm_b32 v13, v40, v36, 0x7060302
	v_add_nc_u32_e32 v32, v144, v147
	v_perm_b32 v14, v41, v37, 0x5040100
	v_perm_b32 v15, v41, v37, 0x7060302
	;; [unrolled: 1-line block ×14, first 2 shown]
	ds_store_2addr_b32 v32, v12, v13 offset1:1
	ds_store_2addr_b32 v32, v14, v15 offset0:2 offset1:3
	ds_store_2addr_b32 v32, v20, v21 offset0:4 offset1:5
	;; [unrolled: 1-line block ×7, first 2 shown]
	v_perm_b32 v12, v16, v4, 0x5040100
	v_perm_b32 v4, v16, v4, 0x7060302
	;; [unrolled: 1-line block ×16, first 2 shown]
	ds_store_2addr_b32 v32, v12, v4 offset0:32 offset1:33
	ds_store_2addr_b32 v32, v13, v5 offset0:34 offset1:35
	ds_store_2addr_b32 v32, v14, v6 offset0:36 offset1:37
	ds_store_2addr_b32 v32, v15, v7 offset0:38 offset1:39
	ds_store_2addr_b32 v32, v16, v0 offset0:48 offset1:49
	ds_store_2addr_b32 v32, v8, v1 offset0:50 offset1:51
	ds_store_2addr_b32 v32, v9, v2 offset0:52 offset1:53
	ds_store_2addr_b32 v32, v10, v3 offset0:54 offset1:55
	s_wait_loadcnt_dscnt 0x0
	s_barrier_signal -1
	s_barrier_wait -1
	global_inv scope:SCOPE_SE
	s_and_saveexec_b32 s42, s0
	s_cbranch_execz .LBB25_10
; %bb.321:                              ;   in Loop: Header=BB25_12 Depth=1
	v_add_nc_u32_e32 v0, s94, v217
	v_or_b32_e32 v1, s34, v116
	s_delay_alu instid0(VALU_DEP_1) | instskip(SKIP_1) | instid1(VALU_DEP_4)
	v_cmp_gt_i32_e64 s3, s96, v1
	v_mov_b32_e32 v1, 0x47
	v_cmp_gt_i32_e32 vcc_lo, s24, v0
	s_and_b32 s4, vcc_lo, s3
	s_wait_alu 0xfffe
	s_and_saveexec_b32 s43, s4
	s_cbranch_execz .LBB25_323
; %bb.322:                              ;   in Loop: Header=BB25_12 Depth=1
	v_add_nc_u32_e32 v5, 0x1000, v172
	ds_load_2addr_b32 v[1:2], v172 offset1:32
	ds_load_2addr_b32 v[3:4], v148 offset0:64 offset1:65
	ds_load_b32 v7, v148 offset:4608
	ds_load_2addr_b32 v[5:6], v5 offset0:64 offset1:96
	s_wait_dscnt 0x2
	v_fma_mix_f32 v8, v3, v1, 0 op_sel_hi:[0,1,0]
	v_fma_mix_f32 v1, v3, v1, 0 op_sel:[0,1,0] op_sel_hi:[0,1,0]
	v_fma_mix_f32 v9, v3, v2, 0 op_sel_hi:[0,1,0]
	v_fma_mix_f32 v2, v3, v2, 0 op_sel:[0,1,0] op_sel_hi:[0,1,0]
	s_wait_dscnt 0x0
	v_fma_mix_f32 v3, v7, v5, v8 op_sel_hi:[0,1,0]
	v_fma_mix_f32 v5, v7, v5, v1 op_sel:[0,1,0] op_sel_hi:[0,1,0]
	v_fma_mix_f32 v8, v7, v6, v9 op_sel_hi:[0,1,0]
	v_fma_mix_f32 v9, v7, v6, v2 op_sel:[0,1,0] op_sel_hi:[0,1,0]
	v_mad_co_u64_u32 v[0:1], null, v0, s25, v[116:117]
	v_div_scale_f32 v2, null, v4, v4, v3
	v_div_scale_f32 v6, null, v4, v4, v5
	;; [unrolled: 1-line block ×4, first 2 shown]
	s_delay_alu instid0(VALU_DEP_4) | instskip(NEXT) | instid1(VALU_DEP_3)
	v_rcp_f32_e32 v11, v2
	v_rcp_f32_e32 v12, v6
	s_delay_alu instid0(VALU_DEP_2) | instskip(NEXT) | instid1(VALU_DEP_1)
	v_rcp_f32_e32 v13, v7
	v_rcp_f32_e32 v14, v10
	v_div_scale_f32 v15, vcc_lo, v3, v4, v3
	v_div_scale_f32 v16, s4, v5, v4, v5
	v_div_scale_f32 v17, s5, v8, v4, v8
	v_fma_f32 v1, -v2, v11, 1.0
	s_delay_alu instid0(TRANS32_DEP_3) | instskip(NEXT) | instid1(TRANS32_DEP_2)
	v_fma_f32 v18, -v6, v12, 1.0
	v_fma_f32 v19, -v7, v13, 1.0
	s_delay_alu instid0(TRANS32_DEP_1) | instskip(SKIP_1) | instid1(VALU_DEP_4)
	v_fma_f32 v20, -v10, v14, 1.0
	v_div_scale_f32 v21, s6, v9, v4, v9
	v_dual_fmac_f32 v11, v1, v11 :: v_dual_fmac_f32 v12, v18, v12
	s_delay_alu instid0(VALU_DEP_3) | instskip(SKIP_1) | instid1(VALU_DEP_3)
	v_dual_fmac_f32 v14, v20, v14 :: v_dual_fmac_f32 v13, v19, v13
	v_lshl_add_u32 v0, v0, 6, v72
	v_dual_mul_f32 v18, v15, v11 :: v_dual_mul_f32 v19, v16, v12
	s_delay_alu instid0(VALU_DEP_3) | instskip(NEXT) | instid1(VALU_DEP_3)
	v_mul_f32_e32 v22, v21, v14
	v_ashrrev_i32_e32 v1, 31, v0
	s_delay_alu instid0(VALU_DEP_3) | instskip(NEXT) | instid1(VALU_DEP_4)
	v_fma_f32 v23, -v2, v18, v15
	v_fma_f32 v24, -v6, v19, v16
	v_mul_f32_e32 v20, v17, v13
	v_fma_f32 v26, -v10, v22, v21
	v_lshlrev_b64_e32 v[0:1], 3, v[0:1]
	s_delay_alu instid0(VALU_DEP_4) | instskip(NEXT) | instid1(VALU_DEP_4)
	v_dual_fmac_f32 v18, v23, v11 :: v_dual_fmac_f32 v19, v24, v12
	v_fma_f32 v25, -v7, v20, v17
	s_delay_alu instid0(VALU_DEP_4) | instskip(NEXT) | instid1(VALU_DEP_3)
	v_fmac_f32_e32 v22, v26, v14
	v_fma_f32 v2, -v2, v18, v15
	s_delay_alu instid0(VALU_DEP_4) | instskip(NEXT) | instid1(VALU_DEP_4)
	v_fma_f32 v6, -v6, v19, v16
	v_fmac_f32_e32 v20, v25, v13
	s_delay_alu instid0(VALU_DEP_4)
	v_fma_f32 v10, -v10, v22, v21
	s_wait_alu 0xfffd
	v_div_fmas_f32 v2, v2, v11, v18
	s_mov_b32 vcc_lo, s4
	v_fma_f32 v7, -v7, v20, v17
	s_wait_alu 0xfffe
	v_div_fmas_f32 v6, v6, v12, v19
	s_mov_b32 vcc_lo, s5
	v_div_fixup_f32 v2, v2, v4, v3
	s_wait_alu 0xfffe
	v_div_fmas_f32 v7, v7, v13, v20
	s_mov_b32 vcc_lo, s6
	v_div_fixup_f32 v3, v6, v4, v5
	s_wait_alu 0xfffe
	v_div_fmas_f32 v10, v10, v14, v22
	v_add_co_u32 v5, vcc_lo, s72, v0
	s_wait_alu 0xfffd
	v_add_co_ci_u32_e64 v6, null, s73, v1, vcc_lo
	v_mov_b32_e32 v1, 0
	v_div_fixup_f32 v7, v7, v4, v8
	v_div_fixup_f32 v8, v10, v4, v9
	s_clause 0x1
	global_store_b64 v[5:6], v[2:3], off
	global_store_b64 v[5:6], v[7:8], off offset:256
.LBB25_323:                             ;   in Loop: Header=BB25_12 Depth=1
	s_wait_alu 0xfffe
	s_or_b32 exec_lo, exec_lo, s43
	s_mov_b32 s4, -1
	s_mov_b32 s5, exec_lo
	v_cmpx_gt_i32_e32 0x47, v1
; %bb.324:                              ;   in Loop: Header=BB25_12 Depth=1
	v_cmp_eq_u32_e32 vcc_lo, 0, v1
	s_or_not1_b32 s4, vcc_lo, exec_lo
; %bb.325:                              ;   in Loop: Header=BB25_12 Depth=1
	s_wait_alu 0xfffe
	s_or_b32 exec_lo, exec_lo, s5
	s_delay_alu instid0(SALU_CYCLE_1)
	s_and_b32 exec_lo, exec_lo, s4
	s_cbranch_execz .LBB25_10
; %bb.326:                              ;   in Loop: Header=BB25_12 Depth=1
	v_add_nc_u32_e32 v0, s94, v218
	v_or_b32_e32 v1, s34, v107
	s_delay_alu instid0(VALU_DEP_1) | instskip(SKIP_1) | instid1(VALU_DEP_4)
	v_cmp_gt_i32_e64 s4, s96, v1
	v_mov_b32_e32 v1, 0x47
	v_cmp_gt_i32_e32 vcc_lo, s24, v0
	s_and_b32 s4, vcc_lo, s4
	s_wait_alu 0xfffe
	s_and_saveexec_b32 s43, s4
	s_cbranch_execz .LBB25_328
; %bb.327:                              ;   in Loop: Header=BB25_12 Depth=1
	scratch_load_b32 v6, off, off offset:104 ; 4-byte Folded Reload
	v_add_nc_u32_e32 v5, 0x1000, v173
	ds_load_2addr_b32 v[1:2], v173 offset1:32
	s_wait_loadcnt 0x0
	ds_load_2addr_b32 v[3:4], v6 offset0:64 offset1:65
	ds_load_b32 v7, v6 offset:4608
	ds_load_2addr_b32 v[5:6], v5 offset0:64 offset1:96
	s_wait_dscnt 0x2
	v_fma_mix_f32 v8, v3, v1, 0 op_sel_hi:[0,1,0]
	v_fma_mix_f32 v1, v3, v1, 0 op_sel:[0,1,0] op_sel_hi:[0,1,0]
	v_fma_mix_f32 v9, v3, v2, 0 op_sel_hi:[0,1,0]
	v_fma_mix_f32 v2, v3, v2, 0 op_sel:[0,1,0] op_sel_hi:[0,1,0]
	s_wait_dscnt 0x0
	v_fma_mix_f32 v3, v7, v5, v8 op_sel_hi:[0,1,0]
	v_fma_mix_f32 v5, v7, v5, v1 op_sel:[0,1,0] op_sel_hi:[0,1,0]
	v_fma_mix_f32 v8, v7, v6, v9 op_sel_hi:[0,1,0]
	v_fma_mix_f32 v9, v7, v6, v2 op_sel:[0,1,0] op_sel_hi:[0,1,0]
	v_mad_co_u64_u32 v[0:1], null, v0, s25, v[107:108]
	v_div_scale_f32 v2, null, v4, v4, v3
	v_div_scale_f32 v6, null, v4, v4, v5
	;; [unrolled: 1-line block ×4, first 2 shown]
	s_delay_alu instid0(VALU_DEP_4) | instskip(NEXT) | instid1(VALU_DEP_3)
	v_rcp_f32_e32 v11, v2
	v_rcp_f32_e32 v12, v6
	s_delay_alu instid0(VALU_DEP_2) | instskip(NEXT) | instid1(VALU_DEP_1)
	v_rcp_f32_e32 v13, v7
	v_rcp_f32_e32 v14, v10
	v_div_scale_f32 v15, vcc_lo, v3, v4, v3
	v_div_scale_f32 v16, s4, v5, v4, v5
	v_div_scale_f32 v17, s5, v8, v4, v8
	v_fma_f32 v1, -v2, v11, 1.0
	s_delay_alu instid0(TRANS32_DEP_3) | instskip(NEXT) | instid1(TRANS32_DEP_2)
	v_fma_f32 v18, -v6, v12, 1.0
	v_fma_f32 v19, -v7, v13, 1.0
	s_delay_alu instid0(TRANS32_DEP_1) | instskip(SKIP_1) | instid1(VALU_DEP_4)
	v_fma_f32 v20, -v10, v14, 1.0
	v_div_scale_f32 v21, s6, v9, v4, v9
	v_dual_fmac_f32 v11, v1, v11 :: v_dual_fmac_f32 v12, v18, v12
	s_delay_alu instid0(VALU_DEP_3) | instskip(SKIP_1) | instid1(VALU_DEP_3)
	v_dual_fmac_f32 v14, v20, v14 :: v_dual_fmac_f32 v13, v19, v13
	v_lshl_add_u32 v0, v0, 6, v72
	v_dual_mul_f32 v18, v15, v11 :: v_dual_mul_f32 v19, v16, v12
	s_delay_alu instid0(VALU_DEP_3) | instskip(NEXT) | instid1(VALU_DEP_3)
	v_mul_f32_e32 v22, v21, v14
	v_ashrrev_i32_e32 v1, 31, v0
	s_delay_alu instid0(VALU_DEP_3) | instskip(NEXT) | instid1(VALU_DEP_4)
	v_fma_f32 v23, -v2, v18, v15
	v_fma_f32 v24, -v6, v19, v16
	v_mul_f32_e32 v20, v17, v13
	v_fma_f32 v26, -v10, v22, v21
	v_lshlrev_b64_e32 v[0:1], 3, v[0:1]
	s_delay_alu instid0(VALU_DEP_4) | instskip(NEXT) | instid1(VALU_DEP_4)
	v_dual_fmac_f32 v18, v23, v11 :: v_dual_fmac_f32 v19, v24, v12
	v_fma_f32 v25, -v7, v20, v17
	s_delay_alu instid0(VALU_DEP_4) | instskip(NEXT) | instid1(VALU_DEP_3)
	v_fmac_f32_e32 v22, v26, v14
	v_fma_f32 v2, -v2, v18, v15
	s_delay_alu instid0(VALU_DEP_4) | instskip(NEXT) | instid1(VALU_DEP_4)
	v_fma_f32 v6, -v6, v19, v16
	v_fmac_f32_e32 v20, v25, v13
	s_delay_alu instid0(VALU_DEP_4)
	v_fma_f32 v10, -v10, v22, v21
	s_wait_alu 0xfffd
	v_div_fmas_f32 v2, v2, v11, v18
	s_mov_b32 vcc_lo, s4
	v_fma_f32 v7, -v7, v20, v17
	s_wait_alu 0xfffe
	v_div_fmas_f32 v6, v6, v12, v19
	s_mov_b32 vcc_lo, s5
	v_div_fixup_f32 v2, v2, v4, v3
	s_wait_alu 0xfffe
	v_div_fmas_f32 v7, v7, v13, v20
	s_mov_b32 vcc_lo, s6
	v_div_fixup_f32 v3, v6, v4, v5
	s_wait_alu 0xfffe
	v_div_fmas_f32 v10, v10, v14, v22
	v_add_co_u32 v5, vcc_lo, s72, v0
	s_wait_alu 0xfffd
	v_add_co_ci_u32_e64 v6, null, s73, v1, vcc_lo
	v_mov_b32_e32 v1, 0
	v_div_fixup_f32 v7, v7, v4, v8
	v_div_fixup_f32 v8, v10, v4, v9
	s_clause 0x1
	global_store_b64 v[5:6], v[2:3], off
	global_store_b64 v[5:6], v[7:8], off offset:256
.LBB25_328:                             ;   in Loop: Header=BB25_12 Depth=1
	s_wait_alu 0xfffe
	s_or_b32 exec_lo, exec_lo, s43
	s_mov_b32 s4, -1
	s_mov_b32 s5, exec_lo
	v_cmpx_gt_i32_e32 0x47, v1
; %bb.329:                              ;   in Loop: Header=BB25_12 Depth=1
	v_cmp_eq_u32_e32 vcc_lo, 0, v1
	s_or_not1_b32 s4, vcc_lo, exec_lo
; %bb.330:                              ;   in Loop: Header=BB25_12 Depth=1
	s_wait_alu 0xfffe
	s_or_b32 exec_lo, exec_lo, s5
	s_delay_alu instid0(SALU_CYCLE_1)
	s_and_b32 exec_lo, exec_lo, s4
	s_cbranch_execz .LBB25_10
; %bb.331:                              ;   in Loop: Header=BB25_12 Depth=1
	scratch_load_b32 v0, off, off offset:108 ; 4-byte Folded Reload
	s_wait_loadcnt 0x0
	v_dual_mov_b32 v1, 0x47 :: v_dual_add_nc_u32 v0, s94, v0
	s_delay_alu instid0(VALU_DEP_1)
	v_cmp_gt_i32_e32 vcc_lo, s24, v0
	s_and_b32 s4, vcc_lo, s3
	s_wait_alu 0xfffe
	s_and_saveexec_b32 s43, s4
	s_cbranch_execz .LBB25_333
; %bb.332:                              ;   in Loop: Header=BB25_12 Depth=1
	s_clause 0x1
	scratch_load_b32 v3, off, off offset:124
	scratch_load_b32 v6, off, off offset:120
	s_wait_loadcnt 0x1
	v_add_nc_u32_e32 v5, 0x1000, v3
	ds_load_2addr_b32 v[1:2], v3 offset1:32
	s_wait_loadcnt 0x0
	ds_load_2addr_b32 v[3:4], v6 offset0:64 offset1:65
	ds_load_b32 v7, v6 offset:4608
	ds_load_2addr_b32 v[5:6], v5 offset0:64 offset1:96
	s_wait_dscnt 0x2
	v_fma_mix_f32 v8, v3, v1, 0 op_sel_hi:[0,1,0]
	v_fma_mix_f32 v1, v3, v1, 0 op_sel:[0,1,0] op_sel_hi:[0,1,0]
	v_fma_mix_f32 v9, v3, v2, 0 op_sel_hi:[0,1,0]
	v_fma_mix_f32 v2, v3, v2, 0 op_sel:[0,1,0] op_sel_hi:[0,1,0]
	s_wait_dscnt 0x0
	v_fma_mix_f32 v3, v7, v5, v8 op_sel_hi:[0,1,0]
	v_fma_mix_f32 v5, v7, v5, v1 op_sel:[0,1,0] op_sel_hi:[0,1,0]
	v_fma_mix_f32 v8, v7, v6, v9 op_sel_hi:[0,1,0]
	v_fma_mix_f32 v9, v7, v6, v2 op_sel:[0,1,0] op_sel_hi:[0,1,0]
	v_mad_co_u64_u32 v[0:1], null, v0, s25, v[116:117]
	v_div_scale_f32 v2, null, v4, v4, v3
	v_div_scale_f32 v6, null, v4, v4, v5
	;; [unrolled: 1-line block ×4, first 2 shown]
	s_delay_alu instid0(VALU_DEP_4) | instskip(NEXT) | instid1(VALU_DEP_3)
	v_rcp_f32_e32 v11, v2
	v_rcp_f32_e32 v12, v6
	s_delay_alu instid0(VALU_DEP_2) | instskip(NEXT) | instid1(VALU_DEP_1)
	v_rcp_f32_e32 v13, v7
	v_rcp_f32_e32 v14, v10
	v_div_scale_f32 v15, vcc_lo, v3, v4, v3
	v_div_scale_f32 v16, s4, v5, v4, v5
	v_div_scale_f32 v17, s5, v8, v4, v8
	v_fma_f32 v1, -v2, v11, 1.0
	s_delay_alu instid0(TRANS32_DEP_3) | instskip(NEXT) | instid1(TRANS32_DEP_2)
	v_fma_f32 v18, -v6, v12, 1.0
	v_fma_f32 v19, -v7, v13, 1.0
	s_delay_alu instid0(TRANS32_DEP_1) | instskip(SKIP_1) | instid1(VALU_DEP_4)
	v_fma_f32 v20, -v10, v14, 1.0
	v_div_scale_f32 v21, s6, v9, v4, v9
	v_dual_fmac_f32 v11, v1, v11 :: v_dual_fmac_f32 v12, v18, v12
	s_delay_alu instid0(VALU_DEP_3) | instskip(SKIP_1) | instid1(VALU_DEP_3)
	v_dual_fmac_f32 v14, v20, v14 :: v_dual_fmac_f32 v13, v19, v13
	v_lshl_add_u32 v0, v0, 6, v72
	v_dual_mul_f32 v18, v15, v11 :: v_dual_mul_f32 v19, v16, v12
	s_delay_alu instid0(VALU_DEP_3) | instskip(NEXT) | instid1(VALU_DEP_3)
	v_mul_f32_e32 v22, v21, v14
	v_ashrrev_i32_e32 v1, 31, v0
	s_delay_alu instid0(VALU_DEP_3) | instskip(NEXT) | instid1(VALU_DEP_4)
	v_fma_f32 v23, -v2, v18, v15
	v_fma_f32 v24, -v6, v19, v16
	v_mul_f32_e32 v20, v17, v13
	v_fma_f32 v26, -v10, v22, v21
	v_lshlrev_b64_e32 v[0:1], 3, v[0:1]
	s_delay_alu instid0(VALU_DEP_4) | instskip(NEXT) | instid1(VALU_DEP_4)
	v_dual_fmac_f32 v18, v23, v11 :: v_dual_fmac_f32 v19, v24, v12
	v_fma_f32 v25, -v7, v20, v17
	s_delay_alu instid0(VALU_DEP_4) | instskip(NEXT) | instid1(VALU_DEP_3)
	v_fmac_f32_e32 v22, v26, v14
	v_fma_f32 v2, -v2, v18, v15
	s_delay_alu instid0(VALU_DEP_4) | instskip(NEXT) | instid1(VALU_DEP_4)
	v_fma_f32 v6, -v6, v19, v16
	v_fmac_f32_e32 v20, v25, v13
	s_delay_alu instid0(VALU_DEP_4)
	v_fma_f32 v10, -v10, v22, v21
	s_wait_alu 0xfffd
	v_div_fmas_f32 v2, v2, v11, v18
	s_mov_b32 vcc_lo, s4
	v_fma_f32 v7, -v7, v20, v17
	s_wait_alu 0xfffe
	v_div_fmas_f32 v6, v6, v12, v19
	s_mov_b32 vcc_lo, s5
	v_div_fixup_f32 v2, v2, v4, v3
	s_wait_alu 0xfffe
	v_div_fmas_f32 v7, v7, v13, v20
	s_mov_b32 vcc_lo, s6
	v_div_fixup_f32 v3, v6, v4, v5
	s_wait_alu 0xfffe
	v_div_fmas_f32 v10, v10, v14, v22
	v_add_co_u32 v5, vcc_lo, s72, v0
	s_wait_alu 0xfffd
	v_add_co_ci_u32_e64 v6, null, s73, v1, vcc_lo
	v_mov_b32_e32 v1, 0
	v_div_fixup_f32 v7, v7, v4, v8
	v_div_fixup_f32 v8, v10, v4, v9
	s_clause 0x1
	global_store_b64 v[5:6], v[2:3], off
	global_store_b64 v[5:6], v[7:8], off offset:256
.LBB25_333:                             ;   in Loop: Header=BB25_12 Depth=1
	s_wait_alu 0xfffe
	s_or_b32 exec_lo, exec_lo, s43
	s_mov_b32 s4, -1
	s_mov_b32 s5, exec_lo
	v_cmpx_gt_i32_e32 0x47, v1
; %bb.334:                              ;   in Loop: Header=BB25_12 Depth=1
	v_cmp_eq_u32_e32 vcc_lo, 0, v1
	s_or_not1_b32 s4, vcc_lo, exec_lo
; %bb.335:                              ;   in Loop: Header=BB25_12 Depth=1
	s_wait_alu 0xfffe
	s_or_b32 exec_lo, exec_lo, s5
	s_delay_alu instid0(SALU_CYCLE_1)
	s_and_b32 exec_lo, exec_lo, s4
	s_cbranch_execz .LBB25_10
; %bb.336:                              ;   in Loop: Header=BB25_12 Depth=1
	s_clause 0x1
	scratch_load_b32 v0, off, off offset:128
	scratch_load_b64 v[1:2], off, off offset:112
	s_wait_loadcnt 0x1
	v_add_nc_u32_e32 v0, s94, v0
	s_wait_loadcnt 0x0
	v_or_b32_e32 v1, s34, v1
	s_delay_alu instid0(VALU_DEP_1)
	v_cmp_gt_i32_e64 s4, s96, v1
	v_mov_b32_e32 v1, 0x47
	v_cmp_gt_i32_e32 vcc_lo, s24, v0
	s_and_b32 s4, vcc_lo, s4
	s_wait_alu 0xfffe
	s_and_saveexec_b32 s43, s4
	s_cbranch_execz .LBB25_338
; %bb.337:                              ;   in Loop: Header=BB25_12 Depth=1
	s_clause 0x1
	scratch_load_b32 v3, off, off offset:140
	scratch_load_b32 v6, off, off offset:132
	s_wait_loadcnt 0x1
	v_add_nc_u32_e32 v5, 0x1000, v3
	ds_load_2addr_b32 v[1:2], v3 offset1:32
	s_wait_loadcnt 0x0
	ds_load_2addr_b32 v[3:4], v6 offset0:64 offset1:65
	ds_load_b32 v7, v6 offset:4608
	ds_load_2addr_b32 v[5:6], v5 offset0:64 offset1:96
	scratch_load_b64 v[11:12], off, off offset:112 ; 8-byte Folded Reload
	s_wait_dscnt 0x2
	v_fma_mix_f32 v8, v3, v1, 0 op_sel_hi:[0,1,0]
	v_fma_mix_f32 v1, v3, v1, 0 op_sel:[0,1,0] op_sel_hi:[0,1,0]
	v_fma_mix_f32 v9, v3, v2, 0 op_sel_hi:[0,1,0]
	v_fma_mix_f32 v2, v3, v2, 0 op_sel:[0,1,0] op_sel_hi:[0,1,0]
	s_wait_dscnt 0x0
	v_fma_mix_f32 v3, v7, v5, v8 op_sel_hi:[0,1,0]
	v_fma_mix_f32 v5, v7, v5, v1 op_sel:[0,1,0] op_sel_hi:[0,1,0]
	v_fma_mix_f32 v8, v7, v6, v9 op_sel_hi:[0,1,0]
	v_fma_mix_f32 v9, v7, v6, v2 op_sel:[0,1,0] op_sel_hi:[0,1,0]
	s_delay_alu instid0(VALU_DEP_4) | instskip(NEXT) | instid1(VALU_DEP_4)
	v_div_scale_f32 v2, null, v4, v4, v3
	v_div_scale_f32 v6, null, v4, v4, v5
	s_delay_alu instid0(VALU_DEP_4) | instskip(NEXT) | instid1(VALU_DEP_4)
	v_div_scale_f32 v7, null, v4, v4, v8
	v_div_scale_f32 v10, null, v4, v4, v9
	v_div_scale_f32 v15, vcc_lo, v3, v4, v3
	s_delay_alu instid0(VALU_DEP_3) | instskip(NEXT) | instid1(VALU_DEP_2)
	v_rcp_f32_e32 v13, v7
	v_rcp_f32_e32 v14, v10
	v_div_scale_f32 v16, s4, v5, v4, v5
	v_div_scale_f32 v17, s5, v8, v4, v8
	;; [unrolled: 1-line block ×3, first 2 shown]
	s_delay_alu instid0(TRANS32_DEP_2) | instskip(NEXT) | instid1(TRANS32_DEP_1)
	v_fma_f32 v19, -v7, v13, 1.0
	v_fma_f32 v20, -v10, v14, 1.0
	s_delay_alu instid0(VALU_DEP_1) | instskip(NEXT) | instid1(VALU_DEP_1)
	v_dual_fmac_f32 v14, v20, v14 :: v_dual_fmac_f32 v13, v19, v13
	v_mul_f32_e32 v22, v21, v14
	s_delay_alu instid0(VALU_DEP_1) | instskip(NEXT) | instid1(VALU_DEP_1)
	v_fma_f32 v26, -v10, v22, v21
	v_fmac_f32_e32 v22, v26, v14
	s_delay_alu instid0(VALU_DEP_1) | instskip(SKIP_4) | instid1(VALU_DEP_1)
	v_fma_f32 v10, -v10, v22, v21
	s_wait_loadcnt 0x0
	v_mad_co_u64_u32 v[0:1], null, v0, s25, v[11:12]
	v_rcp_f32_e32 v11, v2
	v_rcp_f32_e32 v12, v6
	v_lshl_add_u32 v0, v0, 6, v72
	s_delay_alu instid0(TRANS32_DEP_2) | instskip(NEXT) | instid1(TRANS32_DEP_1)
	v_fma_f32 v1, -v2, v11, 1.0
	v_fma_f32 v18, -v6, v12, 1.0
	s_delay_alu instid0(VALU_DEP_1) | instskip(NEXT) | instid1(VALU_DEP_4)
	v_dual_fmac_f32 v11, v1, v11 :: v_dual_fmac_f32 v12, v18, v12
	v_ashrrev_i32_e32 v1, 31, v0
	s_delay_alu instid0(VALU_DEP_2) | instskip(NEXT) | instid1(VALU_DEP_2)
	v_dual_mul_f32 v18, v15, v11 :: v_dual_mul_f32 v19, v16, v12
	v_lshlrev_b64_e32 v[0:1], 3, v[0:1]
	s_delay_alu instid0(VALU_DEP_2) | instskip(NEXT) | instid1(VALU_DEP_3)
	v_fma_f32 v23, -v2, v18, v15
	v_fma_f32 v24, -v6, v19, v16
	v_mul_f32_e32 v20, v17, v13
	s_delay_alu instid0(VALU_DEP_2) | instskip(NEXT) | instid1(VALU_DEP_2)
	v_dual_fmac_f32 v18, v23, v11 :: v_dual_fmac_f32 v19, v24, v12
	v_fma_f32 v25, -v7, v20, v17
	s_delay_alu instid0(VALU_DEP_2) | instskip(NEXT) | instid1(VALU_DEP_3)
	v_fma_f32 v2, -v2, v18, v15
	v_fma_f32 v6, -v6, v19, v16
	s_delay_alu instid0(VALU_DEP_3) | instskip(SKIP_1) | instid1(VALU_DEP_3)
	v_fmac_f32_e32 v20, v25, v13
	s_wait_alu 0xfffd
	v_div_fmas_f32 v2, v2, v11, v18
	s_mov_b32 vcc_lo, s4
	s_delay_alu instid0(VALU_DEP_2)
	v_fma_f32 v7, -v7, v20, v17
	s_wait_alu 0xfffe
	v_div_fmas_f32 v6, v6, v12, v19
	s_mov_b32 vcc_lo, s5
	v_div_fixup_f32 v2, v2, v4, v3
	s_wait_alu 0xfffe
	v_div_fmas_f32 v7, v7, v13, v20
	s_mov_b32 vcc_lo, s6
	v_div_fixup_f32 v3, v6, v4, v5
	s_wait_alu 0xfffe
	v_div_fmas_f32 v10, v10, v14, v22
	v_add_co_u32 v5, vcc_lo, s72, v0
	s_wait_alu 0xfffd
	v_add_co_ci_u32_e64 v6, null, s73, v1, vcc_lo
	v_mov_b32_e32 v1, 0
	v_div_fixup_f32 v7, v7, v4, v8
	v_div_fixup_f32 v8, v10, v4, v9
	s_clause 0x1
	global_store_b64 v[5:6], v[2:3], off
	global_store_b64 v[5:6], v[7:8], off offset:256
.LBB25_338:                             ;   in Loop: Header=BB25_12 Depth=1
	s_wait_alu 0xfffe
	s_or_b32 exec_lo, exec_lo, s43
	s_mov_b32 s4, -1
	s_mov_b32 s5, exec_lo
	v_cmpx_gt_i32_e32 0x47, v1
; %bb.339:                              ;   in Loop: Header=BB25_12 Depth=1
	v_cmp_eq_u32_e32 vcc_lo, 0, v1
	s_or_not1_b32 s4, vcc_lo, exec_lo
; %bb.340:                              ;   in Loop: Header=BB25_12 Depth=1
	s_wait_alu 0xfffe
	s_or_b32 exec_lo, exec_lo, s5
	s_delay_alu instid0(SALU_CYCLE_1)
	s_and_b32 exec_lo, exec_lo, s4
	s_cbranch_execz .LBB25_10
; %bb.341:                              ;   in Loop: Header=BB25_12 Depth=1
	scratch_load_b32 v0, off, off offset:136 ; 4-byte Folded Reload
	s_wait_loadcnt 0x0
	v_dual_mov_b32 v1, 0x47 :: v_dual_add_nc_u32 v0, s94, v0
	s_delay_alu instid0(VALU_DEP_1)
	v_cmp_gt_i32_e32 vcc_lo, s24, v0
	s_and_b32 s4, vcc_lo, s3
	s_wait_alu 0xfffe
	s_and_saveexec_b32 s43, s4
	s_cbranch_execz .LBB25_343
; %bb.342:                              ;   in Loop: Header=BB25_12 Depth=1
	s_clause 0x1
	scratch_load_b32 v3, off, off offset:160
	scratch_load_b32 v6, off, off offset:156
	s_wait_loadcnt 0x1
	v_add_nc_u32_e32 v5, 0x1000, v3
	ds_load_2addr_b32 v[1:2], v3 offset1:32
	s_wait_loadcnt 0x0
	ds_load_2addr_b32 v[3:4], v6 offset0:64 offset1:65
	ds_load_b32 v7, v6 offset:4608
	ds_load_2addr_b32 v[5:6], v5 offset0:64 offset1:96
	s_wait_dscnt 0x2
	v_fma_mix_f32 v8, v3, v1, 0 op_sel_hi:[0,1,0]
	v_fma_mix_f32 v1, v3, v1, 0 op_sel:[0,1,0] op_sel_hi:[0,1,0]
	v_fma_mix_f32 v9, v3, v2, 0 op_sel_hi:[0,1,0]
	v_fma_mix_f32 v2, v3, v2, 0 op_sel:[0,1,0] op_sel_hi:[0,1,0]
	s_wait_dscnt 0x0
	v_fma_mix_f32 v3, v7, v5, v8 op_sel_hi:[0,1,0]
	v_fma_mix_f32 v5, v7, v5, v1 op_sel:[0,1,0] op_sel_hi:[0,1,0]
	v_fma_mix_f32 v8, v7, v6, v9 op_sel_hi:[0,1,0]
	v_fma_mix_f32 v9, v7, v6, v2 op_sel:[0,1,0] op_sel_hi:[0,1,0]
	v_mad_co_u64_u32 v[0:1], null, v0, s25, v[116:117]
	v_div_scale_f32 v2, null, v4, v4, v3
	v_div_scale_f32 v6, null, v4, v4, v5
	;; [unrolled: 1-line block ×4, first 2 shown]
	s_delay_alu instid0(VALU_DEP_4) | instskip(NEXT) | instid1(VALU_DEP_3)
	v_rcp_f32_e32 v11, v2
	v_rcp_f32_e32 v12, v6
	s_delay_alu instid0(VALU_DEP_2) | instskip(NEXT) | instid1(VALU_DEP_1)
	v_rcp_f32_e32 v13, v7
	v_rcp_f32_e32 v14, v10
	v_div_scale_f32 v15, vcc_lo, v3, v4, v3
	v_div_scale_f32 v16, s4, v5, v4, v5
	v_div_scale_f32 v17, s5, v8, v4, v8
	v_fma_f32 v1, -v2, v11, 1.0
	s_delay_alu instid0(TRANS32_DEP_3) | instskip(NEXT) | instid1(TRANS32_DEP_2)
	v_fma_f32 v18, -v6, v12, 1.0
	v_fma_f32 v19, -v7, v13, 1.0
	s_delay_alu instid0(TRANS32_DEP_1) | instskip(SKIP_1) | instid1(VALU_DEP_4)
	v_fma_f32 v20, -v10, v14, 1.0
	v_div_scale_f32 v21, s6, v9, v4, v9
	v_dual_fmac_f32 v11, v1, v11 :: v_dual_fmac_f32 v12, v18, v12
	s_delay_alu instid0(VALU_DEP_3) | instskip(SKIP_1) | instid1(VALU_DEP_3)
	v_dual_fmac_f32 v14, v20, v14 :: v_dual_fmac_f32 v13, v19, v13
	v_lshl_add_u32 v0, v0, 6, v72
	v_dual_mul_f32 v18, v15, v11 :: v_dual_mul_f32 v19, v16, v12
	s_delay_alu instid0(VALU_DEP_3) | instskip(NEXT) | instid1(VALU_DEP_3)
	v_mul_f32_e32 v22, v21, v14
	v_ashrrev_i32_e32 v1, 31, v0
	s_delay_alu instid0(VALU_DEP_3) | instskip(NEXT) | instid1(VALU_DEP_4)
	v_fma_f32 v23, -v2, v18, v15
	v_fma_f32 v24, -v6, v19, v16
	v_mul_f32_e32 v20, v17, v13
	v_fma_f32 v26, -v10, v22, v21
	v_lshlrev_b64_e32 v[0:1], 3, v[0:1]
	s_delay_alu instid0(VALU_DEP_4) | instskip(NEXT) | instid1(VALU_DEP_4)
	v_dual_fmac_f32 v18, v23, v11 :: v_dual_fmac_f32 v19, v24, v12
	v_fma_f32 v25, -v7, v20, v17
	s_delay_alu instid0(VALU_DEP_4) | instskip(NEXT) | instid1(VALU_DEP_3)
	v_fmac_f32_e32 v22, v26, v14
	v_fma_f32 v2, -v2, v18, v15
	s_delay_alu instid0(VALU_DEP_4) | instskip(NEXT) | instid1(VALU_DEP_4)
	v_fma_f32 v6, -v6, v19, v16
	v_fmac_f32_e32 v20, v25, v13
	s_delay_alu instid0(VALU_DEP_4)
	v_fma_f32 v10, -v10, v22, v21
	s_wait_alu 0xfffd
	v_div_fmas_f32 v2, v2, v11, v18
	s_mov_b32 vcc_lo, s4
	v_fma_f32 v7, -v7, v20, v17
	s_wait_alu 0xfffe
	v_div_fmas_f32 v6, v6, v12, v19
	s_mov_b32 vcc_lo, s5
	v_div_fixup_f32 v2, v2, v4, v3
	s_wait_alu 0xfffe
	v_div_fmas_f32 v7, v7, v13, v20
	s_mov_b32 vcc_lo, s6
	v_div_fixup_f32 v3, v6, v4, v5
	s_wait_alu 0xfffe
	v_div_fmas_f32 v10, v10, v14, v22
	v_add_co_u32 v5, vcc_lo, s72, v0
	s_wait_alu 0xfffd
	v_add_co_ci_u32_e64 v6, null, s73, v1, vcc_lo
	v_mov_b32_e32 v1, 0
	v_div_fixup_f32 v7, v7, v4, v8
	v_div_fixup_f32 v8, v10, v4, v9
	s_clause 0x1
	global_store_b64 v[5:6], v[2:3], off
	global_store_b64 v[5:6], v[7:8], off offset:256
.LBB25_343:                             ;   in Loop: Header=BB25_12 Depth=1
	s_wait_alu 0xfffe
	s_or_b32 exec_lo, exec_lo, s43
	s_mov_b32 s4, -1
	s_mov_b32 s5, exec_lo
	v_cmpx_gt_i32_e32 0x47, v1
; %bb.344:                              ;   in Loop: Header=BB25_12 Depth=1
	v_cmp_eq_u32_e32 vcc_lo, 0, v1
	s_or_not1_b32 s4, vcc_lo, exec_lo
; %bb.345:                              ;   in Loop: Header=BB25_12 Depth=1
	s_wait_alu 0xfffe
	s_or_b32 exec_lo, exec_lo, s5
	s_delay_alu instid0(SALU_CYCLE_1)
	s_and_b32 exec_lo, exec_lo, s4
	s_cbranch_execz .LBB25_10
; %bb.346:                              ;   in Loop: Header=BB25_12 Depth=1
	s_clause 0x1
	scratch_load_b32 v0, off, off offset:164
	scratch_load_b64 v[1:2], off, off offset:148
	s_wait_loadcnt 0x1
	v_add_nc_u32_e32 v0, s94, v0
	s_wait_loadcnt 0x0
	v_or_b32_e32 v1, s34, v1
	s_delay_alu instid0(VALU_DEP_1)
	v_cmp_gt_i32_e64 s4, s96, v1
	v_mov_b32_e32 v1, 0x47
	v_cmp_gt_i32_e32 vcc_lo, s24, v0
	s_and_b32 s4, vcc_lo, s4
	s_wait_alu 0xfffe
	s_and_saveexec_b32 s43, s4
	s_cbranch_execz .LBB25_348
; %bb.347:                              ;   in Loop: Header=BB25_12 Depth=1
	s_clause 0x1
	scratch_load_b32 v3, off, off offset:176
	scratch_load_b32 v6, off, off offset:168
	s_wait_loadcnt 0x1
	v_add_nc_u32_e32 v5, 0x1000, v3
	ds_load_2addr_b32 v[1:2], v3 offset1:32
	s_wait_loadcnt 0x0
	ds_load_2addr_b32 v[3:4], v6 offset0:64 offset1:65
	ds_load_b32 v7, v6 offset:4608
	ds_load_2addr_b32 v[5:6], v5 offset0:64 offset1:96
	scratch_load_b64 v[11:12], off, off offset:148 ; 8-byte Folded Reload
	s_wait_dscnt 0x2
	v_fma_mix_f32 v8, v3, v1, 0 op_sel_hi:[0,1,0]
	v_fma_mix_f32 v1, v3, v1, 0 op_sel:[0,1,0] op_sel_hi:[0,1,0]
	v_fma_mix_f32 v9, v3, v2, 0 op_sel_hi:[0,1,0]
	v_fma_mix_f32 v2, v3, v2, 0 op_sel:[0,1,0] op_sel_hi:[0,1,0]
	s_wait_dscnt 0x0
	v_fma_mix_f32 v3, v7, v5, v8 op_sel_hi:[0,1,0]
	v_fma_mix_f32 v5, v7, v5, v1 op_sel:[0,1,0] op_sel_hi:[0,1,0]
	v_fma_mix_f32 v8, v7, v6, v9 op_sel_hi:[0,1,0]
	v_fma_mix_f32 v9, v7, v6, v2 op_sel:[0,1,0] op_sel_hi:[0,1,0]
	s_delay_alu instid0(VALU_DEP_4) | instskip(NEXT) | instid1(VALU_DEP_4)
	v_div_scale_f32 v2, null, v4, v4, v3
	v_div_scale_f32 v6, null, v4, v4, v5
	s_delay_alu instid0(VALU_DEP_4) | instskip(NEXT) | instid1(VALU_DEP_4)
	v_div_scale_f32 v7, null, v4, v4, v8
	v_div_scale_f32 v10, null, v4, v4, v9
	v_div_scale_f32 v15, vcc_lo, v3, v4, v3
	s_delay_alu instid0(VALU_DEP_3) | instskip(NEXT) | instid1(VALU_DEP_2)
	v_rcp_f32_e32 v13, v7
	v_rcp_f32_e32 v14, v10
	v_div_scale_f32 v16, s4, v5, v4, v5
	v_div_scale_f32 v17, s5, v8, v4, v8
	;; [unrolled: 1-line block ×3, first 2 shown]
	s_delay_alu instid0(TRANS32_DEP_2) | instskip(NEXT) | instid1(TRANS32_DEP_1)
	v_fma_f32 v19, -v7, v13, 1.0
	v_fma_f32 v20, -v10, v14, 1.0
	s_delay_alu instid0(VALU_DEP_1) | instskip(NEXT) | instid1(VALU_DEP_1)
	v_dual_fmac_f32 v14, v20, v14 :: v_dual_fmac_f32 v13, v19, v13
	v_mul_f32_e32 v22, v21, v14
	s_delay_alu instid0(VALU_DEP_1) | instskip(NEXT) | instid1(VALU_DEP_1)
	v_fma_f32 v26, -v10, v22, v21
	v_fmac_f32_e32 v22, v26, v14
	s_delay_alu instid0(VALU_DEP_1) | instskip(SKIP_4) | instid1(VALU_DEP_1)
	v_fma_f32 v10, -v10, v22, v21
	s_wait_loadcnt 0x0
	v_mad_co_u64_u32 v[0:1], null, v0, s25, v[11:12]
	v_rcp_f32_e32 v11, v2
	v_rcp_f32_e32 v12, v6
	v_lshl_add_u32 v0, v0, 6, v72
	s_delay_alu instid0(TRANS32_DEP_2) | instskip(NEXT) | instid1(TRANS32_DEP_1)
	v_fma_f32 v1, -v2, v11, 1.0
	v_fma_f32 v18, -v6, v12, 1.0
	s_delay_alu instid0(VALU_DEP_1) | instskip(NEXT) | instid1(VALU_DEP_4)
	v_dual_fmac_f32 v11, v1, v11 :: v_dual_fmac_f32 v12, v18, v12
	v_ashrrev_i32_e32 v1, 31, v0
	s_delay_alu instid0(VALU_DEP_2) | instskip(NEXT) | instid1(VALU_DEP_2)
	v_dual_mul_f32 v18, v15, v11 :: v_dual_mul_f32 v19, v16, v12
	v_lshlrev_b64_e32 v[0:1], 3, v[0:1]
	s_delay_alu instid0(VALU_DEP_2) | instskip(NEXT) | instid1(VALU_DEP_3)
	v_fma_f32 v23, -v2, v18, v15
	v_fma_f32 v24, -v6, v19, v16
	v_mul_f32_e32 v20, v17, v13
	s_delay_alu instid0(VALU_DEP_2) | instskip(NEXT) | instid1(VALU_DEP_2)
	v_dual_fmac_f32 v18, v23, v11 :: v_dual_fmac_f32 v19, v24, v12
	v_fma_f32 v25, -v7, v20, v17
	s_delay_alu instid0(VALU_DEP_2) | instskip(NEXT) | instid1(VALU_DEP_3)
	v_fma_f32 v2, -v2, v18, v15
	v_fma_f32 v6, -v6, v19, v16
	s_delay_alu instid0(VALU_DEP_3) | instskip(SKIP_1) | instid1(VALU_DEP_3)
	v_fmac_f32_e32 v20, v25, v13
	s_wait_alu 0xfffd
	v_div_fmas_f32 v2, v2, v11, v18
	s_mov_b32 vcc_lo, s4
	s_delay_alu instid0(VALU_DEP_2)
	v_fma_f32 v7, -v7, v20, v17
	s_wait_alu 0xfffe
	v_div_fmas_f32 v6, v6, v12, v19
	s_mov_b32 vcc_lo, s5
	v_div_fixup_f32 v2, v2, v4, v3
	s_wait_alu 0xfffe
	v_div_fmas_f32 v7, v7, v13, v20
	s_mov_b32 vcc_lo, s6
	v_div_fixup_f32 v3, v6, v4, v5
	s_wait_alu 0xfffe
	v_div_fmas_f32 v10, v10, v14, v22
	v_add_co_u32 v5, vcc_lo, s72, v0
	s_wait_alu 0xfffd
	v_add_co_ci_u32_e64 v6, null, s73, v1, vcc_lo
	v_mov_b32_e32 v1, 0
	v_div_fixup_f32 v7, v7, v4, v8
	v_div_fixup_f32 v8, v10, v4, v9
	s_clause 0x1
	global_store_b64 v[5:6], v[2:3], off
	global_store_b64 v[5:6], v[7:8], off offset:256
.LBB25_348:                             ;   in Loop: Header=BB25_12 Depth=1
	s_wait_alu 0xfffe
	s_or_b32 exec_lo, exec_lo, s43
	s_mov_b32 s4, -1
	s_mov_b32 s5, exec_lo
	v_cmpx_gt_i32_e32 0x47, v1
; %bb.349:                              ;   in Loop: Header=BB25_12 Depth=1
	v_cmp_eq_u32_e32 vcc_lo, 0, v1
	s_or_not1_b32 s4, vcc_lo, exec_lo
; %bb.350:                              ;   in Loop: Header=BB25_12 Depth=1
	s_wait_alu 0xfffe
	s_or_b32 exec_lo, exec_lo, s5
	s_delay_alu instid0(SALU_CYCLE_1)
	s_and_b32 exec_lo, exec_lo, s4
	s_cbranch_execz .LBB25_10
; %bb.351:                              ;   in Loop: Header=BB25_12 Depth=1
	scratch_load_b32 v0, off, off offset:172 ; 4-byte Folded Reload
	s_wait_loadcnt 0x0
	v_dual_mov_b32 v1, 0x47 :: v_dual_add_nc_u32 v0, s94, v0
	s_delay_alu instid0(VALU_DEP_1)
	v_cmp_gt_i32_e32 vcc_lo, s24, v0
	s_and_b32 s4, vcc_lo, s3
	s_wait_alu 0xfffe
	s_and_saveexec_b32 s43, s4
	s_cbranch_execz .LBB25_353
; %bb.352:                              ;   in Loop: Header=BB25_12 Depth=1
	s_clause 0x1
	scratch_load_b32 v3, off, off offset:192
	scratch_load_b32 v6, off, off offset:188
	s_wait_loadcnt 0x1
	v_add_nc_u32_e32 v5, 0x1000, v3
	ds_load_2addr_b32 v[1:2], v3 offset1:32
	s_wait_loadcnt 0x0
	ds_load_2addr_b32 v[3:4], v6 offset0:64 offset1:65
	ds_load_b32 v7, v6 offset:4608
	ds_load_2addr_b32 v[5:6], v5 offset0:64 offset1:96
	s_wait_dscnt 0x2
	v_fma_mix_f32 v8, v3, v1, 0 op_sel_hi:[0,1,0]
	v_fma_mix_f32 v1, v3, v1, 0 op_sel:[0,1,0] op_sel_hi:[0,1,0]
	v_fma_mix_f32 v9, v3, v2, 0 op_sel_hi:[0,1,0]
	v_fma_mix_f32 v2, v3, v2, 0 op_sel:[0,1,0] op_sel_hi:[0,1,0]
	s_wait_dscnt 0x0
	v_fma_mix_f32 v3, v7, v5, v8 op_sel_hi:[0,1,0]
	v_fma_mix_f32 v5, v7, v5, v1 op_sel:[0,1,0] op_sel_hi:[0,1,0]
	v_fma_mix_f32 v8, v7, v6, v9 op_sel_hi:[0,1,0]
	v_fma_mix_f32 v9, v7, v6, v2 op_sel:[0,1,0] op_sel_hi:[0,1,0]
	v_mad_co_u64_u32 v[0:1], null, v0, s25, v[116:117]
	v_div_scale_f32 v2, null, v4, v4, v3
	v_div_scale_f32 v6, null, v4, v4, v5
	;; [unrolled: 1-line block ×4, first 2 shown]
	s_delay_alu instid0(VALU_DEP_4) | instskip(NEXT) | instid1(VALU_DEP_3)
	v_rcp_f32_e32 v11, v2
	v_rcp_f32_e32 v12, v6
	s_delay_alu instid0(VALU_DEP_2) | instskip(NEXT) | instid1(VALU_DEP_1)
	v_rcp_f32_e32 v13, v7
	v_rcp_f32_e32 v14, v10
	v_div_scale_f32 v15, vcc_lo, v3, v4, v3
	v_div_scale_f32 v16, s4, v5, v4, v5
	v_div_scale_f32 v17, s5, v8, v4, v8
	v_fma_f32 v1, -v2, v11, 1.0
	s_delay_alu instid0(TRANS32_DEP_3) | instskip(NEXT) | instid1(TRANS32_DEP_2)
	v_fma_f32 v18, -v6, v12, 1.0
	v_fma_f32 v19, -v7, v13, 1.0
	s_delay_alu instid0(TRANS32_DEP_1) | instskip(SKIP_1) | instid1(VALU_DEP_4)
	v_fma_f32 v20, -v10, v14, 1.0
	v_div_scale_f32 v21, s6, v9, v4, v9
	v_dual_fmac_f32 v11, v1, v11 :: v_dual_fmac_f32 v12, v18, v12
	s_delay_alu instid0(VALU_DEP_3) | instskip(SKIP_1) | instid1(VALU_DEP_3)
	v_dual_fmac_f32 v14, v20, v14 :: v_dual_fmac_f32 v13, v19, v13
	v_lshl_add_u32 v0, v0, 6, v72
	v_dual_mul_f32 v18, v15, v11 :: v_dual_mul_f32 v19, v16, v12
	s_delay_alu instid0(VALU_DEP_3) | instskip(NEXT) | instid1(VALU_DEP_3)
	v_mul_f32_e32 v22, v21, v14
	v_ashrrev_i32_e32 v1, 31, v0
	s_delay_alu instid0(VALU_DEP_3) | instskip(NEXT) | instid1(VALU_DEP_4)
	v_fma_f32 v23, -v2, v18, v15
	v_fma_f32 v24, -v6, v19, v16
	v_mul_f32_e32 v20, v17, v13
	v_fma_f32 v26, -v10, v22, v21
	v_lshlrev_b64_e32 v[0:1], 3, v[0:1]
	s_delay_alu instid0(VALU_DEP_4) | instskip(NEXT) | instid1(VALU_DEP_4)
	v_dual_fmac_f32 v18, v23, v11 :: v_dual_fmac_f32 v19, v24, v12
	v_fma_f32 v25, -v7, v20, v17
	s_delay_alu instid0(VALU_DEP_4) | instskip(NEXT) | instid1(VALU_DEP_3)
	v_fmac_f32_e32 v22, v26, v14
	v_fma_f32 v2, -v2, v18, v15
	s_delay_alu instid0(VALU_DEP_4) | instskip(NEXT) | instid1(VALU_DEP_4)
	v_fma_f32 v6, -v6, v19, v16
	v_fmac_f32_e32 v20, v25, v13
	s_delay_alu instid0(VALU_DEP_4)
	v_fma_f32 v10, -v10, v22, v21
	s_wait_alu 0xfffd
	v_div_fmas_f32 v2, v2, v11, v18
	s_mov_b32 vcc_lo, s4
	v_fma_f32 v7, -v7, v20, v17
	s_wait_alu 0xfffe
	v_div_fmas_f32 v6, v6, v12, v19
	s_mov_b32 vcc_lo, s5
	v_div_fixup_f32 v2, v2, v4, v3
	s_wait_alu 0xfffe
	v_div_fmas_f32 v7, v7, v13, v20
	s_mov_b32 vcc_lo, s6
	v_div_fixup_f32 v3, v6, v4, v5
	s_wait_alu 0xfffe
	v_div_fmas_f32 v10, v10, v14, v22
	v_add_co_u32 v5, vcc_lo, s72, v0
	s_wait_alu 0xfffd
	v_add_co_ci_u32_e64 v6, null, s73, v1, vcc_lo
	v_mov_b32_e32 v1, 0
	v_div_fixup_f32 v7, v7, v4, v8
	v_div_fixup_f32 v8, v10, v4, v9
	s_clause 0x1
	global_store_b64 v[5:6], v[2:3], off
	global_store_b64 v[5:6], v[7:8], off offset:256
.LBB25_353:                             ;   in Loop: Header=BB25_12 Depth=1
	s_wait_alu 0xfffe
	s_or_b32 exec_lo, exec_lo, s43
	s_mov_b32 s4, -1
	s_mov_b32 s5, exec_lo
	v_cmpx_gt_i32_e32 0x47, v1
; %bb.354:                              ;   in Loop: Header=BB25_12 Depth=1
	v_cmp_eq_u32_e32 vcc_lo, 0, v1
	s_or_not1_b32 s4, vcc_lo, exec_lo
; %bb.355:                              ;   in Loop: Header=BB25_12 Depth=1
	s_wait_alu 0xfffe
	s_or_b32 exec_lo, exec_lo, s5
	s_delay_alu instid0(SALU_CYCLE_1)
	s_and_b32 exec_lo, exec_lo, s4
	s_cbranch_execz .LBB25_10
; %bb.356:                              ;   in Loop: Header=BB25_12 Depth=1
	s_clause 0x1
	scratch_load_b32 v0, off, off offset:196
	scratch_load_b64 v[1:2], off, off offset:180
	s_wait_loadcnt 0x1
	v_add_nc_u32_e32 v0, s94, v0
	s_wait_loadcnt 0x0
	v_or_b32_e32 v1, s34, v1
	s_delay_alu instid0(VALU_DEP_1)
	v_cmp_gt_i32_e64 s4, s96, v1
	v_mov_b32_e32 v1, 0x47
	v_cmp_gt_i32_e32 vcc_lo, s24, v0
	s_and_b32 s4, vcc_lo, s4
	s_wait_alu 0xfffe
	s_and_saveexec_b32 s43, s4
	s_cbranch_execz .LBB25_358
; %bb.357:                              ;   in Loop: Header=BB25_12 Depth=1
	s_clause 0x1
	scratch_load_b32 v3, off, off offset:208
	scratch_load_b32 v6, off, off offset:200
	s_wait_loadcnt 0x1
	v_add_nc_u32_e32 v5, 0x1000, v3
	ds_load_2addr_b32 v[1:2], v3 offset1:32
	s_wait_loadcnt 0x0
	ds_load_2addr_b32 v[3:4], v6 offset0:64 offset1:65
	ds_load_b32 v7, v6 offset:4608
	ds_load_2addr_b32 v[5:6], v5 offset0:64 offset1:96
	scratch_load_b64 v[11:12], off, off offset:180 ; 8-byte Folded Reload
	s_wait_dscnt 0x2
	v_fma_mix_f32 v8, v3, v1, 0 op_sel_hi:[0,1,0]
	v_fma_mix_f32 v1, v3, v1, 0 op_sel:[0,1,0] op_sel_hi:[0,1,0]
	v_fma_mix_f32 v9, v3, v2, 0 op_sel_hi:[0,1,0]
	v_fma_mix_f32 v2, v3, v2, 0 op_sel:[0,1,0] op_sel_hi:[0,1,0]
	s_wait_dscnt 0x0
	v_fma_mix_f32 v3, v7, v5, v8 op_sel_hi:[0,1,0]
	v_fma_mix_f32 v5, v7, v5, v1 op_sel:[0,1,0] op_sel_hi:[0,1,0]
	v_fma_mix_f32 v8, v7, v6, v9 op_sel_hi:[0,1,0]
	v_fma_mix_f32 v9, v7, v6, v2 op_sel:[0,1,0] op_sel_hi:[0,1,0]
	s_delay_alu instid0(VALU_DEP_4) | instskip(NEXT) | instid1(VALU_DEP_4)
	v_div_scale_f32 v2, null, v4, v4, v3
	v_div_scale_f32 v6, null, v4, v4, v5
	s_delay_alu instid0(VALU_DEP_4) | instskip(NEXT) | instid1(VALU_DEP_4)
	v_div_scale_f32 v7, null, v4, v4, v8
	v_div_scale_f32 v10, null, v4, v4, v9
	v_div_scale_f32 v15, vcc_lo, v3, v4, v3
	s_delay_alu instid0(VALU_DEP_3) | instskip(NEXT) | instid1(VALU_DEP_2)
	v_rcp_f32_e32 v13, v7
	v_rcp_f32_e32 v14, v10
	v_div_scale_f32 v16, s4, v5, v4, v5
	v_div_scale_f32 v17, s5, v8, v4, v8
	;; [unrolled: 1-line block ×3, first 2 shown]
	s_delay_alu instid0(TRANS32_DEP_2) | instskip(NEXT) | instid1(TRANS32_DEP_1)
	v_fma_f32 v19, -v7, v13, 1.0
	v_fma_f32 v20, -v10, v14, 1.0
	s_delay_alu instid0(VALU_DEP_1) | instskip(NEXT) | instid1(VALU_DEP_1)
	v_dual_fmac_f32 v14, v20, v14 :: v_dual_fmac_f32 v13, v19, v13
	v_mul_f32_e32 v22, v21, v14
	s_delay_alu instid0(VALU_DEP_1) | instskip(NEXT) | instid1(VALU_DEP_1)
	v_fma_f32 v26, -v10, v22, v21
	v_fmac_f32_e32 v22, v26, v14
	s_delay_alu instid0(VALU_DEP_1) | instskip(SKIP_4) | instid1(VALU_DEP_1)
	v_fma_f32 v10, -v10, v22, v21
	s_wait_loadcnt 0x0
	v_mad_co_u64_u32 v[0:1], null, v0, s25, v[11:12]
	v_rcp_f32_e32 v11, v2
	v_rcp_f32_e32 v12, v6
	v_lshl_add_u32 v0, v0, 6, v72
	s_delay_alu instid0(TRANS32_DEP_2) | instskip(NEXT) | instid1(TRANS32_DEP_1)
	v_fma_f32 v1, -v2, v11, 1.0
	v_fma_f32 v18, -v6, v12, 1.0
	s_delay_alu instid0(VALU_DEP_1) | instskip(NEXT) | instid1(VALU_DEP_4)
	v_dual_fmac_f32 v11, v1, v11 :: v_dual_fmac_f32 v12, v18, v12
	v_ashrrev_i32_e32 v1, 31, v0
	s_delay_alu instid0(VALU_DEP_2) | instskip(NEXT) | instid1(VALU_DEP_2)
	v_dual_mul_f32 v18, v15, v11 :: v_dual_mul_f32 v19, v16, v12
	v_lshlrev_b64_e32 v[0:1], 3, v[0:1]
	s_delay_alu instid0(VALU_DEP_2) | instskip(NEXT) | instid1(VALU_DEP_3)
	v_fma_f32 v23, -v2, v18, v15
	v_fma_f32 v24, -v6, v19, v16
	v_mul_f32_e32 v20, v17, v13
	s_delay_alu instid0(VALU_DEP_2) | instskip(NEXT) | instid1(VALU_DEP_2)
	v_dual_fmac_f32 v18, v23, v11 :: v_dual_fmac_f32 v19, v24, v12
	v_fma_f32 v25, -v7, v20, v17
	s_delay_alu instid0(VALU_DEP_2) | instskip(NEXT) | instid1(VALU_DEP_3)
	v_fma_f32 v2, -v2, v18, v15
	v_fma_f32 v6, -v6, v19, v16
	s_delay_alu instid0(VALU_DEP_3) | instskip(SKIP_1) | instid1(VALU_DEP_3)
	v_fmac_f32_e32 v20, v25, v13
	s_wait_alu 0xfffd
	v_div_fmas_f32 v2, v2, v11, v18
	s_mov_b32 vcc_lo, s4
	s_delay_alu instid0(VALU_DEP_2)
	v_fma_f32 v7, -v7, v20, v17
	s_wait_alu 0xfffe
	v_div_fmas_f32 v6, v6, v12, v19
	s_mov_b32 vcc_lo, s5
	v_div_fixup_f32 v2, v2, v4, v3
	s_wait_alu 0xfffe
	v_div_fmas_f32 v7, v7, v13, v20
	s_mov_b32 vcc_lo, s6
	v_div_fixup_f32 v3, v6, v4, v5
	s_wait_alu 0xfffe
	v_div_fmas_f32 v10, v10, v14, v22
	v_add_co_u32 v5, vcc_lo, s72, v0
	s_wait_alu 0xfffd
	v_add_co_ci_u32_e64 v6, null, s73, v1, vcc_lo
	v_mov_b32_e32 v1, 0
	v_div_fixup_f32 v7, v7, v4, v8
	v_div_fixup_f32 v8, v10, v4, v9
	s_clause 0x1
	global_store_b64 v[5:6], v[2:3], off
	global_store_b64 v[5:6], v[7:8], off offset:256
.LBB25_358:                             ;   in Loop: Header=BB25_12 Depth=1
	s_wait_alu 0xfffe
	s_or_b32 exec_lo, exec_lo, s43
	s_mov_b32 s4, -1
	s_mov_b32 s5, exec_lo
	v_cmpx_gt_i32_e32 0x47, v1
; %bb.359:                              ;   in Loop: Header=BB25_12 Depth=1
	v_cmp_eq_u32_e32 vcc_lo, 0, v1
	s_or_not1_b32 s4, vcc_lo, exec_lo
; %bb.360:                              ;   in Loop: Header=BB25_12 Depth=1
	s_wait_alu 0xfffe
	s_or_b32 exec_lo, exec_lo, s5
	s_delay_alu instid0(SALU_CYCLE_1)
	s_and_b32 exec_lo, exec_lo, s4
	s_cbranch_execz .LBB25_10
; %bb.361:                              ;   in Loop: Header=BB25_12 Depth=1
	scratch_load_b32 v0, off, off offset:204 ; 4-byte Folded Reload
	s_wait_loadcnt 0x0
	v_dual_mov_b32 v1, 0x47 :: v_dual_add_nc_u32 v0, s94, v0
	s_delay_alu instid0(VALU_DEP_1)
	v_cmp_gt_i32_e32 vcc_lo, s24, v0
	s_and_b32 s4, vcc_lo, s3
	s_wait_alu 0xfffe
	s_and_saveexec_b32 s43, s4
	s_cbranch_execz .LBB25_363
; %bb.362:                              ;   in Loop: Header=BB25_12 Depth=1
	s_clause 0x1
	scratch_load_b32 v3, off, off offset:224
	scratch_load_b32 v6, off, off offset:220
	s_wait_loadcnt 0x1
	v_add_nc_u32_e32 v5, 0x1000, v3
	ds_load_2addr_b32 v[1:2], v3 offset1:32
	s_wait_loadcnt 0x0
	ds_load_2addr_b32 v[3:4], v6 offset0:64 offset1:65
	ds_load_b32 v7, v6 offset:4608
	ds_load_2addr_b32 v[5:6], v5 offset0:64 offset1:96
	s_wait_dscnt 0x2
	v_fma_mix_f32 v8, v3, v1, 0 op_sel_hi:[0,1,0]
	v_fma_mix_f32 v1, v3, v1, 0 op_sel:[0,1,0] op_sel_hi:[0,1,0]
	v_fma_mix_f32 v9, v3, v2, 0 op_sel_hi:[0,1,0]
	v_fma_mix_f32 v2, v3, v2, 0 op_sel:[0,1,0] op_sel_hi:[0,1,0]
	s_wait_dscnt 0x0
	v_fma_mix_f32 v3, v7, v5, v8 op_sel_hi:[0,1,0]
	v_fma_mix_f32 v5, v7, v5, v1 op_sel:[0,1,0] op_sel_hi:[0,1,0]
	v_fma_mix_f32 v8, v7, v6, v9 op_sel_hi:[0,1,0]
	v_fma_mix_f32 v9, v7, v6, v2 op_sel:[0,1,0] op_sel_hi:[0,1,0]
	v_mad_co_u64_u32 v[0:1], null, v0, s25, v[116:117]
	v_div_scale_f32 v2, null, v4, v4, v3
	v_div_scale_f32 v6, null, v4, v4, v5
	;; [unrolled: 1-line block ×4, first 2 shown]
	s_delay_alu instid0(VALU_DEP_4) | instskip(NEXT) | instid1(VALU_DEP_3)
	v_rcp_f32_e32 v11, v2
	v_rcp_f32_e32 v12, v6
	s_delay_alu instid0(VALU_DEP_2) | instskip(NEXT) | instid1(VALU_DEP_1)
	v_rcp_f32_e32 v13, v7
	v_rcp_f32_e32 v14, v10
	v_div_scale_f32 v15, vcc_lo, v3, v4, v3
	v_div_scale_f32 v16, s4, v5, v4, v5
	v_div_scale_f32 v17, s5, v8, v4, v8
	v_fma_f32 v1, -v2, v11, 1.0
	s_delay_alu instid0(TRANS32_DEP_3) | instskip(NEXT) | instid1(TRANS32_DEP_2)
	v_fma_f32 v18, -v6, v12, 1.0
	v_fma_f32 v19, -v7, v13, 1.0
	s_delay_alu instid0(TRANS32_DEP_1) | instskip(SKIP_1) | instid1(VALU_DEP_4)
	v_fma_f32 v20, -v10, v14, 1.0
	v_div_scale_f32 v21, s6, v9, v4, v9
	v_dual_fmac_f32 v11, v1, v11 :: v_dual_fmac_f32 v12, v18, v12
	s_delay_alu instid0(VALU_DEP_3) | instskip(SKIP_1) | instid1(VALU_DEP_3)
	v_dual_fmac_f32 v14, v20, v14 :: v_dual_fmac_f32 v13, v19, v13
	v_lshl_add_u32 v0, v0, 6, v72
	v_dual_mul_f32 v18, v15, v11 :: v_dual_mul_f32 v19, v16, v12
	s_delay_alu instid0(VALU_DEP_3) | instskip(NEXT) | instid1(VALU_DEP_3)
	v_mul_f32_e32 v22, v21, v14
	v_ashrrev_i32_e32 v1, 31, v0
	s_delay_alu instid0(VALU_DEP_3) | instskip(NEXT) | instid1(VALU_DEP_4)
	v_fma_f32 v23, -v2, v18, v15
	v_fma_f32 v24, -v6, v19, v16
	v_mul_f32_e32 v20, v17, v13
	v_fma_f32 v26, -v10, v22, v21
	v_lshlrev_b64_e32 v[0:1], 3, v[0:1]
	s_delay_alu instid0(VALU_DEP_4) | instskip(NEXT) | instid1(VALU_DEP_4)
	v_dual_fmac_f32 v18, v23, v11 :: v_dual_fmac_f32 v19, v24, v12
	v_fma_f32 v25, -v7, v20, v17
	s_delay_alu instid0(VALU_DEP_4) | instskip(NEXT) | instid1(VALU_DEP_3)
	v_fmac_f32_e32 v22, v26, v14
	v_fma_f32 v2, -v2, v18, v15
	s_delay_alu instid0(VALU_DEP_4) | instskip(NEXT) | instid1(VALU_DEP_4)
	v_fma_f32 v6, -v6, v19, v16
	v_fmac_f32_e32 v20, v25, v13
	s_delay_alu instid0(VALU_DEP_4)
	v_fma_f32 v10, -v10, v22, v21
	s_wait_alu 0xfffd
	v_div_fmas_f32 v2, v2, v11, v18
	s_mov_b32 vcc_lo, s4
	v_fma_f32 v7, -v7, v20, v17
	s_wait_alu 0xfffe
	v_div_fmas_f32 v6, v6, v12, v19
	s_mov_b32 vcc_lo, s5
	v_div_fixup_f32 v2, v2, v4, v3
	s_wait_alu 0xfffe
	v_div_fmas_f32 v7, v7, v13, v20
	s_mov_b32 vcc_lo, s6
	v_div_fixup_f32 v3, v6, v4, v5
	s_wait_alu 0xfffe
	v_div_fmas_f32 v10, v10, v14, v22
	v_add_co_u32 v5, vcc_lo, s72, v0
	s_wait_alu 0xfffd
	v_add_co_ci_u32_e64 v6, null, s73, v1, vcc_lo
	v_mov_b32_e32 v1, 0
	v_div_fixup_f32 v7, v7, v4, v8
	v_div_fixup_f32 v8, v10, v4, v9
	s_clause 0x1
	global_store_b64 v[5:6], v[2:3], off
	global_store_b64 v[5:6], v[7:8], off offset:256
.LBB25_363:                             ;   in Loop: Header=BB25_12 Depth=1
	s_wait_alu 0xfffe
	s_or_b32 exec_lo, exec_lo, s43
	s_mov_b32 s4, -1
	s_mov_b32 s5, exec_lo
	v_cmpx_gt_i32_e32 0x47, v1
; %bb.364:                              ;   in Loop: Header=BB25_12 Depth=1
	v_cmp_eq_u32_e32 vcc_lo, 0, v1
	s_or_not1_b32 s4, vcc_lo, exec_lo
; %bb.365:                              ;   in Loop: Header=BB25_12 Depth=1
	s_wait_alu 0xfffe
	s_or_b32 exec_lo, exec_lo, s5
	s_delay_alu instid0(SALU_CYCLE_1)
	s_and_b32 exec_lo, exec_lo, s4
	s_cbranch_execz .LBB25_10
; %bb.366:                              ;   in Loop: Header=BB25_12 Depth=1
	s_clause 0x1
	scratch_load_b32 v0, off, off offset:228
	scratch_load_b64 v[1:2], off, off offset:212
	s_wait_loadcnt 0x1
	v_add_nc_u32_e32 v0, s94, v0
	s_wait_loadcnt 0x0
	v_or_b32_e32 v1, s34, v1
	s_delay_alu instid0(VALU_DEP_1)
	v_cmp_gt_i32_e64 s4, s96, v1
	v_mov_b32_e32 v1, 0x47
	v_cmp_gt_i32_e32 vcc_lo, s24, v0
	s_and_b32 s4, vcc_lo, s4
	s_wait_alu 0xfffe
	s_and_saveexec_b32 s43, s4
	s_cbranch_execz .LBB25_368
; %bb.367:                              ;   in Loop: Header=BB25_12 Depth=1
	s_clause 0x1
	scratch_load_b32 v3, off, off offset:240
	scratch_load_b32 v6, off, off offset:232
	s_wait_loadcnt 0x1
	v_add_nc_u32_e32 v5, 0x1000, v3
	ds_load_2addr_b32 v[1:2], v3 offset1:32
	s_wait_loadcnt 0x0
	ds_load_2addr_b32 v[3:4], v6 offset0:64 offset1:65
	ds_load_b32 v7, v6 offset:4608
	ds_load_2addr_b32 v[5:6], v5 offset0:64 offset1:96
	scratch_load_b64 v[11:12], off, off offset:212 ; 8-byte Folded Reload
	s_wait_dscnt 0x2
	v_fma_mix_f32 v8, v3, v1, 0 op_sel_hi:[0,1,0]
	v_fma_mix_f32 v1, v3, v1, 0 op_sel:[0,1,0] op_sel_hi:[0,1,0]
	v_fma_mix_f32 v9, v3, v2, 0 op_sel_hi:[0,1,0]
	v_fma_mix_f32 v2, v3, v2, 0 op_sel:[0,1,0] op_sel_hi:[0,1,0]
	s_wait_dscnt 0x0
	v_fma_mix_f32 v3, v7, v5, v8 op_sel_hi:[0,1,0]
	v_fma_mix_f32 v5, v7, v5, v1 op_sel:[0,1,0] op_sel_hi:[0,1,0]
	v_fma_mix_f32 v8, v7, v6, v9 op_sel_hi:[0,1,0]
	v_fma_mix_f32 v9, v7, v6, v2 op_sel:[0,1,0] op_sel_hi:[0,1,0]
	s_delay_alu instid0(VALU_DEP_4) | instskip(NEXT) | instid1(VALU_DEP_4)
	v_div_scale_f32 v2, null, v4, v4, v3
	v_div_scale_f32 v6, null, v4, v4, v5
	s_delay_alu instid0(VALU_DEP_4) | instskip(NEXT) | instid1(VALU_DEP_4)
	v_div_scale_f32 v7, null, v4, v4, v8
	v_div_scale_f32 v10, null, v4, v4, v9
	v_div_scale_f32 v15, vcc_lo, v3, v4, v3
	s_delay_alu instid0(VALU_DEP_3) | instskip(NEXT) | instid1(VALU_DEP_2)
	v_rcp_f32_e32 v13, v7
	v_rcp_f32_e32 v14, v10
	v_div_scale_f32 v16, s4, v5, v4, v5
	v_div_scale_f32 v17, s5, v8, v4, v8
	;; [unrolled: 1-line block ×3, first 2 shown]
	s_delay_alu instid0(TRANS32_DEP_2) | instskip(NEXT) | instid1(TRANS32_DEP_1)
	v_fma_f32 v19, -v7, v13, 1.0
	v_fma_f32 v20, -v10, v14, 1.0
	s_delay_alu instid0(VALU_DEP_1) | instskip(NEXT) | instid1(VALU_DEP_1)
	v_dual_fmac_f32 v14, v20, v14 :: v_dual_fmac_f32 v13, v19, v13
	v_mul_f32_e32 v22, v21, v14
	s_delay_alu instid0(VALU_DEP_1) | instskip(NEXT) | instid1(VALU_DEP_1)
	v_fma_f32 v26, -v10, v22, v21
	v_fmac_f32_e32 v22, v26, v14
	s_delay_alu instid0(VALU_DEP_1) | instskip(SKIP_4) | instid1(VALU_DEP_1)
	v_fma_f32 v10, -v10, v22, v21
	s_wait_loadcnt 0x0
	v_mad_co_u64_u32 v[0:1], null, v0, s25, v[11:12]
	v_rcp_f32_e32 v11, v2
	v_rcp_f32_e32 v12, v6
	v_lshl_add_u32 v0, v0, 6, v72
	s_delay_alu instid0(TRANS32_DEP_2) | instskip(NEXT) | instid1(TRANS32_DEP_1)
	v_fma_f32 v1, -v2, v11, 1.0
	v_fma_f32 v18, -v6, v12, 1.0
	s_delay_alu instid0(VALU_DEP_1) | instskip(NEXT) | instid1(VALU_DEP_4)
	v_dual_fmac_f32 v11, v1, v11 :: v_dual_fmac_f32 v12, v18, v12
	v_ashrrev_i32_e32 v1, 31, v0
	s_delay_alu instid0(VALU_DEP_2) | instskip(NEXT) | instid1(VALU_DEP_2)
	v_dual_mul_f32 v18, v15, v11 :: v_dual_mul_f32 v19, v16, v12
	v_lshlrev_b64_e32 v[0:1], 3, v[0:1]
	s_delay_alu instid0(VALU_DEP_2) | instskip(NEXT) | instid1(VALU_DEP_3)
	v_fma_f32 v23, -v2, v18, v15
	v_fma_f32 v24, -v6, v19, v16
	v_mul_f32_e32 v20, v17, v13
	s_delay_alu instid0(VALU_DEP_2) | instskip(NEXT) | instid1(VALU_DEP_2)
	v_dual_fmac_f32 v18, v23, v11 :: v_dual_fmac_f32 v19, v24, v12
	v_fma_f32 v25, -v7, v20, v17
	s_delay_alu instid0(VALU_DEP_2) | instskip(NEXT) | instid1(VALU_DEP_3)
	v_fma_f32 v2, -v2, v18, v15
	v_fma_f32 v6, -v6, v19, v16
	s_delay_alu instid0(VALU_DEP_3) | instskip(SKIP_1) | instid1(VALU_DEP_3)
	v_fmac_f32_e32 v20, v25, v13
	s_wait_alu 0xfffd
	v_div_fmas_f32 v2, v2, v11, v18
	s_mov_b32 vcc_lo, s4
	s_delay_alu instid0(VALU_DEP_2)
	v_fma_f32 v7, -v7, v20, v17
	s_wait_alu 0xfffe
	v_div_fmas_f32 v6, v6, v12, v19
	s_mov_b32 vcc_lo, s5
	v_div_fixup_f32 v2, v2, v4, v3
	s_wait_alu 0xfffe
	v_div_fmas_f32 v7, v7, v13, v20
	s_mov_b32 vcc_lo, s6
	v_div_fixup_f32 v3, v6, v4, v5
	s_wait_alu 0xfffe
	v_div_fmas_f32 v10, v10, v14, v22
	v_add_co_u32 v5, vcc_lo, s72, v0
	s_wait_alu 0xfffd
	v_add_co_ci_u32_e64 v6, null, s73, v1, vcc_lo
	v_mov_b32_e32 v1, 0
	v_div_fixup_f32 v7, v7, v4, v8
	v_div_fixup_f32 v8, v10, v4, v9
	s_clause 0x1
	global_store_b64 v[5:6], v[2:3], off
	global_store_b64 v[5:6], v[7:8], off offset:256
.LBB25_368:                             ;   in Loop: Header=BB25_12 Depth=1
	s_wait_alu 0xfffe
	s_or_b32 exec_lo, exec_lo, s43
	s_mov_b32 s4, -1
	s_mov_b32 s5, exec_lo
	v_cmpx_gt_i32_e32 0x47, v1
; %bb.369:                              ;   in Loop: Header=BB25_12 Depth=1
	v_cmp_eq_u32_e32 vcc_lo, 0, v1
	s_or_not1_b32 s4, vcc_lo, exec_lo
; %bb.370:                              ;   in Loop: Header=BB25_12 Depth=1
	s_wait_alu 0xfffe
	s_or_b32 exec_lo, exec_lo, s5
	s_delay_alu instid0(SALU_CYCLE_1)
	s_and_b32 exec_lo, exec_lo, s4
	s_cbranch_execz .LBB25_10
; %bb.371:                              ;   in Loop: Header=BB25_12 Depth=1
	scratch_load_b32 v0, off, off offset:236 ; 4-byte Folded Reload
	s_wait_loadcnt 0x0
	v_dual_mov_b32 v1, 0x47 :: v_dual_add_nc_u32 v0, s94, v0
	s_delay_alu instid0(VALU_DEP_1)
	v_cmp_gt_i32_e32 vcc_lo, s24, v0
	s_and_b32 s4, vcc_lo, s3
	s_wait_alu 0xfffe
	s_and_saveexec_b32 s43, s4
	s_cbranch_execz .LBB25_373
; %bb.372:                              ;   in Loop: Header=BB25_12 Depth=1
	s_clause 0x1
	scratch_load_b32 v3, off, off offset:256
	scratch_load_b32 v6, off, off offset:252
	s_wait_loadcnt 0x1
	v_add_nc_u32_e32 v5, 0x1000, v3
	ds_load_2addr_b32 v[1:2], v3 offset1:32
	s_wait_loadcnt 0x0
	ds_load_2addr_b32 v[3:4], v6 offset0:64 offset1:65
	ds_load_b32 v7, v6 offset:4608
	ds_load_2addr_b32 v[5:6], v5 offset0:64 offset1:96
	s_wait_dscnt 0x2
	v_fma_mix_f32 v8, v3, v1, 0 op_sel_hi:[0,1,0]
	v_fma_mix_f32 v1, v3, v1, 0 op_sel:[0,1,0] op_sel_hi:[0,1,0]
	v_fma_mix_f32 v9, v3, v2, 0 op_sel_hi:[0,1,0]
	v_fma_mix_f32 v2, v3, v2, 0 op_sel:[0,1,0] op_sel_hi:[0,1,0]
	s_wait_dscnt 0x0
	v_fma_mix_f32 v3, v7, v5, v8 op_sel_hi:[0,1,0]
	v_fma_mix_f32 v5, v7, v5, v1 op_sel:[0,1,0] op_sel_hi:[0,1,0]
	v_fma_mix_f32 v8, v7, v6, v9 op_sel_hi:[0,1,0]
	v_fma_mix_f32 v9, v7, v6, v2 op_sel:[0,1,0] op_sel_hi:[0,1,0]
	v_mad_co_u64_u32 v[0:1], null, v0, s25, v[116:117]
	v_div_scale_f32 v2, null, v4, v4, v3
	v_div_scale_f32 v6, null, v4, v4, v5
	;; [unrolled: 1-line block ×4, first 2 shown]
	s_delay_alu instid0(VALU_DEP_4) | instskip(NEXT) | instid1(VALU_DEP_3)
	v_rcp_f32_e32 v11, v2
	v_rcp_f32_e32 v12, v6
	s_delay_alu instid0(VALU_DEP_2) | instskip(NEXT) | instid1(VALU_DEP_1)
	v_rcp_f32_e32 v13, v7
	v_rcp_f32_e32 v14, v10
	v_div_scale_f32 v15, vcc_lo, v3, v4, v3
	v_div_scale_f32 v16, s4, v5, v4, v5
	v_div_scale_f32 v17, s5, v8, v4, v8
	v_fma_f32 v1, -v2, v11, 1.0
	s_delay_alu instid0(TRANS32_DEP_3) | instskip(NEXT) | instid1(TRANS32_DEP_2)
	v_fma_f32 v18, -v6, v12, 1.0
	v_fma_f32 v19, -v7, v13, 1.0
	s_delay_alu instid0(TRANS32_DEP_1) | instskip(SKIP_1) | instid1(VALU_DEP_4)
	v_fma_f32 v20, -v10, v14, 1.0
	v_div_scale_f32 v21, s6, v9, v4, v9
	v_dual_fmac_f32 v11, v1, v11 :: v_dual_fmac_f32 v12, v18, v12
	s_delay_alu instid0(VALU_DEP_3) | instskip(SKIP_1) | instid1(VALU_DEP_3)
	v_dual_fmac_f32 v14, v20, v14 :: v_dual_fmac_f32 v13, v19, v13
	v_lshl_add_u32 v0, v0, 6, v72
	v_dual_mul_f32 v18, v15, v11 :: v_dual_mul_f32 v19, v16, v12
	s_delay_alu instid0(VALU_DEP_3) | instskip(NEXT) | instid1(VALU_DEP_3)
	v_mul_f32_e32 v22, v21, v14
	v_ashrrev_i32_e32 v1, 31, v0
	s_delay_alu instid0(VALU_DEP_3) | instskip(NEXT) | instid1(VALU_DEP_4)
	v_fma_f32 v23, -v2, v18, v15
	v_fma_f32 v24, -v6, v19, v16
	v_mul_f32_e32 v20, v17, v13
	v_fma_f32 v26, -v10, v22, v21
	v_lshlrev_b64_e32 v[0:1], 3, v[0:1]
	s_delay_alu instid0(VALU_DEP_4) | instskip(NEXT) | instid1(VALU_DEP_4)
	v_dual_fmac_f32 v18, v23, v11 :: v_dual_fmac_f32 v19, v24, v12
	v_fma_f32 v25, -v7, v20, v17
	s_delay_alu instid0(VALU_DEP_4) | instskip(NEXT) | instid1(VALU_DEP_3)
	v_fmac_f32_e32 v22, v26, v14
	v_fma_f32 v2, -v2, v18, v15
	s_delay_alu instid0(VALU_DEP_4) | instskip(NEXT) | instid1(VALU_DEP_4)
	v_fma_f32 v6, -v6, v19, v16
	v_fmac_f32_e32 v20, v25, v13
	s_delay_alu instid0(VALU_DEP_4)
	v_fma_f32 v10, -v10, v22, v21
	s_wait_alu 0xfffd
	v_div_fmas_f32 v2, v2, v11, v18
	s_mov_b32 vcc_lo, s4
	v_fma_f32 v7, -v7, v20, v17
	s_wait_alu 0xfffe
	v_div_fmas_f32 v6, v6, v12, v19
	s_mov_b32 vcc_lo, s5
	v_div_fixup_f32 v2, v2, v4, v3
	s_wait_alu 0xfffe
	v_div_fmas_f32 v7, v7, v13, v20
	s_mov_b32 vcc_lo, s6
	v_div_fixup_f32 v3, v6, v4, v5
	s_wait_alu 0xfffe
	v_div_fmas_f32 v10, v10, v14, v22
	v_add_co_u32 v5, vcc_lo, s72, v0
	s_wait_alu 0xfffd
	v_add_co_ci_u32_e64 v6, null, s73, v1, vcc_lo
	v_mov_b32_e32 v1, 0
	v_div_fixup_f32 v7, v7, v4, v8
	v_div_fixup_f32 v8, v10, v4, v9
	s_clause 0x1
	global_store_b64 v[5:6], v[2:3], off
	global_store_b64 v[5:6], v[7:8], off offset:256
.LBB25_373:                             ;   in Loop: Header=BB25_12 Depth=1
	s_wait_alu 0xfffe
	s_or_b32 exec_lo, exec_lo, s43
	s_mov_b32 s4, -1
	s_mov_b32 s5, exec_lo
	v_cmpx_gt_i32_e32 0x47, v1
; %bb.374:                              ;   in Loop: Header=BB25_12 Depth=1
	v_cmp_eq_u32_e32 vcc_lo, 0, v1
	s_or_not1_b32 s4, vcc_lo, exec_lo
; %bb.375:                              ;   in Loop: Header=BB25_12 Depth=1
	s_wait_alu 0xfffe
	s_or_b32 exec_lo, exec_lo, s5
	s_delay_alu instid0(SALU_CYCLE_1)
	s_and_b32 exec_lo, exec_lo, s4
	s_cbranch_execz .LBB25_10
; %bb.376:                              ;   in Loop: Header=BB25_12 Depth=1
	s_clause 0x1
	scratch_load_b32 v0, off, off offset:260
	scratch_load_b64 v[1:2], off, off offset:244
	s_wait_loadcnt 0x1
	v_add_nc_u32_e32 v0, s94, v0
	s_wait_loadcnt 0x0
	v_or_b32_e32 v1, s34, v1
	s_delay_alu instid0(VALU_DEP_1)
	v_cmp_gt_i32_e64 s4, s96, v1
	v_mov_b32_e32 v1, 0x47
	v_cmp_gt_i32_e32 vcc_lo, s24, v0
	s_and_b32 s4, vcc_lo, s4
	s_wait_alu 0xfffe
	s_and_saveexec_b32 s43, s4
	s_cbranch_execz .LBB25_378
; %bb.377:                              ;   in Loop: Header=BB25_12 Depth=1
	s_clause 0x1
	scratch_load_b32 v3, off, off offset:272
	scratch_load_b32 v6, off, off offset:264
	s_wait_loadcnt 0x1
	v_add_nc_u32_e32 v5, 0x1000, v3
	ds_load_2addr_b32 v[1:2], v3 offset1:32
	s_wait_loadcnt 0x0
	ds_load_2addr_b32 v[3:4], v6 offset0:64 offset1:65
	ds_load_b32 v7, v6 offset:4608
	ds_load_2addr_b32 v[5:6], v5 offset0:64 offset1:96
	scratch_load_b64 v[11:12], off, off offset:244 ; 8-byte Folded Reload
	s_wait_dscnt 0x2
	v_fma_mix_f32 v8, v3, v1, 0 op_sel_hi:[0,1,0]
	v_fma_mix_f32 v1, v3, v1, 0 op_sel:[0,1,0] op_sel_hi:[0,1,0]
	v_fma_mix_f32 v9, v3, v2, 0 op_sel_hi:[0,1,0]
	v_fma_mix_f32 v2, v3, v2, 0 op_sel:[0,1,0] op_sel_hi:[0,1,0]
	s_wait_dscnt 0x0
	v_fma_mix_f32 v3, v7, v5, v8 op_sel_hi:[0,1,0]
	v_fma_mix_f32 v5, v7, v5, v1 op_sel:[0,1,0] op_sel_hi:[0,1,0]
	v_fma_mix_f32 v8, v7, v6, v9 op_sel_hi:[0,1,0]
	v_fma_mix_f32 v9, v7, v6, v2 op_sel:[0,1,0] op_sel_hi:[0,1,0]
	s_delay_alu instid0(VALU_DEP_4) | instskip(NEXT) | instid1(VALU_DEP_4)
	v_div_scale_f32 v2, null, v4, v4, v3
	v_div_scale_f32 v6, null, v4, v4, v5
	s_delay_alu instid0(VALU_DEP_4) | instskip(NEXT) | instid1(VALU_DEP_4)
	v_div_scale_f32 v7, null, v4, v4, v8
	v_div_scale_f32 v10, null, v4, v4, v9
	v_div_scale_f32 v15, vcc_lo, v3, v4, v3
	s_delay_alu instid0(VALU_DEP_3) | instskip(NEXT) | instid1(VALU_DEP_2)
	v_rcp_f32_e32 v13, v7
	v_rcp_f32_e32 v14, v10
	v_div_scale_f32 v16, s4, v5, v4, v5
	v_div_scale_f32 v17, s5, v8, v4, v8
	;; [unrolled: 1-line block ×3, first 2 shown]
	s_delay_alu instid0(TRANS32_DEP_2) | instskip(NEXT) | instid1(TRANS32_DEP_1)
	v_fma_f32 v19, -v7, v13, 1.0
	v_fma_f32 v20, -v10, v14, 1.0
	s_delay_alu instid0(VALU_DEP_1) | instskip(NEXT) | instid1(VALU_DEP_1)
	v_dual_fmac_f32 v14, v20, v14 :: v_dual_fmac_f32 v13, v19, v13
	v_mul_f32_e32 v22, v21, v14
	s_delay_alu instid0(VALU_DEP_1) | instskip(NEXT) | instid1(VALU_DEP_1)
	v_fma_f32 v26, -v10, v22, v21
	v_fmac_f32_e32 v22, v26, v14
	s_delay_alu instid0(VALU_DEP_1) | instskip(SKIP_4) | instid1(VALU_DEP_1)
	v_fma_f32 v10, -v10, v22, v21
	s_wait_loadcnt 0x0
	v_mad_co_u64_u32 v[0:1], null, v0, s25, v[11:12]
	v_rcp_f32_e32 v11, v2
	v_rcp_f32_e32 v12, v6
	v_lshl_add_u32 v0, v0, 6, v72
	s_delay_alu instid0(TRANS32_DEP_2) | instskip(NEXT) | instid1(TRANS32_DEP_1)
	v_fma_f32 v1, -v2, v11, 1.0
	v_fma_f32 v18, -v6, v12, 1.0
	s_delay_alu instid0(VALU_DEP_1) | instskip(NEXT) | instid1(VALU_DEP_4)
	v_dual_fmac_f32 v11, v1, v11 :: v_dual_fmac_f32 v12, v18, v12
	v_ashrrev_i32_e32 v1, 31, v0
	s_delay_alu instid0(VALU_DEP_2) | instskip(NEXT) | instid1(VALU_DEP_2)
	v_dual_mul_f32 v18, v15, v11 :: v_dual_mul_f32 v19, v16, v12
	v_lshlrev_b64_e32 v[0:1], 3, v[0:1]
	s_delay_alu instid0(VALU_DEP_2) | instskip(NEXT) | instid1(VALU_DEP_3)
	v_fma_f32 v23, -v2, v18, v15
	v_fma_f32 v24, -v6, v19, v16
	v_mul_f32_e32 v20, v17, v13
	s_delay_alu instid0(VALU_DEP_2) | instskip(NEXT) | instid1(VALU_DEP_2)
	v_dual_fmac_f32 v18, v23, v11 :: v_dual_fmac_f32 v19, v24, v12
	v_fma_f32 v25, -v7, v20, v17
	s_delay_alu instid0(VALU_DEP_2) | instskip(NEXT) | instid1(VALU_DEP_3)
	v_fma_f32 v2, -v2, v18, v15
	v_fma_f32 v6, -v6, v19, v16
	s_delay_alu instid0(VALU_DEP_3) | instskip(SKIP_1) | instid1(VALU_DEP_3)
	v_fmac_f32_e32 v20, v25, v13
	s_wait_alu 0xfffd
	v_div_fmas_f32 v2, v2, v11, v18
	s_mov_b32 vcc_lo, s4
	s_delay_alu instid0(VALU_DEP_2)
	v_fma_f32 v7, -v7, v20, v17
	s_wait_alu 0xfffe
	v_div_fmas_f32 v6, v6, v12, v19
	s_mov_b32 vcc_lo, s5
	v_div_fixup_f32 v2, v2, v4, v3
	s_wait_alu 0xfffe
	v_div_fmas_f32 v7, v7, v13, v20
	s_mov_b32 vcc_lo, s6
	v_div_fixup_f32 v3, v6, v4, v5
	s_wait_alu 0xfffe
	v_div_fmas_f32 v10, v10, v14, v22
	v_add_co_u32 v5, vcc_lo, s72, v0
	s_wait_alu 0xfffd
	v_add_co_ci_u32_e64 v6, null, s73, v1, vcc_lo
	v_mov_b32_e32 v1, 0
	v_div_fixup_f32 v7, v7, v4, v8
	v_div_fixup_f32 v8, v10, v4, v9
	s_clause 0x1
	global_store_b64 v[5:6], v[2:3], off
	global_store_b64 v[5:6], v[7:8], off offset:256
.LBB25_378:                             ;   in Loop: Header=BB25_12 Depth=1
	s_wait_alu 0xfffe
	s_or_b32 exec_lo, exec_lo, s43
	s_mov_b32 s4, -1
	s_mov_b32 s5, exec_lo
	v_cmpx_gt_i32_e32 0x47, v1
; %bb.379:                              ;   in Loop: Header=BB25_12 Depth=1
	v_cmp_eq_u32_e32 vcc_lo, 0, v1
	s_or_not1_b32 s4, vcc_lo, exec_lo
; %bb.380:                              ;   in Loop: Header=BB25_12 Depth=1
	s_wait_alu 0xfffe
	s_or_b32 exec_lo, exec_lo, s5
	s_delay_alu instid0(SALU_CYCLE_1)
	s_and_b32 exec_lo, exec_lo, s4
	s_cbranch_execz .LBB25_10
; %bb.381:                              ;   in Loop: Header=BB25_12 Depth=1
	scratch_load_b32 v0, off, off offset:268 ; 4-byte Folded Reload
	s_wait_loadcnt 0x0
	v_dual_mov_b32 v1, 0x47 :: v_dual_add_nc_u32 v0, s94, v0
	s_delay_alu instid0(VALU_DEP_1)
	v_cmp_gt_i32_e32 vcc_lo, s24, v0
	s_and_b32 s4, vcc_lo, s3
	s_wait_alu 0xfffe
	s_and_saveexec_b32 s43, s4
	s_cbranch_execz .LBB25_383
; %bb.382:                              ;   in Loop: Header=BB25_12 Depth=1
	s_clause 0x1
	scratch_load_b32 v3, off, off offset:288
	scratch_load_b32 v6, off, off offset:284
	s_wait_loadcnt 0x1
	v_add_nc_u32_e32 v5, 0x1000, v3
	ds_load_2addr_b32 v[1:2], v3 offset1:32
	s_wait_loadcnt 0x0
	ds_load_2addr_b32 v[3:4], v6 offset0:64 offset1:65
	ds_load_b32 v7, v6 offset:4608
	ds_load_2addr_b32 v[5:6], v5 offset0:64 offset1:96
	s_wait_dscnt 0x2
	v_fma_mix_f32 v8, v3, v1, 0 op_sel_hi:[0,1,0]
	v_fma_mix_f32 v1, v3, v1, 0 op_sel:[0,1,0] op_sel_hi:[0,1,0]
	v_fma_mix_f32 v9, v3, v2, 0 op_sel_hi:[0,1,0]
	v_fma_mix_f32 v2, v3, v2, 0 op_sel:[0,1,0] op_sel_hi:[0,1,0]
	s_wait_dscnt 0x0
	v_fma_mix_f32 v3, v7, v5, v8 op_sel_hi:[0,1,0]
	v_fma_mix_f32 v5, v7, v5, v1 op_sel:[0,1,0] op_sel_hi:[0,1,0]
	v_fma_mix_f32 v8, v7, v6, v9 op_sel_hi:[0,1,0]
	v_fma_mix_f32 v9, v7, v6, v2 op_sel:[0,1,0] op_sel_hi:[0,1,0]
	v_mad_co_u64_u32 v[0:1], null, v0, s25, v[116:117]
	v_div_scale_f32 v2, null, v4, v4, v3
	v_div_scale_f32 v6, null, v4, v4, v5
	;; [unrolled: 1-line block ×4, first 2 shown]
	s_delay_alu instid0(VALU_DEP_4) | instskip(NEXT) | instid1(VALU_DEP_3)
	v_rcp_f32_e32 v11, v2
	v_rcp_f32_e32 v12, v6
	s_delay_alu instid0(VALU_DEP_2) | instskip(NEXT) | instid1(VALU_DEP_1)
	v_rcp_f32_e32 v13, v7
	v_rcp_f32_e32 v14, v10
	v_div_scale_f32 v15, vcc_lo, v3, v4, v3
	v_div_scale_f32 v16, s4, v5, v4, v5
	v_div_scale_f32 v17, s5, v8, v4, v8
	v_fma_f32 v1, -v2, v11, 1.0
	s_delay_alu instid0(TRANS32_DEP_3) | instskip(NEXT) | instid1(TRANS32_DEP_2)
	v_fma_f32 v18, -v6, v12, 1.0
	v_fma_f32 v19, -v7, v13, 1.0
	s_delay_alu instid0(TRANS32_DEP_1) | instskip(SKIP_1) | instid1(VALU_DEP_4)
	v_fma_f32 v20, -v10, v14, 1.0
	v_div_scale_f32 v21, s6, v9, v4, v9
	v_dual_fmac_f32 v11, v1, v11 :: v_dual_fmac_f32 v12, v18, v12
	s_delay_alu instid0(VALU_DEP_3) | instskip(SKIP_1) | instid1(VALU_DEP_3)
	v_dual_fmac_f32 v14, v20, v14 :: v_dual_fmac_f32 v13, v19, v13
	v_lshl_add_u32 v0, v0, 6, v72
	v_dual_mul_f32 v18, v15, v11 :: v_dual_mul_f32 v19, v16, v12
	s_delay_alu instid0(VALU_DEP_3) | instskip(NEXT) | instid1(VALU_DEP_3)
	v_mul_f32_e32 v22, v21, v14
	v_ashrrev_i32_e32 v1, 31, v0
	s_delay_alu instid0(VALU_DEP_3) | instskip(NEXT) | instid1(VALU_DEP_4)
	v_fma_f32 v23, -v2, v18, v15
	v_fma_f32 v24, -v6, v19, v16
	v_mul_f32_e32 v20, v17, v13
	v_fma_f32 v26, -v10, v22, v21
	v_lshlrev_b64_e32 v[0:1], 3, v[0:1]
	s_delay_alu instid0(VALU_DEP_4) | instskip(NEXT) | instid1(VALU_DEP_4)
	v_dual_fmac_f32 v18, v23, v11 :: v_dual_fmac_f32 v19, v24, v12
	v_fma_f32 v25, -v7, v20, v17
	s_delay_alu instid0(VALU_DEP_4) | instskip(NEXT) | instid1(VALU_DEP_3)
	v_fmac_f32_e32 v22, v26, v14
	v_fma_f32 v2, -v2, v18, v15
	s_delay_alu instid0(VALU_DEP_4) | instskip(NEXT) | instid1(VALU_DEP_4)
	v_fma_f32 v6, -v6, v19, v16
	v_fmac_f32_e32 v20, v25, v13
	s_delay_alu instid0(VALU_DEP_4)
	v_fma_f32 v10, -v10, v22, v21
	s_wait_alu 0xfffd
	v_div_fmas_f32 v2, v2, v11, v18
	s_mov_b32 vcc_lo, s4
	v_fma_f32 v7, -v7, v20, v17
	s_wait_alu 0xfffe
	v_div_fmas_f32 v6, v6, v12, v19
	s_mov_b32 vcc_lo, s5
	v_div_fixup_f32 v2, v2, v4, v3
	s_wait_alu 0xfffe
	v_div_fmas_f32 v7, v7, v13, v20
	s_mov_b32 vcc_lo, s6
	v_div_fixup_f32 v3, v6, v4, v5
	s_wait_alu 0xfffe
	v_div_fmas_f32 v10, v10, v14, v22
	v_add_co_u32 v5, vcc_lo, s72, v0
	s_wait_alu 0xfffd
	v_add_co_ci_u32_e64 v6, null, s73, v1, vcc_lo
	v_mov_b32_e32 v1, 0
	v_div_fixup_f32 v7, v7, v4, v8
	v_div_fixup_f32 v8, v10, v4, v9
	s_clause 0x1
	global_store_b64 v[5:6], v[2:3], off
	global_store_b64 v[5:6], v[7:8], off offset:256
.LBB25_383:                             ;   in Loop: Header=BB25_12 Depth=1
	s_wait_alu 0xfffe
	s_or_b32 exec_lo, exec_lo, s43
	s_mov_b32 s4, -1
	s_mov_b32 s5, exec_lo
	v_cmpx_gt_i32_e32 0x47, v1
; %bb.384:                              ;   in Loop: Header=BB25_12 Depth=1
	v_cmp_eq_u32_e32 vcc_lo, 0, v1
	s_or_not1_b32 s4, vcc_lo, exec_lo
; %bb.385:                              ;   in Loop: Header=BB25_12 Depth=1
	s_wait_alu 0xfffe
	s_or_b32 exec_lo, exec_lo, s5
	s_delay_alu instid0(SALU_CYCLE_1)
	s_and_b32 exec_lo, exec_lo, s4
	s_cbranch_execz .LBB25_10
; %bb.386:                              ;   in Loop: Header=BB25_12 Depth=1
	s_clause 0x1
	scratch_load_b32 v0, off, off offset:292
	scratch_load_b64 v[1:2], off, off offset:276
	s_wait_loadcnt 0x1
	v_add_nc_u32_e32 v0, s94, v0
	s_wait_loadcnt 0x0
	v_or_b32_e32 v1, s34, v1
	s_delay_alu instid0(VALU_DEP_1)
	v_cmp_gt_i32_e64 s4, s96, v1
	v_mov_b32_e32 v1, 0x47
	v_cmp_gt_i32_e32 vcc_lo, s24, v0
	s_and_b32 s4, vcc_lo, s4
	s_wait_alu 0xfffe
	s_and_saveexec_b32 s43, s4
	s_cbranch_execz .LBB25_388
; %bb.387:                              ;   in Loop: Header=BB25_12 Depth=1
	s_clause 0x1
	scratch_load_b32 v3, off, off offset:304
	scratch_load_b32 v6, off, off offset:296
	s_wait_loadcnt 0x1
	v_add_nc_u32_e32 v5, 0x1000, v3
	ds_load_2addr_b32 v[1:2], v3 offset1:32
	s_wait_loadcnt 0x0
	ds_load_2addr_b32 v[3:4], v6 offset0:64 offset1:65
	ds_load_b32 v7, v6 offset:4608
	ds_load_2addr_b32 v[5:6], v5 offset0:64 offset1:96
	scratch_load_b64 v[11:12], off, off offset:276 ; 8-byte Folded Reload
	s_wait_dscnt 0x2
	v_fma_mix_f32 v8, v3, v1, 0 op_sel_hi:[0,1,0]
	v_fma_mix_f32 v1, v3, v1, 0 op_sel:[0,1,0] op_sel_hi:[0,1,0]
	v_fma_mix_f32 v9, v3, v2, 0 op_sel_hi:[0,1,0]
	v_fma_mix_f32 v2, v3, v2, 0 op_sel:[0,1,0] op_sel_hi:[0,1,0]
	s_wait_dscnt 0x0
	v_fma_mix_f32 v3, v7, v5, v8 op_sel_hi:[0,1,0]
	v_fma_mix_f32 v5, v7, v5, v1 op_sel:[0,1,0] op_sel_hi:[0,1,0]
	v_fma_mix_f32 v8, v7, v6, v9 op_sel_hi:[0,1,0]
	v_fma_mix_f32 v9, v7, v6, v2 op_sel:[0,1,0] op_sel_hi:[0,1,0]
	s_delay_alu instid0(VALU_DEP_4) | instskip(NEXT) | instid1(VALU_DEP_4)
	v_div_scale_f32 v2, null, v4, v4, v3
	v_div_scale_f32 v6, null, v4, v4, v5
	s_delay_alu instid0(VALU_DEP_4) | instskip(NEXT) | instid1(VALU_DEP_4)
	v_div_scale_f32 v7, null, v4, v4, v8
	v_div_scale_f32 v10, null, v4, v4, v9
	v_div_scale_f32 v15, vcc_lo, v3, v4, v3
	s_delay_alu instid0(VALU_DEP_3) | instskip(NEXT) | instid1(VALU_DEP_2)
	v_rcp_f32_e32 v13, v7
	v_rcp_f32_e32 v14, v10
	v_div_scale_f32 v16, s4, v5, v4, v5
	v_div_scale_f32 v17, s5, v8, v4, v8
	;; [unrolled: 1-line block ×3, first 2 shown]
	s_delay_alu instid0(TRANS32_DEP_2) | instskip(NEXT) | instid1(TRANS32_DEP_1)
	v_fma_f32 v19, -v7, v13, 1.0
	v_fma_f32 v20, -v10, v14, 1.0
	s_delay_alu instid0(VALU_DEP_1) | instskip(NEXT) | instid1(VALU_DEP_1)
	v_dual_fmac_f32 v14, v20, v14 :: v_dual_fmac_f32 v13, v19, v13
	v_mul_f32_e32 v22, v21, v14
	s_delay_alu instid0(VALU_DEP_1) | instskip(NEXT) | instid1(VALU_DEP_1)
	v_fma_f32 v26, -v10, v22, v21
	v_fmac_f32_e32 v22, v26, v14
	s_delay_alu instid0(VALU_DEP_1) | instskip(SKIP_4) | instid1(VALU_DEP_1)
	v_fma_f32 v10, -v10, v22, v21
	s_wait_loadcnt 0x0
	v_mad_co_u64_u32 v[0:1], null, v0, s25, v[11:12]
	v_rcp_f32_e32 v11, v2
	v_rcp_f32_e32 v12, v6
	v_lshl_add_u32 v0, v0, 6, v72
	s_delay_alu instid0(TRANS32_DEP_2) | instskip(NEXT) | instid1(TRANS32_DEP_1)
	v_fma_f32 v1, -v2, v11, 1.0
	v_fma_f32 v18, -v6, v12, 1.0
	s_delay_alu instid0(VALU_DEP_1) | instskip(NEXT) | instid1(VALU_DEP_4)
	v_dual_fmac_f32 v11, v1, v11 :: v_dual_fmac_f32 v12, v18, v12
	v_ashrrev_i32_e32 v1, 31, v0
	s_delay_alu instid0(VALU_DEP_2) | instskip(NEXT) | instid1(VALU_DEP_2)
	v_dual_mul_f32 v18, v15, v11 :: v_dual_mul_f32 v19, v16, v12
	v_lshlrev_b64_e32 v[0:1], 3, v[0:1]
	s_delay_alu instid0(VALU_DEP_2) | instskip(NEXT) | instid1(VALU_DEP_3)
	v_fma_f32 v23, -v2, v18, v15
	v_fma_f32 v24, -v6, v19, v16
	v_mul_f32_e32 v20, v17, v13
	s_delay_alu instid0(VALU_DEP_2) | instskip(NEXT) | instid1(VALU_DEP_2)
	v_dual_fmac_f32 v18, v23, v11 :: v_dual_fmac_f32 v19, v24, v12
	v_fma_f32 v25, -v7, v20, v17
	s_delay_alu instid0(VALU_DEP_2) | instskip(NEXT) | instid1(VALU_DEP_3)
	v_fma_f32 v2, -v2, v18, v15
	v_fma_f32 v6, -v6, v19, v16
	s_delay_alu instid0(VALU_DEP_3) | instskip(SKIP_1) | instid1(VALU_DEP_3)
	v_fmac_f32_e32 v20, v25, v13
	s_wait_alu 0xfffd
	v_div_fmas_f32 v2, v2, v11, v18
	s_mov_b32 vcc_lo, s4
	s_delay_alu instid0(VALU_DEP_2)
	v_fma_f32 v7, -v7, v20, v17
	s_wait_alu 0xfffe
	v_div_fmas_f32 v6, v6, v12, v19
	s_mov_b32 vcc_lo, s5
	v_div_fixup_f32 v2, v2, v4, v3
	s_wait_alu 0xfffe
	v_div_fmas_f32 v7, v7, v13, v20
	s_mov_b32 vcc_lo, s6
	v_div_fixup_f32 v3, v6, v4, v5
	s_wait_alu 0xfffe
	v_div_fmas_f32 v10, v10, v14, v22
	v_add_co_u32 v5, vcc_lo, s72, v0
	s_wait_alu 0xfffd
	v_add_co_ci_u32_e64 v6, null, s73, v1, vcc_lo
	v_mov_b32_e32 v1, 0
	v_div_fixup_f32 v7, v7, v4, v8
	v_div_fixup_f32 v8, v10, v4, v9
	s_clause 0x1
	global_store_b64 v[5:6], v[2:3], off
	global_store_b64 v[5:6], v[7:8], off offset:256
.LBB25_388:                             ;   in Loop: Header=BB25_12 Depth=1
	s_wait_alu 0xfffe
	s_or_b32 exec_lo, exec_lo, s43
	s_mov_b32 s4, -1
	s_mov_b32 s5, exec_lo
	v_cmpx_gt_i32_e32 0x47, v1
; %bb.389:                              ;   in Loop: Header=BB25_12 Depth=1
	v_cmp_eq_u32_e32 vcc_lo, 0, v1
	s_or_not1_b32 s4, vcc_lo, exec_lo
; %bb.390:                              ;   in Loop: Header=BB25_12 Depth=1
	s_wait_alu 0xfffe
	s_or_b32 exec_lo, exec_lo, s5
	s_delay_alu instid0(SALU_CYCLE_1)
	s_and_b32 exec_lo, exec_lo, s4
	s_cbranch_execz .LBB25_10
; %bb.391:                              ;   in Loop: Header=BB25_12 Depth=1
	scratch_load_b32 v0, off, off offset:300 ; 4-byte Folded Reload
	s_wait_loadcnt 0x0
	v_dual_mov_b32 v1, 0x47 :: v_dual_add_nc_u32 v0, s94, v0
	s_delay_alu instid0(VALU_DEP_1)
	v_cmp_gt_i32_e32 vcc_lo, s24, v0
	s_and_b32 s3, vcc_lo, s3
	s_wait_alu 0xfffe
	s_and_saveexec_b32 s6, s3
	s_cbranch_execz .LBB25_393
; %bb.392:                              ;   in Loop: Header=BB25_12 Depth=1
	s_clause 0x1
	scratch_load_b32 v3, off, off offset:320
	scratch_load_b32 v6, off, off offset:316
	s_wait_loadcnt 0x1
	v_add_nc_u32_e32 v5, 0x1000, v3
	ds_load_2addr_b32 v[1:2], v3 offset1:32
	s_wait_loadcnt 0x0
	ds_load_2addr_b32 v[3:4], v6 offset0:64 offset1:65
	ds_load_b32 v7, v6 offset:4608
	ds_load_2addr_b32 v[5:6], v5 offset0:64 offset1:96
	s_wait_dscnt 0x2
	v_fma_mix_f32 v8, v3, v1, 0 op_sel_hi:[0,1,0]
	v_fma_mix_f32 v1, v3, v1, 0 op_sel:[0,1,0] op_sel_hi:[0,1,0]
	v_fma_mix_f32 v9, v3, v2, 0 op_sel_hi:[0,1,0]
	v_fma_mix_f32 v2, v3, v2, 0 op_sel:[0,1,0] op_sel_hi:[0,1,0]
	s_wait_dscnt 0x0
	v_fma_mix_f32 v3, v7, v5, v8 op_sel_hi:[0,1,0]
	v_fma_mix_f32 v5, v7, v5, v1 op_sel:[0,1,0] op_sel_hi:[0,1,0]
	v_fma_mix_f32 v8, v7, v6, v9 op_sel_hi:[0,1,0]
	v_fma_mix_f32 v9, v7, v6, v2 op_sel:[0,1,0] op_sel_hi:[0,1,0]
	v_mad_co_u64_u32 v[0:1], null, v0, s25, v[116:117]
	v_div_scale_f32 v2, null, v4, v4, v3
	v_div_scale_f32 v6, null, v4, v4, v5
	;; [unrolled: 1-line block ×4, first 2 shown]
	s_delay_alu instid0(VALU_DEP_4) | instskip(NEXT) | instid1(VALU_DEP_3)
	v_rcp_f32_e32 v11, v2
	v_rcp_f32_e32 v12, v6
	s_delay_alu instid0(VALU_DEP_2) | instskip(NEXT) | instid1(VALU_DEP_1)
	v_rcp_f32_e32 v13, v7
	v_rcp_f32_e32 v14, v10
	v_div_scale_f32 v15, vcc_lo, v3, v4, v3
	v_div_scale_f32 v16, s3, v5, v4, v5
	v_div_scale_f32 v17, s4, v8, v4, v8
	v_fma_f32 v1, -v2, v11, 1.0
	s_delay_alu instid0(TRANS32_DEP_3) | instskip(NEXT) | instid1(TRANS32_DEP_2)
	v_fma_f32 v18, -v6, v12, 1.0
	v_fma_f32 v19, -v7, v13, 1.0
	s_delay_alu instid0(TRANS32_DEP_1) | instskip(SKIP_1) | instid1(VALU_DEP_4)
	v_fma_f32 v20, -v10, v14, 1.0
	v_div_scale_f32 v21, s5, v9, v4, v9
	v_dual_fmac_f32 v11, v1, v11 :: v_dual_fmac_f32 v12, v18, v12
	s_delay_alu instid0(VALU_DEP_3) | instskip(SKIP_1) | instid1(VALU_DEP_3)
	v_dual_fmac_f32 v14, v20, v14 :: v_dual_fmac_f32 v13, v19, v13
	v_lshl_add_u32 v0, v0, 6, v72
	v_dual_mul_f32 v18, v15, v11 :: v_dual_mul_f32 v19, v16, v12
	s_delay_alu instid0(VALU_DEP_3) | instskip(NEXT) | instid1(VALU_DEP_3)
	v_mul_f32_e32 v22, v21, v14
	v_ashrrev_i32_e32 v1, 31, v0
	s_delay_alu instid0(VALU_DEP_3) | instskip(NEXT) | instid1(VALU_DEP_4)
	v_fma_f32 v23, -v2, v18, v15
	v_fma_f32 v24, -v6, v19, v16
	v_mul_f32_e32 v20, v17, v13
	v_fma_f32 v26, -v10, v22, v21
	v_lshlrev_b64_e32 v[0:1], 3, v[0:1]
	s_delay_alu instid0(VALU_DEP_4) | instskip(NEXT) | instid1(VALU_DEP_4)
	v_dual_fmac_f32 v18, v23, v11 :: v_dual_fmac_f32 v19, v24, v12
	v_fma_f32 v25, -v7, v20, v17
	s_delay_alu instid0(VALU_DEP_4) | instskip(NEXT) | instid1(VALU_DEP_3)
	v_fmac_f32_e32 v22, v26, v14
	v_fma_f32 v2, -v2, v18, v15
	s_delay_alu instid0(VALU_DEP_4) | instskip(NEXT) | instid1(VALU_DEP_4)
	v_fma_f32 v6, -v6, v19, v16
	v_fmac_f32_e32 v20, v25, v13
	s_delay_alu instid0(VALU_DEP_4)
	v_fma_f32 v10, -v10, v22, v21
	s_wait_alu 0xfffd
	v_div_fmas_f32 v2, v2, v11, v18
	s_mov_b32 vcc_lo, s3
	v_fma_f32 v7, -v7, v20, v17
	s_wait_alu 0xfffe
	v_div_fmas_f32 v6, v6, v12, v19
	s_mov_b32 vcc_lo, s4
	v_div_fixup_f32 v2, v2, v4, v3
	s_wait_alu 0xfffe
	v_div_fmas_f32 v7, v7, v13, v20
	s_mov_b32 vcc_lo, s5
	v_div_fixup_f32 v3, v6, v4, v5
	s_wait_alu 0xfffe
	v_div_fmas_f32 v10, v10, v14, v22
	v_add_co_u32 v5, vcc_lo, s72, v0
	s_wait_alu 0xfffd
	v_add_co_ci_u32_e64 v6, null, s73, v1, vcc_lo
	v_mov_b32_e32 v1, 0
	v_div_fixup_f32 v7, v7, v4, v8
	v_div_fixup_f32 v8, v10, v4, v9
	s_clause 0x1
	global_store_b64 v[5:6], v[2:3], off
	global_store_b64 v[5:6], v[7:8], off offset:256
.LBB25_393:                             ;   in Loop: Header=BB25_12 Depth=1
	s_wait_alu 0xfffe
	s_or_b32 exec_lo, exec_lo, s6
	s_mov_b32 s3, -1
	s_mov_b32 s4, exec_lo
	v_cmpx_gt_i32_e32 0x47, v1
; %bb.394:                              ;   in Loop: Header=BB25_12 Depth=1
	v_cmp_eq_u32_e32 vcc_lo, 0, v1
	s_or_not1_b32 s3, vcc_lo, exec_lo
; %bb.395:                              ;   in Loop: Header=BB25_12 Depth=1
	s_wait_alu 0xfffe
	s_or_b32 exec_lo, exec_lo, s4
	s_delay_alu instid0(SALU_CYCLE_1)
	s_and_b32 exec_lo, exec_lo, s3
	s_cbranch_execz .LBB25_10
; %bb.396:                              ;   in Loop: Header=BB25_12 Depth=1
	s_clause 0x1
	scratch_load_b32 v0, off, off offset:324
	scratch_load_b64 v[1:2], off, off offset:308
	s_wait_loadcnt 0x1
	v_add_nc_u32_e32 v0, s94, v0
	s_wait_loadcnt 0x0
	v_or_b32_e32 v1, s34, v1
	s_delay_alu instid0(VALU_DEP_2) | instskip(NEXT) | instid1(VALU_DEP_2)
	v_cmp_gt_i32_e32 vcc_lo, s24, v0
	v_cmp_gt_i32_e64 s3, s96, v1
	s_and_b32 s3, vcc_lo, s3
	s_wait_alu 0xfffe
	s_and_b32 exec_lo, exec_lo, s3
	s_cbranch_execz .LBB25_10
; %bb.397:                              ;   in Loop: Header=BB25_12 Depth=1
	s_clause 0x1
	scratch_load_b32 v3, off, off offset:332
	scratch_load_b32 v6, off, off offset:328
	s_wait_loadcnt 0x1
	v_add_nc_u32_e32 v5, 0x1000, v3
	ds_load_2addr_b32 v[1:2], v3 offset1:32
	s_wait_loadcnt 0x0
	ds_load_2addr_b32 v[3:4], v6 offset0:64 offset1:65
	ds_load_b32 v7, v6 offset:4608
	ds_load_2addr_b32 v[5:6], v5 offset0:64 offset1:96
	scratch_load_b64 v[11:12], off, off offset:308 ; 8-byte Folded Reload
	s_wait_dscnt 0x2
	v_fma_mix_f32 v8, v3, v1, 0 op_sel_hi:[0,1,0]
	v_fma_mix_f32 v1, v3, v1, 0 op_sel:[0,1,0] op_sel_hi:[0,1,0]
	v_fma_mix_f32 v9, v3, v2, 0 op_sel_hi:[0,1,0]
	v_fma_mix_f32 v2, v3, v2, 0 op_sel:[0,1,0] op_sel_hi:[0,1,0]
	s_wait_dscnt 0x0
	v_fma_mix_f32 v3, v7, v5, v8 op_sel_hi:[0,1,0]
	v_fma_mix_f32 v5, v7, v5, v1 op_sel:[0,1,0] op_sel_hi:[0,1,0]
	v_fma_mix_f32 v8, v7, v6, v9 op_sel_hi:[0,1,0]
	v_fma_mix_f32 v6, v7, v6, v2 op_sel:[0,1,0] op_sel_hi:[0,1,0]
	s_delay_alu instid0(VALU_DEP_4) | instskip(NEXT) | instid1(VALU_DEP_4)
	v_div_scale_f32 v2, null, v4, v4, v3
	v_div_scale_f32 v7, null, v4, v4, v5
	s_delay_alu instid0(VALU_DEP_4) | instskip(NEXT) | instid1(VALU_DEP_4)
	v_div_scale_f32 v9, null, v4, v4, v8
	v_div_scale_f32 v10, null, v4, v4, v6
	v_div_scale_f32 v15, vcc_lo, v3, v4, v3
	s_delay_alu instid0(VALU_DEP_3) | instskip(NEXT) | instid1(VALU_DEP_2)
	v_rcp_f32_e32 v13, v9
	v_rcp_f32_e32 v14, v10
	v_div_scale_f32 v16, s3, v5, v4, v5
	v_div_scale_f32 v17, s4, v8, v4, v8
	v_div_scale_f32 v21, s5, v6, v4, v6
	s_delay_alu instid0(TRANS32_DEP_2) | instskip(NEXT) | instid1(TRANS32_DEP_1)
	v_fma_f32 v19, -v9, v13, 1.0
	v_fma_f32 v20, -v10, v14, 1.0
	s_delay_alu instid0(VALU_DEP_1) | instskip(NEXT) | instid1(VALU_DEP_1)
	v_dual_fmac_f32 v14, v20, v14 :: v_dual_fmac_f32 v13, v19, v13
	v_mul_f32_e32 v22, v21, v14
	s_delay_alu instid0(VALU_DEP_1) | instskip(NEXT) | instid1(VALU_DEP_1)
	v_fma_f32 v26, -v10, v22, v21
	v_fmac_f32_e32 v22, v26, v14
	s_delay_alu instid0(VALU_DEP_1) | instskip(SKIP_4) | instid1(VALU_DEP_1)
	v_fma_f32 v10, -v10, v22, v21
	s_wait_loadcnt 0x0
	v_mad_co_u64_u32 v[0:1], null, v0, s25, v[11:12]
	v_rcp_f32_e32 v11, v2
	v_rcp_f32_e32 v12, v7
	v_lshl_add_u32 v0, v0, 6, v72
	s_delay_alu instid0(TRANS32_DEP_2) | instskip(NEXT) | instid1(TRANS32_DEP_1)
	v_fma_f32 v1, -v2, v11, 1.0
	v_fma_f32 v18, -v7, v12, 1.0
	s_delay_alu instid0(VALU_DEP_1) | instskip(NEXT) | instid1(VALU_DEP_4)
	v_dual_fmac_f32 v11, v1, v11 :: v_dual_fmac_f32 v12, v18, v12
	v_ashrrev_i32_e32 v1, 31, v0
	s_delay_alu instid0(VALU_DEP_2) | instskip(NEXT) | instid1(VALU_DEP_2)
	v_dual_mul_f32 v18, v15, v11 :: v_dual_mul_f32 v19, v16, v12
	v_lshlrev_b64_e32 v[0:1], 3, v[0:1]
	s_delay_alu instid0(VALU_DEP_2) | instskip(NEXT) | instid1(VALU_DEP_3)
	v_fma_f32 v23, -v2, v18, v15
	v_fma_f32 v24, -v7, v19, v16
	v_mul_f32_e32 v20, v17, v13
	s_delay_alu instid0(VALU_DEP_2) | instskip(NEXT) | instid1(VALU_DEP_2)
	v_dual_fmac_f32 v18, v23, v11 :: v_dual_fmac_f32 v19, v24, v12
	v_fma_f32 v25, -v9, v20, v17
	s_delay_alu instid0(VALU_DEP_2) | instskip(NEXT) | instid1(VALU_DEP_3)
	v_fma_f32 v2, -v2, v18, v15
	v_fma_f32 v7, -v7, v19, v16
	s_delay_alu instid0(VALU_DEP_3) | instskip(SKIP_1) | instid1(VALU_DEP_3)
	v_fmac_f32_e32 v20, v25, v13
	s_wait_alu 0xfffd
	v_div_fmas_f32 v2, v2, v11, v18
	s_mov_b32 vcc_lo, s3
	s_delay_alu instid0(VALU_DEP_2)
	v_fma_f32 v9, -v9, v20, v17
	s_wait_alu 0xfffe
	v_div_fmas_f32 v7, v7, v12, v19
	s_mov_b32 vcc_lo, s4
	v_div_fixup_f32 v2, v2, v4, v3
	s_wait_alu 0xfffe
	v_div_fmas_f32 v9, v9, v13, v20
	s_mov_b32 vcc_lo, s5
	v_div_fixup_f32 v3, v7, v4, v5
	s_wait_alu 0xfffe
	v_div_fmas_f32 v10, v10, v14, v22
	v_add_co_u32 v0, vcc_lo, s72, v0
	s_wait_alu 0xfffd
	v_add_co_ci_u32_e64 v1, null, s73, v1, vcc_lo
	v_div_fixup_f32 v5, v9, v4, v8
	v_div_fixup_f32 v6, v10, v4, v6
	s_clause 0x1
	global_store_b64 v[0:1], v[2:3], off
	global_store_b64 v[0:1], v[5:6], off offset:256
	s_branch .LBB25_10
.LBB25_398:
	scratch_load_b32 v110, off, off offset:144 ; 4-byte Folded Reload
	v_readlane_b32 s0, v255, 5
	v_readlane_b32 s45, v255, 12
	;; [unrolled: 1-line block ×4, first 2 shown]
	v_lshlrev_b32_e32 v226, 3, v121
	v_add_nc_u32_e32 v70, 14, v121
	v_add_nc_u32_e32 v71, 12, v121
	;; [unrolled: 1-line block ×7, first 2 shown]
	s_mov_b32 s34, s0
	v_readlane_b32 s1, v255, 6
	v_readlane_b32 s59, v255, 9
	s_and_not1_b32 vcc_lo, exec_lo, s3
	s_wait_alu 0xfffe
	s_cbranch_vccnz .LBB25_8
.LBB25_399:
	s_abs_i32 s0, s100
	s_abs_i32 s3, s48
	s_wait_alu 0xfffe
	s_cvt_f32_u32 s1, s0
	s_sub_co_i32 s2, 0, s0
	s_wait_alu 0xfffe
	s_delay_alu instid0(SALU_CYCLE_1) | instskip(NEXT) | instid1(TRANS32_DEP_1)
	v_rcp_iflag_f32_e32 v0, s1
	v_readfirstlane_b32 s1, v0
	s_mul_f32 s1, s1, 0x4f7ffffe
	s_wait_alu 0xfffe
	s_delay_alu instid0(SALU_CYCLE_2) | instskip(SKIP_1) | instid1(SALU_CYCLE_2)
	s_cvt_u32_f32 s1, s1
	s_wait_alu 0xfffe
	s_mul_i32 s2, s2, s1
	s_wait_alu 0xfffe
	s_mul_hi_u32 s2, s1, s2
	s_wait_alu 0xfffe
	s_add_co_i32 s1, s1, s2
	s_xor_b32 s2, s48, s100
	s_wait_alu 0xfffe
	s_mul_hi_u32 s1, s3, s1
	s_ashr_i32 s2, s2, 31
	s_wait_alu 0xfffe
	s_mul_i32 s4, s1, s0
	s_wait_alu 0xfffe
	s_sub_co_i32 s3, s3, s4
	s_add_co_i32 s4, s1, 1
	s_wait_alu 0xfffe
	s_sub_co_i32 s5, s3, s0
	s_cmp_ge_u32 s3, s0
	s_cselect_b32 s1, s4, s1
	s_wait_alu 0xfffe
	s_cselect_b32 s3, s5, s3
	s_add_co_i32 s4, s1, 1
	s_wait_alu 0xfffe
	s_cmp_ge_u32 s3, s0
	s_cselect_b32 s0, s4, s1
	s_abs_i32 s1, s99
	s_wait_alu 0xfffe
	s_xor_b32 s0, s0, s2
	s_cvt_f32_u32 s3, s1
	s_wait_alu 0xfffe
	s_sub_co_i32 s2, s0, s2
	s_sub_co_i32 s0, 0, s1
	s_wait_alu 0xfffe
	s_mul_i32 s4, s2, s100
	v_rcp_iflag_f32_e32 v0, s3
	s_wait_alu 0xfffe
	s_sub_co_i32 s4, s48, s4
	s_wait_alu 0xfffe
	s_abs_i32 s5, s4
	s_delay_alu instid0(TRANS32_DEP_1) | instskip(SKIP_2) | instid1(SALU_CYCLE_2)
	v_readfirstlane_b32 s3, v0
	s_mul_f32 s3, s3, 0x4f7ffffe
	s_wait_alu 0xfffe
	s_cvt_u32_f32 s3, s3
	s_wait_alu 0xfffe
	s_delay_alu instid0(SALU_CYCLE_2)
	s_mul_i32 s0, s0, s3
	s_wait_alu 0xfffe
	s_mul_hi_u32 s0, s3, s0
	s_wait_alu 0xfffe
	s_add_co_i32 s3, s3, s0
	s_wait_alu 0xfffe
	s_mul_hi_u32 s0, s5, s3
	s_xor_b32 s3, s4, s99
	s_wait_alu 0xfffe
	s_mul_i32 s6, s0, s1
	s_ashr_i32 s3, s3, 31
	s_wait_alu 0xfffe
	s_sub_co_i32 s5, s5, s6
	s_add_co_i32 s6, s0, 1
	s_wait_alu 0xfffe
	s_sub_co_i32 s16, s5, s1
	s_cmp_ge_u32 s5, s1
	s_cselect_b32 s0, s6, s0
	s_cselect_b32 s5, s16, s5
	s_wait_alu 0xfffe
	s_add_co_i32 s6, s0, 1
	s_cmp_ge_u32 s5, s1
	s_wait_alu 0xfffe
	s_cselect_b32 s0, s6, s0
	s_abs_i32 s1, s98
	s_wait_alu 0xfffe
	s_xor_b32 s0, s0, s3
	s_cvt_f32_u32 s5, s1
	s_wait_alu 0xfffe
	s_sub_co_i32 s20, s0, s3
	s_sub_co_i32 s0, 0, s1
	s_mul_i32 s3, s20, s99
	v_rcp_iflag_f32_e32 v0, s5
	s_wait_alu 0xfffe
	s_sub_co_i32 s3, s4, s3
	s_wait_alu 0xfffe
	s_abs_i32 s4, s3
	s_delay_alu instid0(TRANS32_DEP_1) | instskip(SKIP_2) | instid1(SALU_CYCLE_2)
	v_readfirstlane_b32 s5, v0
	s_mul_f32 s5, s5, 0x4f7ffffe
	s_wait_alu 0xfffe
	s_cvt_u32_f32 s5, s5
	s_wait_alu 0xfffe
	s_delay_alu instid0(SALU_CYCLE_2)
	s_mul_i32 s0, s0, s5
	s_wait_alu 0xfffe
	s_mul_hi_u32 s0, s5, s0
	s_wait_alu 0xfffe
	s_add_co_i32 s5, s5, s0
	s_wait_alu 0xfffe
	s_mul_hi_u32 s0, s4, s5
	s_xor_b32 s5, s3, s98
	s_wait_alu 0xfffe
	s_mul_i32 s6, s0, s1
	s_ashr_i32 s5, s5, 31
	s_wait_alu 0xfffe
	s_sub_co_i32 s4, s4, s6
	s_add_co_i32 s6, s0, 1
	s_wait_alu 0xfffe
	s_sub_co_i32 s16, s4, s1
	s_cmp_ge_u32 s4, s1
	s_cselect_b32 s0, s6, s0
	s_cselect_b32 s4, s16, s4
	s_wait_alu 0xfffe
	s_add_co_i32 s6, s0, 1
	s_cmp_ge_u32 s4, s1
	s_wait_alu 0xfffe
	s_cselect_b32 s0, s6, s0
	s_wait_alu 0xfffe
	s_xor_b32 s0, s0, s5
	s_wait_alu 0xfffe
	s_sub_co_i32 s0, s0, s5
	s_mov_b32 s5, 0
	s_wait_alu 0xfffe
	s_mul_i32 s1, s0, s98
	s_wait_alu 0xfffe
	s_sub_co_i32 s1, s3, s1
	s_wait_alu 0xfffe
	s_abs_i32 s4, s1
	s_ashr_i32 s1, s1, 31
	s_wait_alu 0xfffe
	s_mul_u64 s[16:17], s[4:5], s[52:53]
	s_xor_b32 s1, s1, s102
	s_mul_i32 s3, s17, s55
	s_wait_alu 0xfffe
	s_sub_co_i32 s3, s4, s3
	s_add_co_i32 s4, s17, 1
	s_wait_alu 0xfffe
	s_sub_co_i32 s6, s3, s55
	s_cmp_ge_u32 s3, s55
	s_cselect_b32 s4, s4, s17
	s_wait_alu 0xfffe
	s_cselect_b32 s3, s6, s3
	s_add_co_i32 s6, s4, 1
	s_wait_alu 0xfffe
	s_cmp_ge_u32 s3, s55
	s_cselect_b32 s3, s6, s4
	s_abs_i32 s6, s58
	s_wait_alu 0xfffe
	s_xor_b32 s3, s3, s1
	s_cvt_f32_u32 s4, s6
	s_wait_alu 0xfffe
	s_sub_co_i32 s1, s3, s1
	s_cmp_eq_u64 s[18:19], 0
	v_rcp_iflag_f32_e32 v0, s4
	s_delay_alu instid0(TRANS32_DEP_1)
	v_readfirstlane_b32 s4, v0
	v_mov_b32_e32 v0, s44
	s_cbranch_scc1 .LBB25_401
; %bb.400:
	v_readlane_b32 s3, v255, 0
	v_mov_b32_e32 v0, 0
	s_mul_i32 s3, s2, s3
	s_wait_alu 0xfffe
	s_add_co_i32 s16, s1, s3
	s_delay_alu instid0(SALU_CYCLE_1) | instskip(NEXT) | instid1(SALU_CYCLE_1)
	s_ashr_i32 s17, s16, 31
	s_lshl_b64 s[16:17], s[16:17], 2
	s_delay_alu instid0(SALU_CYCLE_1) | instskip(SKIP_3) | instid1(VALU_DEP_1)
	s_add_nc_u64 s[16:17], s[18:19], s[16:17]
	global_load_b32 v0, v0, s[16:17]
	s_wait_loadcnt 0x0
	v_ashrrev_i32_e32 v1, 31, v0
	v_lshrrev_b32_e32 v1, 27, v1
	s_delay_alu instid0(VALU_DEP_1) | instskip(NEXT) | instid1(VALU_DEP_1)
	v_add_nc_u32_e32 v0, v0, v1
	v_ashrrev_i32_e32 v0, 5, v0
	s_delay_alu instid0(VALU_DEP_1)
	v_min_i32_e32 v0, s44, v0
.LBB25_401:
	s_wait_loadcnt 0x0
	v_bfe_u32 v113, v110, 1, 9
	s_lshl_b32 s16, s0, 1
	s_wait_alu 0xfffe
	s_lshl_b32 s18, s1, 3
	v_or_b32_e32 v3, s16, v123
	s_mul_i32 s0, s2, s47
	v_add_nc_u32_e32 v2, s18, v113
	s_wait_alu 0xfffe
	s_ashr_i32 s1, s0, 31
	s_mul_i32 s3, s20, s96
	s_wait_alu 0xfffe
	s_add_nc_u64 s[8:9], s[8:9], s[0:1]
	v_cmp_le_i32_e64 s1, s96, v3
	v_cmp_le_i32_e64 s0, s24, v2
	s_add_co_i32 s3, s16, s3
	v_lshl_add_u32 v1, v72, 2, 0
	s_wait_alu 0xfffe
	s_mul_i32 s16, s3, s46
	s_and_b32 s3, 0xffff, s27
	s_wait_alu 0xfffe
	s_ashr_i32 s17, s16, 31
	s_or_b32 s0, s0, s1
	v_cmp_gt_i32_e32 vcc_lo, s96, v3
	s_wait_alu 0xfffe
	s_and_saveexec_b32 s1, s0
	s_wait_alu 0xfffe
	s_xor_b32 s0, exec_lo, s1
; %bb.402:
	v_mad_u32_u24 v2, 0x110, v121, v1
	v_mov_b32_e32 v3, 0
	ds_store_2addr_b32 v2, v3, v3 offset1:32
                                        ; implicit-def: $vgpr2
; %bb.403:
	s_wait_alu 0xfffe
	s_or_saveexec_b32 s1, s0
	s_add_nc_u64 s[8:9], s[8:9], s[16:17]
	s_mul_i32 s16, s3, 0x10001
	s_wait_alu 0xfffe
	s_xor_b32 exec_lo, exec_lo, s1
	s_cbranch_execz .LBB25_405
; %bb.404:
	v_mul_lo_u32 v2, v2, s35
	v_mul_lo_u32 v3, v123, s45
	v_mul_u32_u24_e32 v6, 0x110, v121
	v_lshlrev_b32_e32 v7, 2, v72
	s_delay_alu instid0(VALU_DEP_3) | instskip(NEXT) | instid1(VALU_DEP_1)
	v_add3_u32 v2, v2, v3, v72
	v_ashrrev_i32_e32 v3, 31, v2
	s_delay_alu instid0(VALU_DEP_1) | instskip(NEXT) | instid1(VALU_DEP_1)
	v_lshlrev_b64_e32 v[2:3], 3, v[2:3]
	v_add_co_u32 v2, s0, s8, v2
	s_wait_alu 0xf1ff
	s_delay_alu instid0(VALU_DEP_2)
	v_add_co_ci_u32_e64 v3, null, s9, v3, s0
	s_clause 0x1
	global_load_b64 v[4:5], v[2:3], off
	global_load_b64 v[2:3], v[2:3], off offset:256
	s_wait_loadcnt 0x1
	v_cvt_f16_f32_e32 v4, v4
	v_cvt_f16_f32_e32 v5, v5
	s_wait_loadcnt 0x0
	v_cvt_f16_f32_e32 v2, v2
	v_cvt_f16_f32_e32 v3, v3
	s_delay_alu instid0(VALU_DEP_3) | instskip(NEXT) | instid1(VALU_DEP_2)
	v_pack_b32_f16 v4, v4, v5
	v_pack_b32_f16 v2, v2, v3
	v_add3_u32 v3, 0, v6, v7
	s_delay_alu instid0(VALU_DEP_3) | instskip(NEXT) | instid1(VALU_DEP_3)
	v_pk_mul_f16 v4, v4, s16
	v_pk_mul_f16 v2, v2, s16
	ds_store_2addr_b32 v3, v4, v2 offset1:32
.LBB25_405:
	s_or_b32 exec_lo, exec_lo, s1
	v_lshrrev_b32_e32 v2, 1, v109
	s_xor_b32 s3, vcc_lo, -1
	s_delay_alu instid0(VALU_DEP_1) | instskip(NEXT) | instid1(VALU_DEP_1)
	v_add_nc_u32_e32 v2, s18, v2
	v_cmp_le_i32_e64 s0, s24, v2
	s_wait_alu 0xfffe
	s_or_b32 s0, s0, s3
	s_wait_alu 0xfffe
	s_and_saveexec_b32 s1, s0
	s_wait_alu 0xfffe
	s_xor_b32 s0, exec_lo, s1
; %bb.406:
	v_mad_u32_u24 v2, 0x110, v109, v1
	v_mov_b32_e32 v3, 0
                                        ; implicit-def: $vgpr109
	ds_store_2addr_b32 v2, v3, v3 offset1:32
                                        ; implicit-def: $vgpr2
; %bb.407:
	s_wait_alu 0xfffe
	s_and_not1_saveexec_b32 s0, s0
	s_cbranch_execz .LBB25_409
; %bb.408:
	v_mul_lo_u32 v2, v2, s35
	v_mul_lo_u32 v3, v123, s45
	v_mul_u32_u24_e32 v6, 0x110, v109
	v_lshlrev_b32_e32 v7, 2, v72
	s_delay_alu instid0(VALU_DEP_3) | instskip(NEXT) | instid1(VALU_DEP_1)
	v_add3_u32 v2, v2, v3, v72
	v_ashrrev_i32_e32 v3, 31, v2
	s_delay_alu instid0(VALU_DEP_1) | instskip(NEXT) | instid1(VALU_DEP_1)
	v_lshlrev_b64_e32 v[2:3], 3, v[2:3]
	v_add_co_u32 v2, vcc_lo, s8, v2
	s_wait_alu 0xfffd
	s_delay_alu instid0(VALU_DEP_2)
	v_add_co_ci_u32_e64 v3, null, s9, v3, vcc_lo
	s_clause 0x1
	global_load_b64 v[4:5], v[2:3], off
	global_load_b64 v[2:3], v[2:3], off offset:256
	s_wait_loadcnt 0x1
	v_cvt_f16_f32_e32 v4, v4
	v_cvt_f16_f32_e32 v5, v5
	s_wait_loadcnt 0x0
	v_cvt_f16_f32_e32 v2, v2
	v_cvt_f16_f32_e32 v3, v3
	s_delay_alu instid0(VALU_DEP_3) | instskip(NEXT) | instid1(VALU_DEP_2)
	v_pack_b32_f16 v4, v4, v5
	v_pack_b32_f16 v2, v2, v3
	v_add3_u32 v3, 0, v6, v7
	s_delay_alu instid0(VALU_DEP_3) | instskip(NEXT) | instid1(VALU_DEP_3)
	v_pk_mul_f16 v4, v4, s16
	v_pk_mul_f16 v2, v2, s16
	ds_store_2addr_b32 v3, v4, v2 offset1:32
.LBB25_409:
	s_wait_alu 0xfffe
	s_or_b32 exec_lo, exec_lo, s0
	v_lshrrev_b32_e32 v2, 1, v108
	s_delay_alu instid0(VALU_DEP_1) | instskip(NEXT) | instid1(VALU_DEP_1)
	v_add_nc_u32_e32 v2, s18, v2
	v_cmp_le_i32_e32 vcc_lo, s24, v2
	s_or_b32 s0, vcc_lo, s3
	s_wait_alu 0xfffe
	s_and_saveexec_b32 s1, s0
	s_wait_alu 0xfffe
	s_xor_b32 s0, exec_lo, s1
; %bb.410:
	v_mad_u32_u24 v2, 0x110, v108, v1
	v_mov_b32_e32 v3, 0
                                        ; implicit-def: $vgpr108
	ds_store_2addr_b32 v2, v3, v3 offset1:32
                                        ; implicit-def: $vgpr2
; %bb.411:
	s_wait_alu 0xfffe
	s_and_not1_saveexec_b32 s0, s0
	s_cbranch_execz .LBB25_413
; %bb.412:
	v_mul_lo_u32 v2, v2, s35
	v_mul_lo_u32 v3, v123, s45
	v_mul_u32_u24_e32 v6, 0x110, v108
	v_lshlrev_b32_e32 v7, 2, v72
	s_delay_alu instid0(VALU_DEP_3) | instskip(NEXT) | instid1(VALU_DEP_1)
	v_add3_u32 v2, v2, v3, v72
	v_ashrrev_i32_e32 v3, 31, v2
	s_delay_alu instid0(VALU_DEP_1) | instskip(NEXT) | instid1(VALU_DEP_1)
	v_lshlrev_b64_e32 v[2:3], 3, v[2:3]
	v_add_co_u32 v2, vcc_lo, s8, v2
	s_wait_alu 0xfffd
	s_delay_alu instid0(VALU_DEP_2)
	v_add_co_ci_u32_e64 v3, null, s9, v3, vcc_lo
	s_clause 0x1
	global_load_b64 v[4:5], v[2:3], off
	global_load_b64 v[2:3], v[2:3], off offset:256
	s_wait_loadcnt 0x1
	v_cvt_f16_f32_e32 v4, v4
	v_cvt_f16_f32_e32 v5, v5
	s_wait_loadcnt 0x0
	v_cvt_f16_f32_e32 v2, v2
	v_cvt_f16_f32_e32 v3, v3
	s_delay_alu instid0(VALU_DEP_3) | instskip(NEXT) | instid1(VALU_DEP_2)
	v_pack_b32_f16 v4, v4, v5
	v_pack_b32_f16 v2, v2, v3
	v_add3_u32 v3, 0, v6, v7
	s_delay_alu instid0(VALU_DEP_3) | instskip(NEXT) | instid1(VALU_DEP_3)
	v_pk_mul_f16 v4, v4, s16
	v_pk_mul_f16 v2, v2, s16
	ds_store_2addr_b32 v3, v4, v2 offset1:32
.LBB25_413:
	s_wait_alu 0xfffe
	s_or_b32 exec_lo, exec_lo, s0
	v_lshrrev_b32_e32 v2, 1, v107
	s_delay_alu instid0(VALU_DEP_1) | instskip(NEXT) | instid1(VALU_DEP_1)
	v_add_nc_u32_e32 v2, s18, v2
	v_cmp_le_i32_e32 vcc_lo, s24, v2
	s_or_b32 s0, vcc_lo, s3
	s_wait_alu 0xfffe
	s_and_saveexec_b32 s1, s0
	s_wait_alu 0xfffe
	s_xor_b32 s0, exec_lo, s1
; %bb.414:
	v_mad_u32_u24 v2, 0x110, v107, v1
	v_mov_b32_e32 v3, 0
                                        ; implicit-def: $vgpr107
	ds_store_2addr_b32 v2, v3, v3 offset1:32
                                        ; implicit-def: $vgpr2
; %bb.415:
	s_wait_alu 0xfffe
	s_and_not1_saveexec_b32 s0, s0
	s_cbranch_execz .LBB25_417
; %bb.416:
	v_mul_lo_u32 v2, v2, s35
	v_mul_lo_u32 v3, v123, s45
	v_mul_u32_u24_e32 v6, 0x110, v107
	v_lshlrev_b32_e32 v7, 2, v72
	s_delay_alu instid0(VALU_DEP_3) | instskip(NEXT) | instid1(VALU_DEP_1)
	v_add3_u32 v2, v2, v3, v72
	v_ashrrev_i32_e32 v3, 31, v2
	s_delay_alu instid0(VALU_DEP_1) | instskip(NEXT) | instid1(VALU_DEP_1)
	v_lshlrev_b64_e32 v[2:3], 3, v[2:3]
	v_add_co_u32 v2, vcc_lo, s8, v2
	s_wait_alu 0xfffd
	s_delay_alu instid0(VALU_DEP_2)
	v_add_co_ci_u32_e64 v3, null, s9, v3, vcc_lo
	s_clause 0x1
	global_load_b64 v[4:5], v[2:3], off
	global_load_b64 v[2:3], v[2:3], off offset:256
	s_wait_loadcnt 0x1
	v_cvt_f16_f32_e32 v4, v4
	v_cvt_f16_f32_e32 v5, v5
	s_wait_loadcnt 0x0
	v_cvt_f16_f32_e32 v2, v2
	v_cvt_f16_f32_e32 v3, v3
	s_delay_alu instid0(VALU_DEP_3) | instskip(NEXT) | instid1(VALU_DEP_2)
	v_pack_b32_f16 v4, v4, v5
	v_pack_b32_f16 v2, v2, v3
	v_add3_u32 v3, 0, v6, v7
	s_delay_alu instid0(VALU_DEP_3) | instskip(NEXT) | instid1(VALU_DEP_3)
	v_pk_mul_f16 v4, v4, s16
	v_pk_mul_f16 v2, v2, s16
	ds_store_2addr_b32 v3, v4, v2 offset1:32
.LBB25_417:
	s_wait_alu 0xfffe
	s_or_b32 exec_lo, exec_lo, s0
	v_lshrrev_b32_e32 v2, 1, v74
	s_delay_alu instid0(VALU_DEP_1) | instskip(NEXT) | instid1(VALU_DEP_1)
	v_add_nc_u32_e32 v2, s18, v2
	v_cmp_le_i32_e32 vcc_lo, s24, v2
	s_or_b32 s0, vcc_lo, s3
	s_wait_alu 0xfffe
	s_and_saveexec_b32 s1, s0
	s_wait_alu 0xfffe
	s_xor_b32 s0, exec_lo, s1
; %bb.418:
	v_mad_u32_u24 v2, 0x110, v74, v1
	v_mov_b32_e32 v3, 0
                                        ; implicit-def: $vgpr74
	ds_store_2addr_b32 v2, v3, v3 offset1:32
                                        ; implicit-def: $vgpr2
; %bb.419:
	s_wait_alu 0xfffe
	s_or_saveexec_b32 s1, s0
	s_mul_f32 s0, s4, 0x4f7ffffe
	s_wait_alu 0xfffe
	s_xor_b32 exec_lo, exec_lo, s1
	s_cbranch_execz .LBB25_421
; %bb.420:
	v_mul_lo_u32 v2, v2, s35
	v_mul_lo_u32 v3, v123, s45
	v_mul_u32_u24_e32 v6, 0x110, v74
	v_lshlrev_b32_e32 v7, 2, v72
	s_delay_alu instid0(VALU_DEP_3) | instskip(NEXT) | instid1(VALU_DEP_1)
	v_add3_u32 v2, v2, v3, v72
	v_ashrrev_i32_e32 v3, 31, v2
	s_delay_alu instid0(VALU_DEP_1) | instskip(NEXT) | instid1(VALU_DEP_1)
	v_lshlrev_b64_e32 v[2:3], 3, v[2:3]
	v_add_co_u32 v2, vcc_lo, s8, v2
	s_wait_alu 0xfffd
	s_delay_alu instid0(VALU_DEP_2)
	v_add_co_ci_u32_e64 v3, null, s9, v3, vcc_lo
	s_clause 0x1
	global_load_b64 v[4:5], v[2:3], off
	global_load_b64 v[2:3], v[2:3], off offset:256
	s_wait_loadcnt 0x1
	v_cvt_f16_f32_e32 v4, v4
	v_cvt_f16_f32_e32 v5, v5
	s_wait_loadcnt 0x0
	v_cvt_f16_f32_e32 v2, v2
	v_cvt_f16_f32_e32 v3, v3
	s_delay_alu instid0(VALU_DEP_3) | instskip(NEXT) | instid1(VALU_DEP_2)
	v_pack_b32_f16 v4, v4, v5
	v_pack_b32_f16 v2, v2, v3
	v_add3_u32 v3, 0, v6, v7
	s_delay_alu instid0(VALU_DEP_3) | instskip(NEXT) | instid1(VALU_DEP_3)
	v_pk_mul_f16 v4, v4, s16
	v_pk_mul_f16 v2, v2, s16
	ds_store_2addr_b32 v3, v4, v2 offset1:32
.LBB25_421:
	s_or_b32 exec_lo, exec_lo, s1
	v_lshrrev_b32_e32 v2, 1, v73
	s_cvt_u32_f32 s0, s0
	s_sub_co_i32 s4, 0, s6
	s_delay_alu instid0(VALU_DEP_1) | instskip(NEXT) | instid1(VALU_DEP_1)
	v_add_nc_u32_e32 v2, s18, v2
	v_cmp_le_i32_e32 vcc_lo, s24, v2
	s_or_b32 s1, vcc_lo, s3
	s_wait_alu 0xfffe
	s_and_saveexec_b32 s17, s1
	s_wait_alu 0xfffe
	s_xor_b32 s1, exec_lo, s17
; %bb.422:
	v_mad_u32_u24 v2, 0x110, v73, v1
	v_mov_b32_e32 v3, 0
                                        ; implicit-def: $vgpr73
	ds_store_2addr_b32 v2, v3, v3 offset1:32
                                        ; implicit-def: $vgpr2
; %bb.423:
	s_wait_alu 0xfffe
	s_or_saveexec_b32 s1, s1
	s_mul_i32 s4, s4, s0
	s_wait_alu 0xfffe
	s_xor_b32 exec_lo, exec_lo, s1
	s_cbranch_execz .LBB25_425
; %bb.424:
	v_mul_lo_u32 v2, v2, s35
	v_mul_lo_u32 v3, v123, s45
	v_mul_u32_u24_e32 v6, 0x110, v73
	v_lshlrev_b32_e32 v7, 2, v72
	s_delay_alu instid0(VALU_DEP_3) | instskip(NEXT) | instid1(VALU_DEP_1)
	v_add3_u32 v2, v2, v3, v72
	v_ashrrev_i32_e32 v3, 31, v2
	s_delay_alu instid0(VALU_DEP_1) | instskip(NEXT) | instid1(VALU_DEP_1)
	v_lshlrev_b64_e32 v[2:3], 3, v[2:3]
	v_add_co_u32 v2, vcc_lo, s8, v2
	s_wait_alu 0xfffd
	s_delay_alu instid0(VALU_DEP_2)
	v_add_co_ci_u32_e64 v3, null, s9, v3, vcc_lo
	s_clause 0x1
	global_load_b64 v[4:5], v[2:3], off
	global_load_b64 v[2:3], v[2:3], off offset:256
	s_wait_loadcnt 0x1
	v_cvt_f16_f32_e32 v4, v4
	v_cvt_f16_f32_e32 v5, v5
	s_wait_loadcnt 0x0
	v_cvt_f16_f32_e32 v2, v2
	v_cvt_f16_f32_e32 v3, v3
	s_delay_alu instid0(VALU_DEP_3) | instskip(NEXT) | instid1(VALU_DEP_2)
	v_pack_b32_f16 v4, v4, v5
	v_pack_b32_f16 v2, v2, v3
	v_add3_u32 v3, 0, v6, v7
	s_delay_alu instid0(VALU_DEP_3) | instskip(NEXT) | instid1(VALU_DEP_3)
	v_pk_mul_f16 v4, v4, s16
	v_pk_mul_f16 v2, v2, s16
	ds_store_2addr_b32 v3, v4, v2 offset1:32
.LBB25_425:
	s_or_b32 exec_lo, exec_lo, s1
	v_lshrrev_b32_e32 v2, 1, v71
	s_mul_hi_u32 s17, s0, s4
	s_delay_alu instid0(VALU_DEP_1) | instskip(NEXT) | instid1(VALU_DEP_1)
	v_add_nc_u32_e32 v2, s18, v2
	v_cmp_le_i32_e32 vcc_lo, s24, v2
	s_or_b32 s1, vcc_lo, s3
	s_wait_alu 0xfffe
	s_and_saveexec_b32 s4, s1
	s_wait_alu 0xfffe
	s_xor_b32 s1, exec_lo, s4
; %bb.426:
	v_mad_u32_u24 v2, 0x110, v71, v1
	v_mov_b32_e32 v3, 0
                                        ; implicit-def: $vgpr71
	ds_store_2addr_b32 v2, v3, v3 offset1:32
                                        ; implicit-def: $vgpr2
; %bb.427:
	s_wait_alu 0xfffe
	s_or_saveexec_b32 s1, s1
	s_abs_i32 s4, s2
	s_add_co_i32 s0, s0, s17
	s_wait_alu 0xfffe
	s_xor_b32 exec_lo, exec_lo, s1
	s_cbranch_execz .LBB25_429
; %bb.428:
	v_mul_lo_u32 v2, v2, s35
	v_mul_lo_u32 v3, v123, s45
	v_mul_u32_u24_e32 v6, 0x110, v71
	v_lshlrev_b32_e32 v7, 2, v72
	s_delay_alu instid0(VALU_DEP_3) | instskip(NEXT) | instid1(VALU_DEP_1)
	v_add3_u32 v2, v2, v3, v72
	v_ashrrev_i32_e32 v3, 31, v2
	s_delay_alu instid0(VALU_DEP_1) | instskip(NEXT) | instid1(VALU_DEP_1)
	v_lshlrev_b64_e32 v[2:3], 3, v[2:3]
	v_add_co_u32 v2, vcc_lo, s8, v2
	s_wait_alu 0xfffd
	s_delay_alu instid0(VALU_DEP_2)
	v_add_co_ci_u32_e64 v3, null, s9, v3, vcc_lo
	s_clause 0x1
	global_load_b64 v[4:5], v[2:3], off
	global_load_b64 v[2:3], v[2:3], off offset:256
	s_wait_loadcnt 0x1
	v_cvt_f16_f32_e32 v4, v4
	v_cvt_f16_f32_e32 v5, v5
	s_wait_loadcnt 0x0
	v_cvt_f16_f32_e32 v2, v2
	v_cvt_f16_f32_e32 v3, v3
	s_delay_alu instid0(VALU_DEP_3) | instskip(NEXT) | instid1(VALU_DEP_2)
	v_pack_b32_f16 v4, v4, v5
	v_pack_b32_f16 v2, v2, v3
	v_add3_u32 v3, 0, v6, v7
	s_delay_alu instid0(VALU_DEP_3) | instskip(NEXT) | instid1(VALU_DEP_3)
	v_pk_mul_f16 v4, v4, s16
	v_pk_mul_f16 v2, v2, s16
	ds_store_2addr_b32 v3, v4, v2 offset1:32
.LBB25_429:
	s_or_b32 exec_lo, exec_lo, s1
	v_lshrrev_b32_e32 v2, 1, v70
	s_mov_b32 s1, s5
	s_delay_alu instid0(VALU_DEP_1) | instskip(NEXT) | instid1(VALU_DEP_1)
	v_add_nc_u32_e32 v2, s18, v2
	v_cmp_le_i32_e32 vcc_lo, s24, v2
	s_or_b32 s3, vcc_lo, s3
	s_wait_alu 0xfffe
	s_and_saveexec_b32 s17, s3
	s_wait_alu 0xfffe
	s_xor_b32 s3, exec_lo, s17
; %bb.430:
	v_mad_u32_u24 v1, 0x110, v70, v1
	v_mov_b32_e32 v2, 0
                                        ; implicit-def: $vgpr70
	ds_store_2addr_b32 v1, v2, v2 offset1:32
                                        ; implicit-def: $vgpr2
; %bb.431:
	s_wait_alu 0xfffe
	s_or_saveexec_b32 s17, s3
	s_mul_u64 s[0:1], s[4:5], s[0:1]
	s_ashr_i32 s3, s2, 31
	s_wait_alu 0xfffe
	s_xor_b32 exec_lo, exec_lo, s17
	s_cbranch_execz .LBB25_433
; %bb.432:
	v_mul_lo_u32 v1, v2, s35
	v_mul_lo_u32 v2, v123, s45
	v_mul_u32_u24_e32 v5, 0x110, v70
	v_lshlrev_b32_e32 v6, 2, v72
	s_delay_alu instid0(VALU_DEP_3) | instskip(NEXT) | instid1(VALU_DEP_1)
	v_add3_u32 v1, v1, v2, v72
	v_ashrrev_i32_e32 v2, 31, v1
	s_delay_alu instid0(VALU_DEP_1) | instskip(NEXT) | instid1(VALU_DEP_1)
	v_lshlrev_b64_e32 v[1:2], 3, v[1:2]
	v_add_co_u32 v1, vcc_lo, s8, v1
	s_wait_alu 0xfffd
	s_delay_alu instid0(VALU_DEP_2)
	v_add_co_ci_u32_e64 v2, null, s9, v2, vcc_lo
	s_clause 0x1
	global_load_b64 v[3:4], v[1:2], off
	global_load_b64 v[1:2], v[1:2], off offset:256
	s_wait_loadcnt 0x1
	v_cvt_f16_f32_e32 v3, v3
	v_cvt_f16_f32_e32 v4, v4
	s_wait_loadcnt 0x0
	v_cvt_f16_f32_e32 v1, v1
	v_cvt_f16_f32_e32 v2, v2
	s_delay_alu instid0(VALU_DEP_3) | instskip(NEXT) | instid1(VALU_DEP_2)
	v_pack_b32_f16 v3, v3, v4
	v_pack_b32_f16 v1, v1, v2
	v_add3_u32 v2, 0, v5, v6
	s_delay_alu instid0(VALU_DEP_3) | instskip(NEXT) | instid1(VALU_DEP_3)
	v_pk_mul_f16 v3, v3, s16
	v_pk_mul_f16 v1, v1, s16
	ds_store_2addr_b32 v2, v3, v1 offset1:32
.LBB25_433:
	s_or_b32 exec_lo, exec_lo, s17
	v_lshrrev_b32_e32 v3, 2, v72
	v_and_b32_e32 v4, 0x1ff0, v226
	v_and_b32_e32 v114, 15, v72
	s_mul_i32 s1, s1, s6
	s_mul_i32 s0, s20, s7
	v_dual_mov_b32 v146, 0 :: v_dual_and_b32 v1, 0xfc, v3
	v_mad_u32_u24 v2, 0x110, v4, 0
	v_mul_u32_u24_e32 v131, 0x110, v114
	s_wait_alu 0xfffe
	s_sub_co_i32 s4, s4, s1
	v_lshlrev_b32_e32 v132, 2, v1
	s_ashr_i32 s1, s0, 31
	s_wait_alu 0xfffe
	s_sub_co_i32 s5, s4, s6
	s_wait_dscnt 0x0
	s_barrier_signal -1
	v_add3_u32 v1, v2, v131, v132
	s_barrier_wait -1
	global_inv scope:SCOPE_SE
	s_cmp_ge_u32 s4, s6
	v_readlane_b32 s8, v255, 3
	ds_load_b128 v[68:71], v1
	ds_load_b128 v[64:67], v1 offset:32
	ds_load_b128 v[60:63], v1 offset:64
	;; [unrolled: 1-line block ×7, first 2 shown]
	s_wait_alu 0xfffe
	s_cselect_b32 s4, s5, s4
	v_readlane_b32 s9, v255, 4
	s_wait_alu 0xfffe
	s_sub_co_i32 s5, s4, s6
	s_cmp_ge_u32 s4, s6
	v_add_nc_u32_e32 v144, -1, v0
	s_wait_alu 0xfffe
	s_cselect_b32 s4, s5, s4
	v_lshrrev_b32_e32 v0, 4, v72
	s_wait_alu 0xfffe
	s_xor_b32 s4, s4, s3
	v_lshlrev_b32_e32 v1, 1, v72
	s_wait_alu 0xfffe
	s_sub_co_i32 s6, s4, s3
	v_cmp_lt_i32_e32 vcc_lo, s42, v144
	s_wait_alu 0xfffe
	s_ashr_i32 s7, s6, 31
	v_lshl_add_u32 v2, v121, 1, v0
	s_wait_alu 0xfffe
	s_mul_u64 s[6:7], s[8:9], s[6:7]
	v_readlane_b32 s8, v255, 1
	v_readlane_b32 s9, v255, 2
	v_and_b32_e32 v5, 30, v1
	s_mul_u64 s[4:5], s[28:29], s[2:3]
	s_and_b32 vcc_lo, exec_lo, vcc_lo
	s_wait_alu 0xfffe
	s_add_nc_u64 s[4:5], s[10:11], s[4:5]
	s_mul_u64 s[8:9], s[8:9], s[2:3]
	s_mul_i32 s2, s20, s31
	s_wait_alu 0xfffe
	s_add_nc_u64 s[8:9], s[12:13], s[8:9]
	s_ashr_i32 s3, s2, 31
	s_mov_b32 s10, -1
	s_wait_loadcnt_dscnt 0x0
	s_barrier_signal -1
	s_barrier_wait -1
	global_inv scope:SCOPE_SE
	s_cbranch_vccnz .LBB25_437
; %bb.434:
	s_ashr_i32 s37, s36, 31
	v_add_nc_u32_e32 v116, 4, v2
	v_mul_lo_u32 v77, s36, v2
	v_add_nc_u32_e32 v0, s18, v2
	s_lshl_b32 s12, s36, 2
	s_delay_alu instid0(VALU_DEP_3) | instskip(SKIP_1) | instid1(VALU_DEP_2)
	v_dual_mov_b32 v76, 0 :: v_dual_add_nc_u32 v1, s18, v116
	s_movk_i32 s10, 0x140
	v_mul_hi_u32 v7, s38, v0
	v_lshlrev_b32_e32 v115, 4, v121
	s_wait_alu 0xfffe
	v_add_nc_u32_e32 v79, s12, v77
	v_mul_hi_u32 v8, s38, v1
	v_mad_u32_u24 v135, 0x50, v2, s10
	s_movk_i32 s10, 0x1100
	v_lshlrev_b32_e32 v6, 2, v72
	v_add_nc_u32_e32 v81, s12, v79
	v_add_nc_u32_e32 v7, v0, v7
	s_wait_alu 0xfffe
	v_mad_u32_u24 v139, 0x110, v2, s10
	s_movk_i32 s10, 0x1540
	v_add_nc_u32_e32 v8, v1, v8
	v_add_nc_u32_e32 v83, s12, v81
	v_lshrrev_b32_e32 v7, s39, v7
	v_and_b32_e32 v127, 16, v115
	s_wait_alu 0xfffe
	v_mad_u32_u24 v140, 0x110, v2, s10
	v_lshrrev_b32_e32 v8, s39, v8
	v_add_nc_u32_e32 v85, s12, v83
	v_mul_lo_u32 v7, v7, s24
	s_movk_i32 s10, 0x1980
	s_movk_i32 s11, 0x440
	v_mul_lo_u32 v8, v8, s24
	v_add_nc_u32_e32 v89, s12, v85
	s_movk_i32 s13, 0x880
	s_movk_i32 s16, 0xcc0
	s_wait_alu 0xfffe
	v_mad_u32_u24 v142, 0x110, v2, s10
	v_sub_nc_u32_e32 v0, v0, v7
	v_add_nc_u32_e32 v93, s12, v89
	s_movk_i32 s10, 0x1dc0
	v_sub_nc_u32_e32 v1, v1, v8
	v_add_nc_u32_e32 v119, 8, v2
	v_mad_co_i64_i32 v[87:88], null, v0, s40, 0
	v_add_nc_u32_e32 v95, s12, v93
	s_delay_alu instid0(VALU_DEP_4)
	v_mad_co_i64_i32 v[91:92], null, v1, s40, 0
	v_mov_b32_e32 v0, s36
	v_mul_u32_u24_e32 v133, 0x50, v2
	v_mul_u32_u24_e32 v134, 0x110, v2
	v_add_nc_u32_e32 v120, 12, v2
	v_mad_u32_u24 v136, 0x110, v2, s11
	v_mad_u32_u24 v137, 0x110, v2, s13
	;; [unrolled: 1-line block ×3, first 2 shown]
	v_and_b32_e32 v75, 60, v6
	v_ashrrev_i32_e32 v78, 31, v77
	v_ashrrev_i32_e32 v80, 31, v79
	;; [unrolled: 1-line block ×4, first 2 shown]
	v_add_nc_u32_e32 v126, 16, v2
	v_ashrrev_i32_e32 v86, 31, v85
	v_add_nc_u32_e32 v128, 20, v2
	v_ashrrev_i32_e32 v90, 31, v89
	v_add_nc_u32_e32 v129, 24, v2
	v_ashrrev_i32_e32 v94, 31, v93
	v_add_nc_u32_e32 v130, 28, v2
	s_wait_alu 0xfffe
	v_mad_u32_u24 v143, 0x110, v2, s10
	v_ashrrev_i32_e32 v96, 31, v95
	v_mul_u32_u24_e32 v145, 0x110, v127
	v_mov_b32_e32 v1, s37
	s_mov_b32 s10, 0
	s_branch .LBB25_438
.LBB25_435:
                                        ; implicit-def: $sgpr48_sgpr49
	s_load_b64 s[46:47], s[0:1], 0x74
	v_cvt_f32_u32_e32 v1, s34
	s_branch .LBB25_2
.LBB25_436:
                                        ; implicit-def: $sgpr54_sgpr55
	s_load_b64 s[38:39], s[0:1], 0x5c
	s_branch .LBB25_5
.LBB25_437:
                                        ; implicit-def: $vgpr133
                                        ; implicit-def: $vgpr87_vgpr88
                                        ; implicit-def: $vgpr116
                                        ; implicit-def: $vgpr135
                                        ; implicit-def: $vgpr91_vgpr92
                                        ; implicit-def: $vgpr0_vgpr1
                                        ; implicit-def: $vgpr134
                                        ; implicit-def: $vgpr75
                                        ; implicit-def: $vgpr77_vgpr78
                                        ; implicit-def: $vgpr136
                                        ; implicit-def: $vgpr79_vgpr80
                                        ; implicit-def: $vgpr119
                                        ; implicit-def: $vgpr137
                                        ; implicit-def: $vgpr81_vgpr82
                                        ; implicit-def: $vgpr120
                                        ; implicit-def: $vgpr138
                                        ; implicit-def: $vgpr83_vgpr84
                                        ; implicit-def: $vgpr126
                                        ; implicit-def: $vgpr139
                                        ; implicit-def: $vgpr85_vgpr86
                                        ; implicit-def: $vgpr128
                                        ; implicit-def: $vgpr140
                                        ; implicit-def: $vgpr89_vgpr90
                                        ; implicit-def: $vgpr129
                                        ; implicit-def: $vgpr142
                                        ; implicit-def: $vgpr93_vgpr94
                                        ; implicit-def: $vgpr130
                                        ; implicit-def: $vgpr143
                                        ; implicit-def: $vgpr95_vgpr96
                                        ; implicit-def: $vgpr115
                                        ; implicit-def: $vgpr127
                                        ; implicit-def: $vgpr145
.LBB25_438:
	v_mul_lo_u32 v73, s26, v2
	v_lshlrev_b32_e32 v141, 1, v5
	v_and_or_b32 v125, v72, 14, v4
	v_lshlrev_b32_e32 v118, 1, v3
	v_lshlrev_b32_e32 v117, 2, v114
	s_add_nc_u64 s[4:5], s[4:5], s[0:1]
	s_add_nc_u64 s[6:7], s[14:15], s[6:7]
	s_wait_alu 0xfffe
	s_and_not1_b32 vcc_lo, exec_lo, s10
	v_ashrrev_i32_e32 v74, 31, v73
	s_add_nc_u64 s[2:3], s[8:9], s[2:3]
	s_wait_alu 0xfffe
	s_cbranch_vccnz .LBB25_474
; %bb.439:
	v_mov_b32_e32 v76, 0
	v_add_nc_u32_e32 v116, 4, v2
	v_dual_mov_b32 v146, 0xfeffffff :: v_dual_lshlrev_b32 v5, 2, v72
	v_mul_u32_u24_e32 v134, 0x110, v2
	v_add_co_u32 v148, s0, s6, v141
	s_delay_alu instid0(VALU_DEP_4) | instskip(NEXT) | instid1(VALU_DEP_4)
	v_add_nc_u32_e32 v3, s18, v116
	v_dual_mov_b32 v166, v76 :: v_dual_and_b32 v75, 60, v5
	v_dual_mov_b32 v34, v76 :: v_dual_lshlrev_b32 v115, 4, v121
	s_delay_alu instid0(VALU_DEP_3) | instskip(NEXT) | instid1(VALU_DEP_3)
	v_mul_hi_u32 v4, s38, v3
	v_lshlrev_b32_e32 v5, 2, v75
	s_wait_alu 0xf1ff
	v_add_co_ci_u32_e64 v149, null, s7, 0, s0
	s_movk_i32 s0, 0x140
	v_dual_mov_b32 v30, v76 :: v_dual_and_b32 v127, 16, v115
	v_add3_u32 v150, 0, v134, v5
	v_xor_b32_e32 v5, 16, v124
	v_add_nc_u32_e32 v4, v3, v4
	s_wait_alu 0xfffe
	v_mad_u32_u24 v135, 0x50, v2, s0
	s_movk_i32 s0, 0xcc0
	s_movk_i32 s1, 0x440
	v_cmp_gt_i32_e32 vcc_lo, 32, v5
	v_add_nc_u32_e32 v0, s18, v2
	v_lshrrev_b32_e32 v4, s39, v4
	s_wait_alu 0xfffe
	v_mad_u32_u24 v138, 0x110, v2, s0
	s_movk_i32 s0, 0x1100
	s_wait_alu 0xfffd
	v_cndmask_b32_e32 v5, v124, v5, vcc_lo
	v_mul_hi_u32 v1, s38, v0
	v_mul_lo_u32 v4, v4, s24
	v_mad_u32_u24 v136, 0x110, v2, s1
	s_lshl_b32 s1, s26, 2
	s_wait_alu 0xfffe
	v_mad_u32_u24 v139, 0x110, v2, s0
	s_movk_i32 s0, 0x1540
	s_movk_i32 s9, 0x880
	s_wait_alu 0xfffe
	v_mad_u32_u24 v140, 0x110, v2, s0
	v_add_nc_u32_e32 v1, v0, v1
	s_movk_i32 s0, 0x1980
	v_mul_u32_u24_e32 v133, 0x50, v2
	s_wait_alu 0xfffe
	v_mad_u32_u24 v142, 0x110, v2, s0
	s_movk_i32 s0, 0x1dc0
	v_lshrrev_b32_e32 v1, s39, v1
	v_mul_lo_u32 v77, s36, v2
	v_add_nc_u32_e32 v119, 8, v2
	v_mad_u32_u24 v137, 0x110, v2, s9
	v_add_nc_u32_e32 v120, 12, v2
	v_mul_lo_u32 v1, v1, s24
	v_dual_mov_b32 v19, v76 :: v_dual_add_nc_u32 v126, 16, v2
	v_dual_mov_b32 v23, v76 :: v_dual_add_nc_u32 v128, 20, v2
	;; [unrolled: 1-line block ×4, first 2 shown]
	v_sub_nc_u32_e32 v0, v0, v1
	v_sub_nc_u32_e32 v1, v3, v4
	s_wait_alu 0xfffe
	v_mad_u32_u24 v143, 0x110, v2, s0
	v_mov_b32_e32 v25, v76
	s_lshl_b32 s8, s36, 2
	v_mad_co_i64_i32 v[87:88], null, v0, s40, 0
	v_lshrrev_b16 v0, 1, v72
	v_mad_co_i64_i32 v[91:92], null, v1, s40, 0
	v_mov_b32_e32 v35, v76
	s_wait_alu 0xfffe
	v_add_nc_u32_e32 v79, s8, v77
	v_dual_mov_b32 v29, v76 :: v_dual_and_b32 v0, 0x1f8, v0
	v_or_b32_e32 v13, 6, v118
	v_mad_u32_u24 v15, 0x110, v127, 0
	v_lshrrev_b32_e32 v3, 1, v125
	s_delay_alu instid0(VALU_DEP_4) | instskip(SKIP_3) | instid1(VALU_DEP_4)
	v_add_nc_u16 v1, v127, v0
	v_dual_mov_b32 v31, v76 :: v_dual_add_nc_u32 v0, s1, v73
	v_mul_u32_u24_e32 v18, 0x110, v13
	v_and_b32_e32 v11, 0x1f8, v118
	v_lshrrev_b16 v1, 1, v1
	s_delay_alu instid0(VALU_DEP_4) | instskip(NEXT) | instid1(VALU_DEP_4)
	v_dual_mov_b32 v37, v76 :: v_dual_add_nc_u32 v2, s1, v0
	v_add3_u32 v162, v15, v18, v117
	v_mul_u32_u24_e32 v3, 0x50, v3
	s_delay_alu instid0(VALU_DEP_4) | instskip(NEXT) | instid1(VALU_DEP_4)
	v_and_b32_e32 v1, 0xffff, v1
	v_add_nc_u32_e32 v4, s1, v2
	v_add_nc_u32_e32 v14, 0, v141
	v_or_b32_e32 v16, 7, v118
	v_mul_u32_u24_e32 v17, 0x110, v11
	v_lshlrev_b32_e32 v1, 2, v1
	v_add_nc_u32_e32 v6, s1, v4
	v_dual_mov_b32 v39, v76 :: v_dual_lshlrev_b32 v160, 2, v5
	v_ashrrev_i32_e32 v5, 31, v4
	s_delay_alu instid0(VALU_DEP_4) | instskip(NEXT) | instid1(VALU_DEP_4)
	v_add3_u32 v159, 0, v3, v1
	v_add_nc_u32_e32 v8, s1, v6
	v_ashrrev_i32_e32 v1, 31, v0
	v_ashrrev_i32_e32 v3, 31, v2
	;; [unrolled: 1-line block ×3, first 2 shown]
	v_mul_u32_u24_e32 v16, 0x110, v16
	v_add_nc_u32_e32 v10, s1, v8
	v_ashrrev_i32_e32 v9, 31, v8
	v_lshlrev_b64_e32 v[97:98], 2, v[73:74]
	v_lshlrev_b64_e32 v[99:100], 2, v[0:1]
	;; [unrolled: 1-line block ×3, first 2 shown]
	v_add_nc_u32_e32 v12, s1, v10
	v_lshlrev_b64_e32 v[107:108], 2, v[8:9]
	v_dual_mov_b32 v8, v76 :: v_dual_add_nc_u32 v81, s8, v79
	v_mov_b32_e32 v18, v76
	s_delay_alu instid0(VALU_DEP_4)
	v_ashrrev_i32_e32 v13, 31, v12
	v_mov_b32_e32 v22, v76
	v_ashrrev_i32_e32 v11, 31, v10
	v_lshlrev_b64_e32 v[103:104], 2, v[4:5]
	v_lshlrev_b64_e32 v[105:106], 2, v[6:7]
	;; [unrolled: 1-line block ×3, first 2 shown]
	v_dual_mov_b32 v12, v76 :: v_dual_add_nc_u32 v83, s8, v81
	v_mov_b32_e32 v24, v76
	v_lshlrev_b64_e32 v[109:110], 2, v[10:11]
	v_dual_mov_b32 v11, v76 :: v_dual_add_nc_u32 v14, v14, v133
	s_delay_alu instid0(VALU_DEP_4) | instskip(SKIP_3) | instid1(VALU_DEP_4)
	v_dual_mov_b32 v28, v76 :: v_dual_add_nc_u32 v85, s8, v83
	v_ashrrev_i32_e32 v78, 31, v77
	v_ashrrev_i32_e32 v80, 31, v79
	v_add_nc_u32_e32 v151, 0x440, v150
	v_add_nc_u32_e32 v89, s8, v85
	;; [unrolled: 1-line block ×3, first 2 shown]
	v_ashrrev_i32_e32 v82, 31, v81
	v_dual_mov_b32 v20, v76 :: v_dual_add_nc_u32 v153, 0xcc0, v150
	s_delay_alu instid0(VALU_DEP_4) | instskip(SKIP_3) | instid1(VALU_DEP_4)
	v_add_nc_u32_e32 v93, s8, v89
	v_ashrrev_i32_e32 v84, 31, v83
	v_dual_mov_b32 v21, v76 :: v_dual_add_nc_u32 v154, 0x1100, v150
	v_ashrrev_i32_e32 v86, 31, v85
	v_dual_mov_b32 v36, v76 :: v_dual_add_nc_u32 v95, s8, v93
	v_dual_mov_b32 v26, v76 :: v_dual_add_nc_u32 v155, 0x1540, v150
	v_ashrrev_i32_e32 v90, 31, v89
	v_dual_mov_b32 v27, v76 :: v_dual_add_nc_u32 v156, 0x1980, v150
	v_ashrrev_i32_e32 v94, 31, v93
	;; [unrolled: 2-line block ×3, first 2 shown]
	v_mul_u32_u24_e32 v145, 0x110, v127
	v_add3_u32 v158, v15, v131, v132
	v_add3_u32 v161, v15, v17, v117
	;; [unrolled: 1-line block ×3, first 2 shown]
	v_lshlrev_b32_e32 v164, 2, v75
	v_add_nc_u32_e32 v165, 0x2000, v14
	v_dual_mov_b32 v9, v76 :: v_dual_mov_b32 v10, v76
	v_dual_mov_b32 v13, v76 :: v_dual_mov_b32 v14, v76
	v_dual_mov_b32 v15, v76 :: v_dual_mov_b32 v16, v76
	v_mov_b32_e32 v17, v76
	s_ashr_i32 s37, s36, 31
	s_ashr_i32 s27, s26, 31
	s_lshl_b32 s8, s42, 5
	s_mov_b32 s1, 0xbbbac73d
.LBB25_440:                             ; =>This Inner Loop Header: Depth=1
	s_wait_alu 0xfffe
	s_ashr_i32 s9, s8, 31
	v_lshlrev_b64_e32 v[0:1], 1, v[87:88]
	s_wait_alu 0xfffe
	s_lshl_b64 s[10:11], s[8:9], 1
	v_lshlrev_b64_e32 v[2:3], 1, v[91:92]
	s_wait_alu 0xfffe
	v_add_co_u32 v4, vcc_lo, v148, s10
	s_wait_alu 0xfffd
	v_add_co_ci_u32_e64 v5, null, s11, v149, vcc_lo
	s_mul_u64 s[10:11], s[8:9], s[36:37]
	v_add_co_u32 v0, vcc_lo, v4, v0
	s_wait_alu 0xfffd
	v_add_co_ci_u32_e64 v1, null, v5, v1, vcc_lo
	v_add_co_u32 v2, vcc_lo, v4, v2
	s_wait_alu 0xfffd
	v_add_co_ci_u32_e64 v3, null, v5, v3, vcc_lo
	v_lshlrev_b64_e32 v[4:5], 2, v[77:78]
	s_wait_alu 0xfffe
	s_lshl_b64 s[10:11], s[10:11], 2
	s_clause 0x1
	global_load_b32 v122, v[0:1], off
	global_load_b32 v147, v[2:3], off
	s_wait_alu 0xfffe
	s_add_nc_u64 s[10:11], s[4:5], s[10:11]
	v_lshlrev_b64_e32 v[0:1], 2, v[79:80]
	s_wait_alu 0xfffe
	v_add_co_u32 v2, vcc_lo, s10, v4
	s_wait_alu 0xfffd
	v_add_co_ci_u32_e64 v3, null, s11, v5, vcc_lo
	s_delay_alu instid0(VALU_DEP_2) | instskip(SKIP_1) | instid1(VALU_DEP_2)
	v_add_co_u32 v2, vcc_lo, v2, v164
	s_wait_alu 0xfffd
	v_add_co_ci_u32_e64 v3, null, 0, v3, vcc_lo
	v_add_co_u32 v4, vcc_lo, s10, v0
	s_wait_alu 0xfffd
	v_add_co_ci_u32_e64 v5, null, s11, v1, vcc_lo
	v_lshlrev_b64_e32 v[0:1], 2, v[81:82]
	s_delay_alu instid0(VALU_DEP_3) | instskip(SKIP_1) | instid1(VALU_DEP_3)
	v_add_co_u32 v4, vcc_lo, v4, v164
	s_wait_alu 0xfffd
	v_add_co_ci_u32_e64 v5, null, 0, v5, vcc_lo
	s_delay_alu instid0(VALU_DEP_3) | instskip(SKIP_3) | instid1(VALU_DEP_3)
	v_add_co_u32 v6, vcc_lo, s10, v0
	s_wait_alu 0xfffd
	v_add_co_ci_u32_e64 v7, null, s11, v1, vcc_lo
	v_lshlrev_b64_e32 v[0:1], 2, v[83:84]
	v_add_co_u32 v167, vcc_lo, v6, v164
	s_wait_alu 0xfffd
	s_delay_alu instid0(VALU_DEP_3) | instskip(NEXT) | instid1(VALU_DEP_3)
	v_add_co_ci_u32_e64 v168, null, 0, v7, vcc_lo
	v_add_co_u32 v6, vcc_lo, s10, v0
	s_wait_alu 0xfffd
	v_add_co_ci_u32_e64 v7, null, s11, v1, vcc_lo
	v_lshlrev_b64_e32 v[0:1], 2, v[85:86]
	s_delay_alu instid0(VALU_DEP_3) | instskip(SKIP_1) | instid1(VALU_DEP_3)
	v_add_co_u32 v171, vcc_lo, v6, v164
	s_wait_alu 0xfffd
	v_add_co_ci_u32_e64 v172, null, 0, v7, vcc_lo
	s_delay_alu instid0(VALU_DEP_3) | instskip(SKIP_3) | instid1(VALU_DEP_3)
	v_add_co_u32 v6, vcc_lo, s10, v0
	s_wait_alu 0xfffd
	v_add_co_ci_u32_e64 v7, null, s11, v1, vcc_lo
	v_lshlrev_b64_e32 v[0:1], 2, v[89:90]
	v_add_co_u32 v175, vcc_lo, v6, v164
	s_wait_alu 0xfffd
	s_delay_alu instid0(VALU_DEP_3) | instskip(NEXT) | instid1(VALU_DEP_3)
	v_add_co_ci_u32_e64 v176, null, 0, v7, vcc_lo
	v_add_co_u32 v6, vcc_lo, s10, v0
	s_wait_alu 0xfffd
	v_add_co_ci_u32_e64 v7, null, s11, v1, vcc_lo
	v_lshlrev_b64_e32 v[0:1], 2, v[93:94]
	s_delay_alu instid0(VALU_DEP_3) | instskip(SKIP_1) | instid1(VALU_DEP_3)
	v_add_co_u32 v179, vcc_lo, v6, v164
	s_wait_alu 0xfffd
	v_add_co_ci_u32_e64 v180, null, 0, v7, vcc_lo
	v_lshlrev_b64_e32 v[6:7], 2, v[95:96]
	s_delay_alu instid0(VALU_DEP_4) | instskip(SKIP_2) | instid1(VALU_DEP_3)
	v_add_co_u32 v0, vcc_lo, s10, v0
	s_wait_alu 0xfffd
	v_add_co_ci_u32_e64 v1, null, s11, v1, vcc_lo
	v_add_co_u32 v6, vcc_lo, s10, v6
	s_wait_alu 0xfffd
	v_add_co_ci_u32_e64 v7, null, s11, v7, vcc_lo
	;; [unrolled: 3-line block ×4, first 2 shown]
	s_clause 0x7
	global_load_b128 v[0:3], v[2:3], off
	global_load_b128 v[4:7], v[4:5], off
	;; [unrolled: 1-line block ×8, first 2 shown]
	s_wait_loadcnt 0x8
	ds_store_2addr_b32 v165, v122, v147 offset0:128 offset1:208
	s_wait_loadcnt 0x7
	ds_store_b128 v150, v[0:3]
	s_wait_loadcnt 0x6
	ds_store_b128 v151, v[4:7]
	;; [unrolled: 2-line block ×8, first 2 shown]
	s_wait_dscnt 0x0
	s_barrier_signal -1
	s_barrier_wait -1
	global_inv scope:SCOPE_SE
	ds_load_b128 v[167:170], v158
	ds_load_b128 v[171:174], v158 offset:32
	ds_load_b128 v[175:178], v158 offset:64
	;; [unrolled: 1-line block ×3, first 2 shown]
                                        ; implicit-def: $vgpr147
	s_wait_dscnt 0x3
	v_wmma_f32_16x16x16_f16 v[0:7], v[167:170], v[68:71], 0
	ds_load_b128 v[167:170], v158 offset:128
	s_wait_dscnt 0x3
	v_wmma_f32_16x16x16_f16 v[0:7], v[171:174], v[64:67], v[0:7]
	ds_load_b128 v[171:174], v158 offset:160
	;; [unrolled: 3-line block ×4, first 2 shown]
	s_wait_loadcnt_dscnt 0x0
	s_barrier_signal -1
	s_barrier_wait -1
	global_inv scope:SCOPE_SE
	v_wmma_f32_16x16x16_f16 v[0:7], v[167:170], v[44:47], v[0:7]
	s_delay_alu instid0(VALU_DEP_1) | instskip(NEXT) | instid1(VALU_DEP_1)
	v_wmma_f32_16x16x16_f16 v[0:7], v[171:174], v[48:51], v[0:7]
	v_wmma_f32_16x16x16_f16 v[0:7], v[175:178], v[52:55], v[0:7]
	s_delay_alu instid0(VALU_DEP_1) | instskip(NEXT) | instid1(VALU_DEP_1)
	v_wmma_f32_16x16x16_f16 v[0:7], v[179:182], v[40:43], v[0:7]
	v_cmp_ngt_f32_e64 s0, 0x3f200000, |v0|
	s_and_saveexec_b32 s10, s0
	s_wait_alu 0xfffe
	s_xor_b32 s0, exec_lo, s10
	s_cbranch_execz .LBB25_442
; %bb.441:                              ;   in Loop: Header=BB25_440 Depth=1
	v_add_f32_e64 v122, |v0|, |v0|
	s_delay_alu instid0(VALU_DEP_1) | instskip(SKIP_1) | instid1(VALU_DEP_2)
	v_mul_f32_e32 v147, 0x3fb8aa3b, v122
	v_cmp_ngt_f32_e32 vcc_lo, 0xc2ce8ed0, v122
	v_rndne_f32_e32 v167, v147
	v_fma_f32 v168, 0x3fb8aa3b, v122, -v147
	s_delay_alu instid0(VALU_DEP_1) | instskip(SKIP_1) | instid1(VALU_DEP_2)
	v_dual_sub_f32 v147, v147, v167 :: v_dual_fmac_f32 v168, 0x32a5705f, v122
	v_cvt_i32_f32_e32 v167, v167
	v_add_f32_e32 v147, v147, v168
	s_delay_alu instid0(VALU_DEP_1) | instskip(NEXT) | instid1(TRANS32_DEP_1)
	v_exp_f32_e32 v147, v147
	v_ldexp_f32 v147, v147, v167
	s_wait_alu 0xfffd
	s_delay_alu instid0(VALU_DEP_1) | instskip(SKIP_2) | instid1(VALU_DEP_2)
	v_cndmask_b32_e32 v147, 0, v147, vcc_lo
	v_cmp_nlt_f32_e32 vcc_lo, 0x42b17218, v122
	s_wait_alu 0xfffd
	v_cndmask_b32_e32 v122, 0x7f800000, v147, vcc_lo
	s_delay_alu instid0(VALU_DEP_1) | instskip(NEXT) | instid1(VALU_DEP_1)
	v_add_f32_e32 v122, 1.0, v122
	v_rcp_f32_e32 v122, v122
	s_delay_alu instid0(TRANS32_DEP_1)
	v_fma_f32 v147, v122, -2.0, 1.0
.LBB25_442:                             ;   in Loop: Header=BB25_440 Depth=1
	s_wait_alu 0xfffe
	s_and_not1_saveexec_b32 s0, s0
	s_cbranch_execz .LBB25_444
; %bb.443:                              ;   in Loop: Header=BB25_440 Depth=1
	v_mul_f32_e32 v122, v0, v0
	s_delay_alu instid0(VALU_DEP_1) | instskip(NEXT) | instid1(VALU_DEP_1)
	v_fmaak_f32 v147, s1, v122, 0x3ca908c9
	v_fmaak_f32 v147, v122, v147, 0xbd5c1c4e
	s_delay_alu instid0(VALU_DEP_1) | instskip(NEXT) | instid1(VALU_DEP_1)
	v_fmaak_f32 v147, v122, v147, 0x3e088382
	v_fmaak_f32 v147, v122, v147, 0xbeaaaa99
	s_delay_alu instid0(VALU_DEP_1) | instskip(NEXT) | instid1(VALU_DEP_1)
	v_mul_f32_e64 v147, |v0|, v147
	v_fma_f32 v147, v122, v147, |v0|
.LBB25_444:                             ;   in Loop: Header=BB25_440 Depth=1
	s_wait_alu 0xfffe
	s_or_b32 exec_lo, exec_lo, s0
	v_cmp_ngt_f32_e64 s0, 0x3f200000, |v1|
                                        ; implicit-def: $vgpr167
	s_and_saveexec_b32 s10, s0
	s_wait_alu 0xfffe
	s_xor_b32 s0, exec_lo, s10
	s_cbranch_execz .LBB25_446
; %bb.445:                              ;   in Loop: Header=BB25_440 Depth=1
	v_add_f32_e64 v122, |v1|, |v1|
	s_delay_alu instid0(VALU_DEP_1) | instskip(SKIP_1) | instid1(VALU_DEP_2)
	v_mul_f32_e32 v167, 0x3fb8aa3b, v122
	v_cmp_ngt_f32_e32 vcc_lo, 0xc2ce8ed0, v122
	v_rndne_f32_e32 v168, v167
	v_fma_f32 v169, 0x3fb8aa3b, v122, -v167
	s_delay_alu instid0(VALU_DEP_2) | instskip(NEXT) | instid1(VALU_DEP_2)
	v_sub_f32_e32 v167, v167, v168
	v_fmac_f32_e32 v169, 0x32a5705f, v122
	v_cvt_i32_f32_e32 v168, v168
	s_delay_alu instid0(VALU_DEP_2) | instskip(NEXT) | instid1(VALU_DEP_1)
	v_add_f32_e32 v167, v167, v169
	v_exp_f32_e32 v167, v167
	s_delay_alu instid0(TRANS32_DEP_1) | instskip(SKIP_1) | instid1(VALU_DEP_1)
	v_ldexp_f32 v167, v167, v168
	s_wait_alu 0xfffd
	v_cndmask_b32_e32 v167, 0, v167, vcc_lo
	v_cmp_nlt_f32_e32 vcc_lo, 0x42b17218, v122
	s_wait_alu 0xfffd
	s_delay_alu instid0(VALU_DEP_2) | instskip(NEXT) | instid1(VALU_DEP_1)
	v_cndmask_b32_e32 v122, 0x7f800000, v167, vcc_lo
	v_add_f32_e32 v122, 1.0, v122
	s_delay_alu instid0(VALU_DEP_1) | instskip(NEXT) | instid1(TRANS32_DEP_1)
	v_rcp_f32_e32 v122, v122
	v_fma_f32 v167, v122, -2.0, 1.0
.LBB25_446:                             ;   in Loop: Header=BB25_440 Depth=1
	s_wait_alu 0xfffe
	s_and_not1_saveexec_b32 s0, s0
	s_cbranch_execz .LBB25_448
; %bb.447:                              ;   in Loop: Header=BB25_440 Depth=1
	v_mul_f32_e32 v122, v1, v1
	s_delay_alu instid0(VALU_DEP_1) | instskip(NEXT) | instid1(VALU_DEP_1)
	v_fmaak_f32 v167, s1, v122, 0x3ca908c9
	v_fmaak_f32 v167, v122, v167, 0xbd5c1c4e
	s_delay_alu instid0(VALU_DEP_1) | instskip(NEXT) | instid1(VALU_DEP_1)
	v_fmaak_f32 v167, v122, v167, 0x3e088382
	v_fmaak_f32 v167, v122, v167, 0xbeaaaa99
	s_delay_alu instid0(VALU_DEP_1) | instskip(NEXT) | instid1(VALU_DEP_1)
	v_mul_f32_e64 v167, |v1|, v167
	v_fma_f32 v167, v122, v167, |v1|
.LBB25_448:                             ;   in Loop: Header=BB25_440 Depth=1
	s_wait_alu 0xfffe
	s_or_b32 exec_lo, exec_lo, s0
	v_cmp_ngt_f32_e64 s0, 0x3f200000, |v2|
                                        ; implicit-def: $vgpr168
	s_and_saveexec_b32 s10, s0
	s_wait_alu 0xfffe
	s_xor_b32 s0, exec_lo, s10
	s_cbranch_execz .LBB25_450
; %bb.449:                              ;   in Loop: Header=BB25_440 Depth=1
	v_add_f32_e64 v122, |v2|, |v2|
	s_delay_alu instid0(VALU_DEP_1) | instskip(SKIP_1) | instid1(VALU_DEP_2)
	v_mul_f32_e32 v168, 0x3fb8aa3b, v122
	v_cmp_ngt_f32_e32 vcc_lo, 0xc2ce8ed0, v122
	v_rndne_f32_e32 v169, v168
	v_fma_f32 v170, 0x3fb8aa3b, v122, -v168
	s_delay_alu instid0(VALU_DEP_2) | instskip(NEXT) | instid1(VALU_DEP_2)
	v_sub_f32_e32 v168, v168, v169
	v_fmac_f32_e32 v170, 0x32a5705f, v122
	v_cvt_i32_f32_e32 v169, v169
	s_delay_alu instid0(VALU_DEP_2) | instskip(NEXT) | instid1(VALU_DEP_1)
	v_add_f32_e32 v168, v168, v170
	v_exp_f32_e32 v168, v168
	s_delay_alu instid0(TRANS32_DEP_1) | instskip(SKIP_1) | instid1(VALU_DEP_1)
	v_ldexp_f32 v168, v168, v169
	s_wait_alu 0xfffd
	v_cndmask_b32_e32 v168, 0, v168, vcc_lo
	v_cmp_nlt_f32_e32 vcc_lo, 0x42b17218, v122
	s_wait_alu 0xfffd
	s_delay_alu instid0(VALU_DEP_2) | instskip(NEXT) | instid1(VALU_DEP_1)
	v_cndmask_b32_e32 v122, 0x7f800000, v168, vcc_lo
	v_add_f32_e32 v122, 1.0, v122
	s_delay_alu instid0(VALU_DEP_1) | instskip(NEXT) | instid1(TRANS32_DEP_1)
	v_rcp_f32_e32 v122, v122
	v_fma_f32 v168, v122, -2.0, 1.0
.LBB25_450:                             ;   in Loop: Header=BB25_440 Depth=1
	s_wait_alu 0xfffe
	s_and_not1_saveexec_b32 s0, s0
	s_cbranch_execz .LBB25_452
; %bb.451:                              ;   in Loop: Header=BB25_440 Depth=1
	v_mul_f32_e32 v122, v2, v2
	s_delay_alu instid0(VALU_DEP_1) | instskip(NEXT) | instid1(VALU_DEP_1)
	v_fmaak_f32 v168, s1, v122, 0x3ca908c9
	v_fmaak_f32 v168, v122, v168, 0xbd5c1c4e
	s_delay_alu instid0(VALU_DEP_1) | instskip(NEXT) | instid1(VALU_DEP_1)
	v_fmaak_f32 v168, v122, v168, 0x3e088382
	v_fmaak_f32 v168, v122, v168, 0xbeaaaa99
	s_delay_alu instid0(VALU_DEP_1) | instskip(NEXT) | instid1(VALU_DEP_1)
	v_mul_f32_e64 v168, |v2|, v168
	v_fma_f32 v168, v122, v168, |v2|
.LBB25_452:                             ;   in Loop: Header=BB25_440 Depth=1
	s_wait_alu 0xfffe
	s_or_b32 exec_lo, exec_lo, s0
	v_cmp_ngt_f32_e64 s0, 0x3f200000, |v3|
                                        ; implicit-def: $vgpr122
	s_and_saveexec_b32 s10, s0
	s_wait_alu 0xfffe
	s_xor_b32 s0, exec_lo, s10
	s_cbranch_execz .LBB25_454
; %bb.453:                              ;   in Loop: Header=BB25_440 Depth=1
	v_add_f32_e64 v122, |v3|, |v3|
	s_delay_alu instid0(VALU_DEP_1) | instskip(SKIP_1) | instid1(VALU_DEP_2)
	v_mul_f32_e32 v169, 0x3fb8aa3b, v122
	v_cmp_ngt_f32_e32 vcc_lo, 0xc2ce8ed0, v122
	v_rndne_f32_e32 v170, v169
	v_fma_f32 v171, 0x3fb8aa3b, v122, -v169
	s_delay_alu instid0(VALU_DEP_2) | instskip(NEXT) | instid1(VALU_DEP_2)
	v_sub_f32_e32 v169, v169, v170
	v_fmac_f32_e32 v171, 0x32a5705f, v122
	v_cvt_i32_f32_e32 v170, v170
	s_delay_alu instid0(VALU_DEP_2) | instskip(NEXT) | instid1(VALU_DEP_1)
	v_add_f32_e32 v169, v169, v171
	v_exp_f32_e32 v169, v169
	s_delay_alu instid0(TRANS32_DEP_1) | instskip(SKIP_1) | instid1(VALU_DEP_1)
	v_ldexp_f32 v169, v169, v170
	s_wait_alu 0xfffd
	v_cndmask_b32_e32 v169, 0, v169, vcc_lo
	v_cmp_nlt_f32_e32 vcc_lo, 0x42b17218, v122
	s_wait_alu 0xfffd
	s_delay_alu instid0(VALU_DEP_2) | instskip(NEXT) | instid1(VALU_DEP_1)
	v_cndmask_b32_e32 v122, 0x7f800000, v169, vcc_lo
	v_add_f32_e32 v122, 1.0, v122
	s_delay_alu instid0(VALU_DEP_1) | instskip(NEXT) | instid1(TRANS32_DEP_1)
	v_rcp_f32_e32 v122, v122
	v_fma_f32 v122, v122, -2.0, 1.0
.LBB25_454:                             ;   in Loop: Header=BB25_440 Depth=1
	s_wait_alu 0xfffe
	s_and_not1_saveexec_b32 s0, s0
	s_cbranch_execz .LBB25_456
; %bb.455:                              ;   in Loop: Header=BB25_440 Depth=1
	v_mul_f32_e32 v122, v3, v3
	s_delay_alu instid0(VALU_DEP_1) | instskip(NEXT) | instid1(VALU_DEP_1)
	v_fmaak_f32 v169, s1, v122, 0x3ca908c9
	v_fmaak_f32 v169, v122, v169, 0xbd5c1c4e
	s_delay_alu instid0(VALU_DEP_1) | instskip(NEXT) | instid1(VALU_DEP_1)
	v_fmaak_f32 v169, v122, v169, 0x3e088382
	v_fmaak_f32 v169, v122, v169, 0xbeaaaa99
	s_delay_alu instid0(VALU_DEP_1) | instskip(NEXT) | instid1(VALU_DEP_1)
	v_mul_f32_e64 v169, |v3|, v169
	v_fma_f32 v122, v122, v169, |v3|
.LBB25_456:                             ;   in Loop: Header=BB25_440 Depth=1
	s_wait_alu 0xfffe
	s_or_b32 exec_lo, exec_lo, s0
	v_cmp_ngt_f32_e64 s0, 0x3f200000, |v4|
                                        ; implicit-def: $vgpr169
	s_and_saveexec_b32 s10, s0
	s_wait_alu 0xfffe
	s_xor_b32 s0, exec_lo, s10
	s_cbranch_execz .LBB25_458
; %bb.457:                              ;   in Loop: Header=BB25_440 Depth=1
	v_add_f32_e64 v169, |v4|, |v4|
	s_delay_alu instid0(VALU_DEP_1) | instskip(SKIP_1) | instid1(VALU_DEP_2)
	v_mul_f32_e32 v170, 0x3fb8aa3b, v169
	v_cmp_ngt_f32_e32 vcc_lo, 0xc2ce8ed0, v169
	v_rndne_f32_e32 v171, v170
	v_fma_f32 v172, 0x3fb8aa3b, v169, -v170
	s_delay_alu instid0(VALU_DEP_2) | instskip(NEXT) | instid1(VALU_DEP_2)
	v_sub_f32_e32 v170, v170, v171
	v_fmac_f32_e32 v172, 0x32a5705f, v169
	v_cvt_i32_f32_e32 v171, v171
	s_delay_alu instid0(VALU_DEP_2) | instskip(NEXT) | instid1(VALU_DEP_1)
	v_add_f32_e32 v170, v170, v172
	v_exp_f32_e32 v170, v170
	s_delay_alu instid0(TRANS32_DEP_1) | instskip(SKIP_1) | instid1(VALU_DEP_1)
	v_ldexp_f32 v170, v170, v171
	s_wait_alu 0xfffd
	v_cndmask_b32_e32 v170, 0, v170, vcc_lo
	v_cmp_nlt_f32_e32 vcc_lo, 0x42b17218, v169
	s_wait_alu 0xfffd
	s_delay_alu instid0(VALU_DEP_2) | instskip(NEXT) | instid1(VALU_DEP_1)
	v_cndmask_b32_e32 v169, 0x7f800000, v170, vcc_lo
	v_add_f32_e32 v169, 1.0, v169
	s_delay_alu instid0(VALU_DEP_1) | instskip(NEXT) | instid1(TRANS32_DEP_1)
	v_rcp_f32_e32 v169, v169
	v_fma_f32 v169, v169, -2.0, 1.0
.LBB25_458:                             ;   in Loop: Header=BB25_440 Depth=1
	s_wait_alu 0xfffe
	s_and_not1_saveexec_b32 s0, s0
	s_cbranch_execz .LBB25_460
; %bb.459:                              ;   in Loop: Header=BB25_440 Depth=1
	v_mul_f32_e32 v169, v4, v4
	s_delay_alu instid0(VALU_DEP_1) | instskip(NEXT) | instid1(VALU_DEP_1)
	v_fmaak_f32 v170, s1, v169, 0x3ca908c9
	v_fmaak_f32 v170, v169, v170, 0xbd5c1c4e
	s_delay_alu instid0(VALU_DEP_1) | instskip(NEXT) | instid1(VALU_DEP_1)
	v_fmaak_f32 v170, v169, v170, 0x3e088382
	v_fmaak_f32 v170, v169, v170, 0xbeaaaa99
	s_delay_alu instid0(VALU_DEP_1) | instskip(NEXT) | instid1(VALU_DEP_1)
	v_mul_f32_e64 v170, |v4|, v170
	v_fma_f32 v169, v169, v170, |v4|
.LBB25_460:                             ;   in Loop: Header=BB25_440 Depth=1
	s_wait_alu 0xfffe
	s_or_b32 exec_lo, exec_lo, s0
	v_cmp_ngt_f32_e64 s0, 0x3f200000, |v5|
                                        ; implicit-def: $vgpr170
	s_and_saveexec_b32 s10, s0
	s_wait_alu 0xfffe
	s_xor_b32 s0, exec_lo, s10
	s_cbranch_execz .LBB25_462
; %bb.461:                              ;   in Loop: Header=BB25_440 Depth=1
	v_add_f32_e64 v170, |v5|, |v5|
	s_delay_alu instid0(VALU_DEP_1) | instskip(SKIP_1) | instid1(VALU_DEP_2)
	v_mul_f32_e32 v171, 0x3fb8aa3b, v170
	v_cmp_ngt_f32_e32 vcc_lo, 0xc2ce8ed0, v170
	v_rndne_f32_e32 v172, v171
	v_fma_f32 v173, 0x3fb8aa3b, v170, -v171
	s_delay_alu instid0(VALU_DEP_2) | instskip(NEXT) | instid1(VALU_DEP_2)
	v_sub_f32_e32 v171, v171, v172
	v_fmac_f32_e32 v173, 0x32a5705f, v170
	v_cvt_i32_f32_e32 v172, v172
	s_delay_alu instid0(VALU_DEP_2) | instskip(NEXT) | instid1(VALU_DEP_1)
	v_add_f32_e32 v171, v171, v173
	v_exp_f32_e32 v171, v171
	s_delay_alu instid0(TRANS32_DEP_1) | instskip(SKIP_1) | instid1(VALU_DEP_1)
	v_ldexp_f32 v171, v171, v172
	s_wait_alu 0xfffd
	v_cndmask_b32_e32 v171, 0, v171, vcc_lo
	v_cmp_nlt_f32_e32 vcc_lo, 0x42b17218, v170
	s_wait_alu 0xfffd
	s_delay_alu instid0(VALU_DEP_2) | instskip(NEXT) | instid1(VALU_DEP_1)
	v_cndmask_b32_e32 v170, 0x7f800000, v171, vcc_lo
	v_add_f32_e32 v170, 1.0, v170
	s_delay_alu instid0(VALU_DEP_1) | instskip(NEXT) | instid1(TRANS32_DEP_1)
	v_rcp_f32_e32 v170, v170
	v_fma_f32 v170, v170, -2.0, 1.0
.LBB25_462:                             ;   in Loop: Header=BB25_440 Depth=1
	s_wait_alu 0xfffe
	s_and_not1_saveexec_b32 s0, s0
	s_cbranch_execz .LBB25_464
; %bb.463:                              ;   in Loop: Header=BB25_440 Depth=1
	v_mul_f32_e32 v170, v5, v5
	s_delay_alu instid0(VALU_DEP_1) | instskip(NEXT) | instid1(VALU_DEP_1)
	v_fmaak_f32 v171, s1, v170, 0x3ca908c9
	v_fmaak_f32 v171, v170, v171, 0xbd5c1c4e
	s_delay_alu instid0(VALU_DEP_1) | instskip(NEXT) | instid1(VALU_DEP_1)
	v_fmaak_f32 v171, v170, v171, 0x3e088382
	v_fmaak_f32 v171, v170, v171, 0xbeaaaa99
	s_delay_alu instid0(VALU_DEP_1) | instskip(NEXT) | instid1(VALU_DEP_1)
	v_mul_f32_e64 v171, |v5|, v171
	v_fma_f32 v170, v170, v171, |v5|
.LBB25_464:                             ;   in Loop: Header=BB25_440 Depth=1
	s_wait_alu 0xfffe
	s_or_b32 exec_lo, exec_lo, s0
	v_cmp_ngt_f32_e64 s0, 0x3f200000, |v6|
                                        ; implicit-def: $vgpr171
	s_and_saveexec_b32 s10, s0
	s_wait_alu 0xfffe
	s_xor_b32 s0, exec_lo, s10
	s_cbranch_execz .LBB25_466
; %bb.465:                              ;   in Loop: Header=BB25_440 Depth=1
	v_add_f32_e64 v171, |v6|, |v6|
	s_delay_alu instid0(VALU_DEP_1) | instskip(SKIP_1) | instid1(VALU_DEP_2)
	v_mul_f32_e32 v172, 0x3fb8aa3b, v171
	v_cmp_ngt_f32_e32 vcc_lo, 0xc2ce8ed0, v171
	v_rndne_f32_e32 v173, v172
	v_fma_f32 v174, 0x3fb8aa3b, v171, -v172
	s_delay_alu instid0(VALU_DEP_2) | instskip(NEXT) | instid1(VALU_DEP_2)
	v_sub_f32_e32 v172, v172, v173
	v_fmac_f32_e32 v174, 0x32a5705f, v171
	v_cvt_i32_f32_e32 v173, v173
	s_delay_alu instid0(VALU_DEP_2) | instskip(NEXT) | instid1(VALU_DEP_1)
	v_add_f32_e32 v172, v172, v174
	v_exp_f32_e32 v172, v172
	s_delay_alu instid0(TRANS32_DEP_1) | instskip(SKIP_1) | instid1(VALU_DEP_1)
	v_ldexp_f32 v172, v172, v173
	s_wait_alu 0xfffd
	v_cndmask_b32_e32 v172, 0, v172, vcc_lo
	v_cmp_nlt_f32_e32 vcc_lo, 0x42b17218, v171
	s_wait_alu 0xfffd
	s_delay_alu instid0(VALU_DEP_2) | instskip(NEXT) | instid1(VALU_DEP_1)
	v_cndmask_b32_e32 v171, 0x7f800000, v172, vcc_lo
	v_add_f32_e32 v171, 1.0, v171
	s_delay_alu instid0(VALU_DEP_1) | instskip(NEXT) | instid1(TRANS32_DEP_1)
	v_rcp_f32_e32 v171, v171
	v_fma_f32 v171, v171, -2.0, 1.0
.LBB25_466:                             ;   in Loop: Header=BB25_440 Depth=1
	s_wait_alu 0xfffe
	s_and_not1_saveexec_b32 s0, s0
	s_cbranch_execz .LBB25_468
; %bb.467:                              ;   in Loop: Header=BB25_440 Depth=1
	v_mul_f32_e32 v171, v6, v6
	s_delay_alu instid0(VALU_DEP_1) | instskip(NEXT) | instid1(VALU_DEP_1)
	v_fmaak_f32 v172, s1, v171, 0x3ca908c9
	v_fmaak_f32 v172, v171, v172, 0xbd5c1c4e
	s_delay_alu instid0(VALU_DEP_1) | instskip(NEXT) | instid1(VALU_DEP_1)
	v_fmaak_f32 v172, v171, v172, 0x3e088382
	v_fmaak_f32 v172, v171, v172, 0xbeaaaa99
	s_delay_alu instid0(VALU_DEP_1) | instskip(NEXT) | instid1(VALU_DEP_1)
	v_mul_f32_e64 v172, |v6|, v172
	v_fma_f32 v171, v171, v172, |v6|
.LBB25_468:                             ;   in Loop: Header=BB25_440 Depth=1
	s_wait_alu 0xfffe
	s_or_b32 exec_lo, exec_lo, s0
	v_cmp_ngt_f32_e64 s0, 0x3f200000, |v7|
                                        ; implicit-def: $vgpr172
	s_and_saveexec_b32 s10, s0
	s_wait_alu 0xfffe
	s_xor_b32 s0, exec_lo, s10
	s_cbranch_execz .LBB25_470
; %bb.469:                              ;   in Loop: Header=BB25_440 Depth=1
	v_add_f32_e64 v172, |v7|, |v7|
	s_delay_alu instid0(VALU_DEP_1) | instskip(SKIP_1) | instid1(VALU_DEP_2)
	v_mul_f32_e32 v173, 0x3fb8aa3b, v172
	v_cmp_ngt_f32_e32 vcc_lo, 0xc2ce8ed0, v172
	v_rndne_f32_e32 v174, v173
	v_fma_f32 v175, 0x3fb8aa3b, v172, -v173
	s_delay_alu instid0(VALU_DEP_2) | instskip(NEXT) | instid1(VALU_DEP_2)
	v_sub_f32_e32 v173, v173, v174
	v_fmac_f32_e32 v175, 0x32a5705f, v172
	v_cvt_i32_f32_e32 v174, v174
	s_delay_alu instid0(VALU_DEP_2) | instskip(NEXT) | instid1(VALU_DEP_1)
	v_add_f32_e32 v173, v173, v175
	v_exp_f32_e32 v173, v173
	s_delay_alu instid0(TRANS32_DEP_1) | instskip(SKIP_1) | instid1(VALU_DEP_1)
	v_ldexp_f32 v173, v173, v174
	s_wait_alu 0xfffd
	v_cndmask_b32_e32 v173, 0, v173, vcc_lo
	v_cmp_nlt_f32_e32 vcc_lo, 0x42b17218, v172
	s_wait_alu 0xfffd
	s_delay_alu instid0(VALU_DEP_2) | instskip(NEXT) | instid1(VALU_DEP_1)
	v_cndmask_b32_e32 v172, 0x7f800000, v173, vcc_lo
	v_add_f32_e32 v172, 1.0, v172
	s_delay_alu instid0(VALU_DEP_1) | instskip(NEXT) | instid1(TRANS32_DEP_1)
	v_rcp_f32_e32 v172, v172
	v_fma_f32 v172, v172, -2.0, 1.0
.LBB25_470:                             ;   in Loop: Header=BB25_440 Depth=1
	s_wait_alu 0xfffe
	s_and_not1_saveexec_b32 s0, s0
	s_cbranch_execz .LBB25_472
; %bb.471:                              ;   in Loop: Header=BB25_440 Depth=1
	v_mul_f32_e32 v172, v7, v7
	s_delay_alu instid0(VALU_DEP_1) | instskip(NEXT) | instid1(VALU_DEP_1)
	v_fmaak_f32 v173, s1, v172, 0x3ca908c9
	v_fmaak_f32 v173, v172, v173, 0xbd5c1c4e
	s_delay_alu instid0(VALU_DEP_1) | instskip(NEXT) | instid1(VALU_DEP_1)
	v_fmaak_f32 v173, v172, v173, 0x3e088382
	v_fmaak_f32 v173, v172, v173, 0xbeaaaa99
	s_delay_alu instid0(VALU_DEP_1) | instskip(NEXT) | instid1(VALU_DEP_1)
	v_mul_f32_e64 v173, |v7|, v173
	v_fma_f32 v172, v172, v173, |v7|
.LBB25_472:                             ;   in Loop: Header=BB25_440 Depth=1
	s_wait_alu 0xfffe
	s_or_b32 exec_lo, exec_lo, s0
	s_mul_u64 s[10:11], s[8:9], s[26:27]
	v_add_nc_u32_e32 v205, 0x2200, v159
	s_wait_alu 0xfffe
	s_lshl_b64 s[10:11], s[10:11], 2
	v_add_nc_u32_e32 v207, 0x2208, v159
	s_wait_alu 0xfffe
	s_add_nc_u64 s[10:11], s[2:3], s[10:11]
	v_bfi_b32 v0, 0x7fffffff, v147, v0
	s_wait_alu 0xfffe
	v_add_co_u32 v173, vcc_lo, s10, v97
	s_wait_alu 0xfffd
	v_add_co_ci_u32_e64 v174, null, s11, v98, vcc_lo
	v_add_co_u32 v175, vcc_lo, s10, v99
	s_wait_alu 0xfffd
	v_add_co_ci_u32_e64 v176, null, s11, v100, vcc_lo
	;; [unrolled: 3-line block ×16, first 2 shown]
	s_clause 0x7
	global_load_b128 v[173:176], v[173:174], off
	global_load_b128 v[177:180], v[177:178], off
	;; [unrolled: 1-line block ×8, first 2 shown]
	ds_load_2addr_b32 v[205:206], v205 offset1:1
	ds_load_2addr_b32 v[207:208], v207 offset1:1
	v_bfi_b32 v1, 0x7fffffff, v167, v1
	v_bfi_b32 v2, 0x7fffffff, v168, v2
	;; [unrolled: 1-line block ×7, first 2 shown]
	s_add_co_i32 s42, s42, 1
	s_add_co_i32 s8, s8, 32
	s_wait_alu 0xfffe
	v_cmp_lt_i32_e32 vcc_lo, s42, v144
	s_wait_loadcnt 0x7
	ds_store_b128 v150, v[173:176]
	s_wait_loadcnt 0x6
	ds_store_b128 v151, v[177:180]
	;; [unrolled: 2-line block ×8, first 2 shown]
	s_wait_dscnt 0x9
	v_fma_mix_f32 v0, s33, v0, v205 op_sel_hi:[0,0,1]
	v_fma_mix_f32 v1, s33, v1, v205 op_sel:[0,0,1] op_sel_hi:[0,0,1]
	v_fma_mix_f32 v2, s33, v2, v206 op_sel_hi:[0,0,1]
	v_fma_mix_f32 v3, s33, v3, v206 op_sel:[0,0,1] op_sel_hi:[0,0,1]
	s_wait_dscnt 0x8
	v_fma_mix_f32 v4, s33, v4, v207 op_sel_hi:[0,0,1]
	v_dual_add_f32 v122, 0x40051340, v0 :: v_dual_add_f32 v147, 0x40051340, v1
	v_fma_mix_f32 v5, s33, v5, v207 op_sel:[0,0,1] op_sel_hi:[0,0,1]
	v_dual_add_f32 v167, 0x40051340, v2 :: v_dual_add_f32 v168, 0x40051340, v3
	v_fma_mix_f32 v6, s33, v6, v208 op_sel_hi:[0,0,1]
	s_delay_alu instid0(VALU_DEP_4)
	v_max3_num_f32 v122, v146, v122, v147
	v_fma_mix_f32 v7, s33, v7, v208 op_sel:[0,0,1] op_sel_hi:[0,0,1]
	v_add_f32_e32 v147, 0x40051340, v4
	v_add_f32_e32 v169, 0x40051340, v5
	s_wait_dscnt 0x0
	v_max3_num_f32 v122, v122, v167, v168
	v_dual_add_f32 v167, 0x40051340, v6 :: v_dual_add_f32 v168, 0x40051340, v7
	s_barrier_signal -1
	s_barrier_wait -1
	s_delay_alu instid0(VALU_DEP_2)
	v_max3_num_f32 v122, v122, v147, v169
	global_inv scope:SCOPE_SE
	s_and_b32 vcc_lo, exec_lo, vcc_lo
	v_max3_num_f32 v122, v122, v167, v168
	ds_bpermute_b32 v147, v160, v122
	s_wait_dscnt 0x0
	v_max_num_f32_e32 v147, v147, v147
	s_delay_alu instid0(VALU_DEP_1)
	v_dual_max_num_f32 v147, v122, v147 :: v_dual_add_nc_u32 v122, 0x400, v161
	ds_load_2addr_b32 v[173:174], v161 offset1:16
	ds_load_2addr_b32 v[177:178], v161 offset0:68 offset1:84
	ds_load_2addr_b32 v[179:180], v161 offset0:136 offset1:152
	;; [unrolled: 1-line block ×5, first 2 shown]
	ds_load_2addr_b32 v[185:186], v162 offset1:16
	ds_load_2addr_b32 v[187:188], v163 offset1:16
	ds_load_2addr_b32 v[189:190], v161 offset0:32 offset1:48
	ds_load_2addr_b32 v[193:194], v161 offset0:100 offset1:116
	;; [unrolled: 1-line block ×8, first 2 shown]
	s_wait_loadcnt_dscnt 0x0
	v_sub_f32_e32 v1, v1, v147
	s_barrier_signal -1
	s_barrier_wait -1
	global_inv scope:SCOPE_SE
	v_mul_f32_e32 v168, 0x3fb8aa3b, v1
	v_sub_f32_e32 v0, v0, v147
	v_sub_f32_e32 v4, v4, v147
	;; [unrolled: 1-line block ×4, first 2 shown]
	s_delay_alu instid0(VALU_DEP_4) | instskip(SKIP_1) | instid1(VALU_DEP_4)
	v_dual_sub_f32 v6, v6, v147 :: v_dual_mul_f32 v167, 0x3fb8aa3b, v0
	v_rndne_f32_e32 v211, v168
	v_mul_f32_e32 v172, 0x3fb8aa3b, v5
	v_fma_f32 v210, 0x3fb8aa3b, v1, -v168
	v_mul_f32_e32 v169, 0x3fb8aa3b, v2
	v_fma_f32 v208, 0x3fb8aa3b, v0, -v167
	v_rndne_f32_e32 v209, v167
	s_delay_alu instid0(VALU_DEP_4) | instskip(SKIP_1) | instid1(VALU_DEP_3)
	v_dual_sub_f32 v3, v3, v147 :: v_dual_fmac_f32 v210, 0x32a5705f, v1
	v_fma_f32 v218, 0x3fb8aa3b, v5, -v172
	v_dual_fmac_f32 v208, 0x32a5705f, v0 :: v_dual_sub_f32 v167, v167, v209
	v_sub_f32_e32 v168, v168, v211
	s_delay_alu instid0(VALU_DEP_4) | instskip(SKIP_3) | instid1(VALU_DEP_3)
	v_dual_mul_f32 v170, 0x3fb8aa3b, v3 :: v_dual_mul_f32 v205, 0x3fb8aa3b, v6
	v_fma_f32 v212, 0x3fb8aa3b, v2, -v169
	v_rndne_f32_e32 v213, v169
	v_dual_fmac_f32 v218, 0x32a5705f, v5 :: v_dual_add_f32 v167, v167, v208
	v_dual_sub_f32 v7, v7, v147 :: v_dual_fmac_f32 v212, 0x32a5705f, v2
	v_dual_sub_f32 v146, v146, v147 :: v_dual_mul_f32 v171, 0x3fb8aa3b, v4
	v_fma_f32 v214, 0x3fb8aa3b, v3, -v170
	v_rndne_f32_e32 v215, v170
	v_fma_f32 v220, 0x3fb8aa3b, v6, -v205
	v_dual_sub_f32 v169, v169, v213 :: v_dual_add_f32 v168, v168, v210
	v_exp_f32_e32 v167, v167
	v_dual_mul_f32 v206, 0x3fb8aa3b, v7 :: v_dual_mul_f32 v207, 0x3fb8aa3b, v146
	v_fma_f32 v216, 0x3fb8aa3b, v4, -v171
	v_rndne_f32_e32 v217, v171
	v_cvt_i32_f32_e32 v209, v209
	v_fmac_f32_e32 v214, 0x32a5705f, v3
	v_sub_f32_e32 v170, v170, v215
	v_dual_fmac_f32 v220, 0x32a5705f, v6 :: v_dual_add_f32 v169, v169, v212
	v_exp_f32_e32 v168, v168
	v_rndne_f32_e32 v219, v172
	v_rndne_f32_e32 v221, v205
	v_fma_f32 v222, 0x3fb8aa3b, v7, -v206
	v_cvt_i32_f32_e32 v211, v211
	v_dual_fmac_f32 v216, 0x32a5705f, v4 :: v_dual_sub_f32 v171, v171, v217
	v_add_f32_e32 v170, v170, v214
	v_exp_f32_e32 v169, v169
	v_ldexp_f32 v167, v167, v209
	v_cmp_ngt_f32_e64 s0, 0xc2ce8ed0, v0
	v_fma_f32 v224, 0x3fb8aa3b, v146, -v207
	v_rndne_f32_e32 v225, v207
	v_cvt_i32_f32_e32 v213, v213
	v_dual_sub_f32 v172, v172, v219 :: v_dual_sub_f32 v205, v205, v221
	v_dual_fmac_f32 v222, 0x32a5705f, v7 :: v_dual_add_f32 v171, v171, v216
	v_exp_f32_e32 v170, v170
	v_ldexp_f32 v168, v168, v211
	s_wait_alu 0xf1ff
	v_cndmask_b32_e64 v167, 0, v167, s0
	v_cmp_ngt_f32_e64 s0, 0xc2ce8ed0, v1
	v_rndne_f32_e32 v223, v206
	v_cvt_i32_f32_e32 v215, v215
	v_dual_fmac_f32 v224, 0x32a5705f, v146 :: v_dual_sub_f32 v207, v207, v225
	v_add_f32_e32 v172, v172, v218
	v_exp_f32_e32 v171, v171
	v_ldexp_f32 v169, v169, v213
	s_wait_alu 0xf1ff
	v_cndmask_b32_e64 v168, 0, v168, s0
	v_cmp_ngt_f32_e64 s0, 0xc2ce8ed0, v2
	v_cvt_i32_f32_e32 v217, v217
	v_dual_sub_f32 v206, v206, v223 :: v_dual_add_f32 v205, v205, v220
	v_add_f32_e32 v207, v207, v224
	v_exp_f32_e32 v172, v172
	v_ldexp_f32 v170, v170, v215
	s_wait_alu 0xf1ff
	v_cndmask_b32_e64 v169, 0, v169, s0
	v_cmp_ngt_f32_e64 s0, 0xc2ce8ed0, v3
	v_cvt_i32_f32_e32 v219, v219
	v_add_f32_e32 v206, v206, v222
	v_exp_f32_e32 v205, v205
	v_ldexp_f32 v171, v171, v217
	s_wait_alu 0xf1ff
	v_cndmask_b32_e64 v170, 0, v170, s0
	v_cmp_ngt_f32_e64 s0, 0xc2ce8ed0, v4
	v_cvt_i32_f32_e32 v221, v221
	v_exp_f32_e32 v206, v206
	v_ldexp_f32 v172, v172, v219
	v_cvt_i32_f32_e32 v223, v223
	s_wait_alu 0xf1ff
	v_cndmask_b32_e64 v171, 0, v171, s0
	v_cmp_ngt_f32_e64 s0, 0xc2ce8ed0, v5
	v_exp_f32_e32 v207, v207
	v_ldexp_f32 v205, v205, v221
	v_cvt_i32_f32_e32 v208, v225
	s_wait_alu 0xf1ff
	v_cndmask_b32_e64 v172, 0, v172, s0
	v_cmp_ngt_f32_e64 s0, 0xc2ce8ed0, v6
	v_ldexp_f32 v206, v206, v223
	s_wait_alu 0xf1ff
	s_delay_alu instid0(VALU_DEP_2) | instskip(SKIP_3) | instid1(VALU_DEP_2)
	v_cndmask_b32_e64 v205, 0, v205, s0
	v_cmp_ngt_f32_e64 s0, 0xc2ce8ed0, v7
	v_ldexp_f32 v207, v207, v208
	s_wait_alu 0xf1ff
	v_cndmask_b32_e64 v206, 0, v206, s0
	v_cmp_ngt_f32_e64 s0, 0xc2ce8ed0, v146
	s_wait_alu 0xf1ff
	s_delay_alu instid0(VALU_DEP_1) | instskip(SKIP_2) | instid1(VALU_DEP_1)
	v_cndmask_b32_e64 v207, 0, v207, s0
	v_cmp_nlt_f32_e64 s0, 0x42b17218, v0
	s_wait_alu 0xf1ff
	v_cndmask_b32_e64 v0, 0x7f800000, v167, s0
	v_cmp_nlt_f32_e64 s0, 0x42b17218, v1
	s_wait_alu 0xf1ff
	s_delay_alu instid0(VALU_DEP_1) | instskip(SKIP_1) | instid1(VALU_DEP_2)
	v_cndmask_b32_e64 v1, 0x7f800000, v168, s0
	v_cmp_nlt_f32_e64 s0, 0x42b17218, v2
	v_add_f32_e32 v168, v0, v1
	s_wait_alu 0xf1ff
	s_delay_alu instid0(VALU_DEP_2) | instskip(SKIP_3) | instid1(VALU_DEP_2)
	v_cndmask_b32_e64 v2, 0x7f800000, v169, s0
	v_cmp_nlt_f32_e64 s0, 0x42b17218, v3
	v_cvt_f16_f32_e32 v0, v0
	s_wait_alu 0xf1ff
	v_cndmask_b32_e64 v3, 0x7f800000, v170, s0
	v_cmp_nlt_f32_e64 s0, 0x42b17218, v4
	s_delay_alu instid0(VALU_DEP_2) | instskip(SKIP_1) | instid1(VALU_DEP_2)
	v_cvt_f16_f32_e64 v169, v3
	s_wait_alu 0xf1ff
	v_cndmask_b32_e64 v4, 0x7f800000, v171, s0
	v_cmp_nlt_f32_e64 s0, 0x42b17218, v5
	s_delay_alu instid0(VALU_DEP_2) | instskip(SKIP_1) | instid1(VALU_DEP_2)
	v_cvt_f16_f32_e64 v170, v4
	;; [unrolled: 5-line block ×4, first 2 shown]
	s_wait_alu 0xf1ff
	v_cndmask_b32_e64 v167, 0x7f800000, v207, s0
	v_cmp_nlt_f32_e64 s0, 0x42b17218, v7
	s_wait_alu 0xf1ff
	s_delay_alu instid0(VALU_DEP_1)
	v_cndmask_b32_e64 v7, 0x7f800000, v206, s0
	v_cmp_le_f32_e64 s0, 0xc1a00000, v146
	v_cvt_f16_f32_e64 v146, v2
	v_add_f32_e32 v2, v2, v168
	v_cvt_f16_f32_e64 v206, v1
	v_cvt_f16_f32_e64 v205, v7
	s_wait_alu 0xf1ff
	v_cndmask_b32_e64 v167, 0, v167, s0
	v_perm_b32 v1, v169, v146, 0x5040100
	v_add_f32_e32 v2, v3, v2
	v_perm_b32 v0, v206, v0, 0x5040100
	v_perm_b32 v3, v205, v172, 0x5040100
	v_cvt_f16_f32_e64 v168, v167
	v_perm_b32 v169, v187, v185, 0x5040100
	v_add_f32_e32 v4, v4, v2
	v_perm_b32 v2, v171, v170, 0x5040100
	v_perm_b32 v170, v178, v174, 0x7060302
	v_and_b32_e32 v168, 0xffff, v168
	v_perm_b32 v171, v182, v180, 0x7060302
	v_add_f32_e32 v4, v5, v4
	v_perm_b32 v5, v181, v179, 0x7060302
	v_perm_b32 v172, v184, v176, 0x7060302
	v_mul_u32_u24_e32 v168, 0x10001, v168
	v_perm_b32 v176, v184, v176, 0x5040100
	v_add_f32_e32 v4, v6, v4
	v_perm_b32 v6, v183, v175, 0x7060302
	v_perm_b32 v174, v178, v174, 0x5040100
	v_pk_mul_f16 v36, v36, v168
	v_pk_mul_f16 v37, v37, v168
	v_add_f32_e32 v146, v7, v4
	v_pk_mul_f16 v38, v38, v168
	v_pk_mul_f16 v39, v39, v168
	;; [unrolled: 1-line block ×30, first 2 shown]
	v_fmac_f32_e32 v146, v166, v167
	v_perm_b32 v4, v177, v173, 0x7060302
	v_perm_b32 v7, v187, v185, 0x7060302
	;; [unrolled: 1-line block ×24, first 2 shown]
	v_wmma_f16_16x16x16_f16 v[36:39], v[166:169], v[0:3], v[36:39]
	v_wmma_f16_16x16x16_f16 v[28:31], v[4:7], v[0:3], v[28:31]
	;; [unrolled: 1-line block ×8, first 2 shown]
	s_wait_alu 0xfffe
	s_cbranch_vccz .LBB25_475
; %bb.473:                              ;   in Loop: Header=BB25_440 Depth=1
	v_mov_b32_e32 v166, v146
	v_mov_b32_e32 v146, v147
	s_branch .LBB25_440
.LBB25_474:
	v_mov_b32_e32 v31, 0
	s_delay_alu instid0(VALU_DEP_1) | instskip(NEXT) | instid1(VALU_DEP_1)
	v_dual_mov_b32 v39, 0 :: v_dual_mov_b32 v30, v31
	v_dual_mov_b32 v147, 0xfeffffff :: v_dual_mov_b32 v36, v39
	;; [unrolled: 1-line block ×16, first 2 shown]
	s_branch .LBB25_476
.LBB25_475:
	v_dual_mov_b32 v0, s36 :: v_dual_mov_b32 v1, s37
.LBB25_476:
	s_lshl_b32 s0, s42, 5
	v_lshlrev_b64_e32 v[3:4], 1, v[91:92]
	s_wait_alu 0xfffe
	s_ashr_i32 s1, s0, 31
	v_mul_lo_u32 v5, s0, v1
	s_wait_alu 0xfffe
	v_mul_lo_u32 v6, s1, v0
	s_lshl_b64 s[8:9], s[0:1], 1
	v_lshlrev_b64_e32 v[1:2], 1, v[87:88]
	v_mul_hi_u32 v87, s0, v0
	s_wait_alu 0xfffe
	s_add_nc_u64 s[6:7], s[6:7], s[8:9]
	v_mul_lo_u32 v0, s0, v0
	s_wait_alu 0xfffe
	v_add_co_u32 v7, s6, s6, v141
	v_add_nc_u32_e32 v88, v5, v6
	s_wait_alu 0xf1ff
	v_add_co_ci_u32_e64 v97, null, s7, 0, s6
	s_delay_alu instid0(VALU_DEP_3) | instskip(NEXT) | instid1(VALU_DEP_3)
	v_add_co_u32 v5, vcc_lo, v7, v1
	v_add_nc_u32_e32 v1, v88, v87
	s_wait_alu 0xfffd
	s_delay_alu instid0(VALU_DEP_3) | instskip(SKIP_1) | instid1(VALU_DEP_3)
	v_add_co_ci_u32_e64 v6, null, v97, v2, vcc_lo
	v_add_co_u32 v2, vcc_lo, v7, v3
	v_lshlrev_b64_e32 v[0:1], 2, v[0:1]
	s_wait_alu 0xfffd
	v_add_co_ci_u32_e64 v3, null, v97, v4, vcc_lo
	s_clause 0x1
	global_load_b32 v110, v[5:6], off
	global_load_b32 v111, v[2:3], off
	v_lshlrev_b64_e32 v[2:3], 2, v[77:78]
	v_add_co_u32 v87, vcc_lo, s4, v0
	s_wait_alu 0xfffd
	v_add_co_ci_u32_e64 v88, null, s5, v1, vcc_lo
	v_lshlrev_b64_e32 v[76:77], 2, v[75:76]
	s_delay_alu instid0(VALU_DEP_3) | instskip(SKIP_3) | instid1(VALU_DEP_3)
	v_add_co_u32 v2, vcc_lo, v87, v2
	v_lshlrev_b64_e32 v[0:1], 2, v[79:80]
	s_wait_alu 0xfffd
	v_add_co_ci_u32_e64 v3, null, v88, v3, vcc_lo
	v_add_co_u32 v2, vcc_lo, v2, v76
	s_wait_alu 0xfffd
	s_delay_alu instid0(VALU_DEP_2) | instskip(SKIP_4) | instid1(VALU_DEP_3)
	v_add_co_ci_u32_e64 v3, null, v3, v77, vcc_lo
	v_add_co_u32 v4, vcc_lo, v87, v0
	s_wait_alu 0xfffd
	v_add_co_ci_u32_e64 v5, null, v88, v1, vcc_lo
	v_lshlrev_b64_e32 v[0:1], 2, v[81:82]
	v_add_co_u32 v4, vcc_lo, v4, v76
	s_wait_alu 0xfffd
	s_delay_alu instid0(VALU_DEP_3) | instskip(NEXT) | instid1(VALU_DEP_3)
	v_add_co_ci_u32_e64 v5, null, v5, v77, vcc_lo
	v_add_co_u32 v6, vcc_lo, v87, v0
	s_wait_alu 0xfffd
	v_add_co_ci_u32_e64 v7, null, v88, v1, vcc_lo
	v_lshlrev_b64_e32 v[0:1], 2, v[83:84]
	s_delay_alu instid0(VALU_DEP_3) | instskip(SKIP_1) | instid1(VALU_DEP_3)
	v_add_co_u32 v78, vcc_lo, v6, v76
	s_wait_alu 0xfffd
	v_add_co_ci_u32_e64 v79, null, v7, v77, vcc_lo
	s_delay_alu instid0(VALU_DEP_3) | instskip(SKIP_3) | instid1(VALU_DEP_3)
	v_add_co_u32 v6, vcc_lo, v87, v0
	s_wait_alu 0xfffd
	v_add_co_ci_u32_e64 v7, null, v88, v1, vcc_lo
	v_lshlrev_b64_e32 v[0:1], 2, v[85:86]
	v_add_co_u32 v80, vcc_lo, v6, v76
	s_wait_alu 0xfffd
	s_delay_alu instid0(VALU_DEP_3) | instskip(NEXT) | instid1(VALU_DEP_3)
	v_add_co_ci_u32_e64 v81, null, v7, v77, vcc_lo
	v_add_co_u32 v6, vcc_lo, v87, v0
	s_wait_alu 0xfffd
	v_add_co_ci_u32_e64 v7, null, v88, v1, vcc_lo
	v_lshlrev_b64_e32 v[0:1], 2, v[89:90]
	s_delay_alu instid0(VALU_DEP_3) | instskip(SKIP_1) | instid1(VALU_DEP_3)
	v_add_co_u32 v82, vcc_lo, v6, v76
	s_wait_alu 0xfffd
	v_add_co_ci_u32_e64 v83, null, v7, v77, vcc_lo
	s_delay_alu instid0(VALU_DEP_3) | instskip(SKIP_3) | instid1(VALU_DEP_3)
	v_add_co_u32 v6, vcc_lo, v87, v0
	s_wait_alu 0xfffd
	v_add_co_ci_u32_e64 v7, null, v88, v1, vcc_lo
	v_lshlrev_b64_e32 v[0:1], 2, v[93:94]
	v_add_co_u32 v84, vcc_lo, v6, v76
	s_wait_alu 0xfffd
	s_delay_alu instid0(VALU_DEP_3) | instskip(SKIP_1) | instid1(VALU_DEP_4)
	v_add_co_ci_u32_e64 v85, null, v7, v77, vcc_lo
	v_lshlrev_b64_e32 v[6:7], 2, v[95:96]
	v_add_co_u32 v0, vcc_lo, v87, v0
	s_wait_alu 0xfffd
	v_add_co_ci_u32_e64 v1, null, v88, v1, vcc_lo
	s_delay_alu instid0(VALU_DEP_3)
	v_add_co_u32 v6, vcc_lo, v87, v6
	s_wait_alu 0xfffd
	v_add_co_ci_u32_e64 v7, null, v88, v7, vcc_lo
	v_add_co_u32 v102, vcc_lo, v0, v76
	s_wait_alu 0xfffd
	v_add_co_ci_u32_e64 v103, null, v1, v77, vcc_lo
	;; [unrolled: 3-line block ×3, first 2 shown]
	s_clause 0x7
	global_load_b128 v[0:3], v[2:3], off
	global_load_b128 v[4:7], v[4:5], off
	;; [unrolled: 1-line block ×8, first 2 shown]
	v_add_nc_u32_e32 v78, 0, v141
	v_add_nc_u32_e32 v85, 0, v145
	v_lshlrev_b32_e32 v84, 2, v75
	s_delay_alu instid0(VALU_DEP_3) | instskip(NEXT) | instid1(VALU_DEP_3)
	v_add_nc_u32_e32 v112, v78, v133
	v_add3_u32 v131, v85, v131, v132
	v_add_nc_u32_e32 v122, v78, v135
	s_delay_alu instid0(VALU_DEP_4)
	v_add3_u32 v75, 0, v134, v84
	v_add3_u32 v78, 0, v136, v84
	;; [unrolled: 1-line block ×8, first 2 shown]
	s_wait_loadcnt 0x9
	ds_store_b32 v112, v110 offset:8704
	s_wait_loadcnt 0x8
	ds_store_b32 v122, v111 offset:8704
	s_wait_loadcnt 0x7
	ds_store_b128 v75, v[0:3]
	s_wait_loadcnt 0x6
	ds_store_b128 v78, v[4:7]
	;; [unrolled: 2-line block ×8, first 2 shown]
	s_wait_dscnt 0x0
	s_barrier_signal -1
	s_barrier_wait -1
	global_inv scope:SCOPE_SE
	ds_load_b128 v[86:89], v131
	ds_load_b128 v[90:93], v131 offset:32
	ds_load_b128 v[94:97], v131 offset:64
	;; [unrolled: 1-line block ×3, first 2 shown]
	s_wait_dscnt 0x3
	v_wmma_f32_16x16x16_f16 v[0:7], v[86:89], v[68:71], 0
	ds_load_b128 v[68:71], v131 offset:128
	s_wait_dscnt 0x3
	v_wmma_f32_16x16x16_f16 v[0:7], v[90:93], v[64:67], v[0:7]
	ds_load_b128 v[64:67], v131 offset:160
	;; [unrolled: 3-line block ×4, first 2 shown]
	s_wait_loadcnt_dscnt 0x0
	s_barrier_signal -1
	s_barrier_wait -1
	global_inv scope:SCOPE_SE
	v_wmma_f32_16x16x16_f16 v[0:7], v[68:71], v[44:47], v[0:7]
	s_delay_alu instid0(VALU_DEP_1) | instskip(NEXT) | instid1(VALU_DEP_1)
	v_wmma_f32_16x16x16_f16 v[0:7], v[64:67], v[48:51], v[0:7]
	v_wmma_f32_16x16x16_f16 v[0:7], v[60:63], v[52:55], v[0:7]
	s_delay_alu instid0(VALU_DEP_1) | instskip(NEXT) | instid1(VALU_DEP_1)
	v_wmma_f32_16x16x16_f16 v[0:7], v[56:59], v[40:43], v[0:7]
                                        ; implicit-def: $vgpr40
	v_cmp_ngt_f32_e64 s4, 0x3f200000, |v0|
	s_and_saveexec_b32 s5, s4
	s_wait_alu 0xfffe
	s_xor_b32 s4, exec_lo, s5
	s_cbranch_execz .LBB25_478
; %bb.477:
	v_add_f32_e64 v40, |v0|, |v0|
	s_delay_alu instid0(VALU_DEP_1) | instskip(SKIP_1) | instid1(VALU_DEP_2)
	v_mul_f32_e32 v41, 0x3fb8aa3b, v40
	v_cmp_ngt_f32_e32 vcc_lo, 0xc2ce8ed0, v40
	v_rndne_f32_e32 v42, v41
	v_fma_f32 v43, 0x3fb8aa3b, v40, -v41
	s_delay_alu instid0(VALU_DEP_2) | instskip(NEXT) | instid1(VALU_DEP_2)
	v_sub_f32_e32 v41, v41, v42
	v_fmamk_f32 v43, v40, 0x32a5705f, v43
	v_cvt_i32_f32_e32 v42, v42
	s_delay_alu instid0(VALU_DEP_2) | instskip(NEXT) | instid1(VALU_DEP_1)
	v_add_f32_e32 v41, v41, v43
	v_exp_f32_e32 v41, v41
	s_delay_alu instid0(TRANS32_DEP_1) | instskip(SKIP_1) | instid1(VALU_DEP_1)
	v_ldexp_f32 v41, v41, v42
	s_wait_alu 0xfffd
	v_cndmask_b32_e32 v41, 0, v41, vcc_lo
	v_cmp_nlt_f32_e32 vcc_lo, 0x42b17218, v40
	s_wait_alu 0xfffd
	s_delay_alu instid0(VALU_DEP_2) | instskip(NEXT) | instid1(VALU_DEP_1)
	v_cndmask_b32_e32 v40, 0x7f800000, v41, vcc_lo
	v_add_f32_e32 v40, 1.0, v40
	s_delay_alu instid0(VALU_DEP_1) | instskip(NEXT) | instid1(TRANS32_DEP_1)
	v_rcp_f32_e32 v40, v40
	v_fma_f32 v40, v40, -2.0, 1.0
.LBB25_478:
	s_wait_alu 0xfffe
	s_and_not1_saveexec_b32 s4, s4
	s_cbranch_execz .LBB25_480
; %bb.479:
	v_mul_f32_e32 v40, v0, v0
	s_mov_b32 s5, 0xbbbac73d
	s_wait_alu 0xfffe
	s_delay_alu instid0(VALU_DEP_1) | instskip(NEXT) | instid1(VALU_DEP_1)
	v_fmaak_f32 v41, s5, v40, 0x3ca908c9
	v_fmaak_f32 v41, v40, v41, 0xbd5c1c4e
	s_delay_alu instid0(VALU_DEP_1) | instskip(NEXT) | instid1(VALU_DEP_1)
	v_fmaak_f32 v41, v40, v41, 0x3e088382
	v_fmaak_f32 v41, v40, v41, 0xbeaaaa99
	s_delay_alu instid0(VALU_DEP_1) | instskip(NEXT) | instid1(VALU_DEP_1)
	v_mul_f32_e64 v41, |v0|, v41
	v_fma_f32 v40, v40, v41, |v0|
.LBB25_480:
	s_wait_alu 0xfffe
	s_or_b32 exec_lo, exec_lo, s4
	v_cmp_ngt_f32_e64 s4, 0x3f200000, |v1|
                                        ; implicit-def: $vgpr41
	s_and_saveexec_b32 s5, s4
	s_wait_alu 0xfffe
	s_xor_b32 s4, exec_lo, s5
	s_cbranch_execz .LBB25_482
; %bb.481:
	v_add_f32_e64 v41, |v1|, |v1|
	s_delay_alu instid0(VALU_DEP_1) | instskip(SKIP_1) | instid1(VALU_DEP_2)
	v_mul_f32_e32 v42, 0x3fb8aa3b, v41
	v_cmp_ngt_f32_e32 vcc_lo, 0xc2ce8ed0, v41
	v_rndne_f32_e32 v43, v42
	v_fma_f32 v44, 0x3fb8aa3b, v41, -v42
	s_delay_alu instid0(VALU_DEP_2) | instskip(NEXT) | instid1(VALU_DEP_2)
	v_sub_f32_e32 v42, v42, v43
	v_fmamk_f32 v44, v41, 0x32a5705f, v44
	v_cvt_i32_f32_e32 v43, v43
	s_delay_alu instid0(VALU_DEP_2) | instskip(NEXT) | instid1(VALU_DEP_1)
	v_add_f32_e32 v42, v42, v44
	v_exp_f32_e32 v42, v42
	s_delay_alu instid0(TRANS32_DEP_1) | instskip(SKIP_1) | instid1(VALU_DEP_1)
	v_ldexp_f32 v42, v42, v43
	s_wait_alu 0xfffd
	v_cndmask_b32_e32 v42, 0, v42, vcc_lo
	v_cmp_nlt_f32_e32 vcc_lo, 0x42b17218, v41
	s_wait_alu 0xfffd
	s_delay_alu instid0(VALU_DEP_2) | instskip(NEXT) | instid1(VALU_DEP_1)
	v_cndmask_b32_e32 v41, 0x7f800000, v42, vcc_lo
	v_add_f32_e32 v41, 1.0, v41
	s_delay_alu instid0(VALU_DEP_1) | instskip(NEXT) | instid1(TRANS32_DEP_1)
	v_rcp_f32_e32 v41, v41
	v_fma_f32 v41, v41, -2.0, 1.0
.LBB25_482:
	s_wait_alu 0xfffe
	s_and_not1_saveexec_b32 s4, s4
	s_cbranch_execz .LBB25_484
; %bb.483:
	v_mul_f32_e32 v41, v1, v1
	s_mov_b32 s5, 0xbbbac73d
	s_wait_alu 0xfffe
	s_delay_alu instid0(VALU_DEP_1) | instskip(NEXT) | instid1(VALU_DEP_1)
	v_fmaak_f32 v42, s5, v41, 0x3ca908c9
	v_fmaak_f32 v42, v41, v42, 0xbd5c1c4e
	s_delay_alu instid0(VALU_DEP_1) | instskip(NEXT) | instid1(VALU_DEP_1)
	v_fmaak_f32 v42, v41, v42, 0x3e088382
	v_fmaak_f32 v42, v41, v42, 0xbeaaaa99
	s_delay_alu instid0(VALU_DEP_1) | instskip(NEXT) | instid1(VALU_DEP_1)
	v_mul_f32_e64 v42, |v1|, v42
	v_fma_f32 v41, v41, v42, |v1|
.LBB25_484:
	s_wait_alu 0xfffe
	s_or_b32 exec_lo, exec_lo, s4
	v_cmp_ngt_f32_e64 s4, 0x3f200000, |v2|
                                        ; implicit-def: $vgpr42
	s_and_saveexec_b32 s5, s4
	s_wait_alu 0xfffe
	s_xor_b32 s4, exec_lo, s5
	s_cbranch_execz .LBB25_486
; %bb.485:
	v_add_f32_e64 v42, |v2|, |v2|
	s_delay_alu instid0(VALU_DEP_1) | instskip(SKIP_1) | instid1(VALU_DEP_2)
	v_mul_f32_e32 v43, 0x3fb8aa3b, v42
	v_cmp_ngt_f32_e32 vcc_lo, 0xc2ce8ed0, v42
	v_rndne_f32_e32 v44, v43
	v_fma_f32 v45, 0x3fb8aa3b, v42, -v43
	s_delay_alu instid0(VALU_DEP_2) | instskip(NEXT) | instid1(VALU_DEP_2)
	v_sub_f32_e32 v43, v43, v44
	v_fmamk_f32 v45, v42, 0x32a5705f, v45
	v_cvt_i32_f32_e32 v44, v44
	s_delay_alu instid0(VALU_DEP_2) | instskip(NEXT) | instid1(VALU_DEP_1)
	v_add_f32_e32 v43, v43, v45
	v_exp_f32_e32 v43, v43
	s_delay_alu instid0(TRANS32_DEP_1) | instskip(SKIP_1) | instid1(VALU_DEP_1)
	v_ldexp_f32 v43, v43, v44
	s_wait_alu 0xfffd
	v_cndmask_b32_e32 v43, 0, v43, vcc_lo
	v_cmp_nlt_f32_e32 vcc_lo, 0x42b17218, v42
	s_wait_alu 0xfffd
	s_delay_alu instid0(VALU_DEP_2) | instskip(NEXT) | instid1(VALU_DEP_1)
	v_cndmask_b32_e32 v42, 0x7f800000, v43, vcc_lo
	v_add_f32_e32 v42, 1.0, v42
	s_delay_alu instid0(VALU_DEP_1) | instskip(NEXT) | instid1(TRANS32_DEP_1)
	v_rcp_f32_e32 v42, v42
	v_fma_f32 v42, v42, -2.0, 1.0
.LBB25_486:
	s_wait_alu 0xfffe
	s_and_not1_saveexec_b32 s4, s4
	s_cbranch_execz .LBB25_488
; %bb.487:
	v_mul_f32_e32 v42, v2, v2
	s_mov_b32 s5, 0xbbbac73d
	s_wait_alu 0xfffe
	s_delay_alu instid0(VALU_DEP_1) | instskip(NEXT) | instid1(VALU_DEP_1)
	v_fmaak_f32 v43, s5, v42, 0x3ca908c9
	v_fmaak_f32 v43, v42, v43, 0xbd5c1c4e
	s_delay_alu instid0(VALU_DEP_1) | instskip(NEXT) | instid1(VALU_DEP_1)
	v_fmaak_f32 v43, v42, v43, 0x3e088382
	v_fmaak_f32 v43, v42, v43, 0xbeaaaa99
	s_delay_alu instid0(VALU_DEP_1) | instskip(NEXT) | instid1(VALU_DEP_1)
	v_mul_f32_e64 v43, |v2|, v43
	v_fma_f32 v42, v42, v43, |v2|
.LBB25_488:
	s_wait_alu 0xfffe
	s_or_b32 exec_lo, exec_lo, s4
	v_cmp_ngt_f32_e64 s4, 0x3f200000, |v3|
                                        ; implicit-def: $vgpr43
	s_and_saveexec_b32 s5, s4
	s_wait_alu 0xfffe
	s_xor_b32 s4, exec_lo, s5
	s_cbranch_execz .LBB25_490
; %bb.489:
	v_add_f32_e64 v43, |v3|, |v3|
	s_delay_alu instid0(VALU_DEP_1) | instskip(SKIP_1) | instid1(VALU_DEP_2)
	v_mul_f32_e32 v44, 0x3fb8aa3b, v43
	v_cmp_ngt_f32_e32 vcc_lo, 0xc2ce8ed0, v43
	v_rndne_f32_e32 v45, v44
	v_fma_f32 v46, 0x3fb8aa3b, v43, -v44
	s_delay_alu instid0(VALU_DEP_2) | instskip(NEXT) | instid1(VALU_DEP_2)
	v_sub_f32_e32 v44, v44, v45
	v_fmamk_f32 v46, v43, 0x32a5705f, v46
	v_cvt_i32_f32_e32 v45, v45
	s_delay_alu instid0(VALU_DEP_2) | instskip(NEXT) | instid1(VALU_DEP_1)
	v_add_f32_e32 v44, v44, v46
	v_exp_f32_e32 v44, v44
	s_delay_alu instid0(TRANS32_DEP_1) | instskip(SKIP_1) | instid1(VALU_DEP_1)
	v_ldexp_f32 v44, v44, v45
	s_wait_alu 0xfffd
	v_cndmask_b32_e32 v44, 0, v44, vcc_lo
	v_cmp_nlt_f32_e32 vcc_lo, 0x42b17218, v43
	s_wait_alu 0xfffd
	s_delay_alu instid0(VALU_DEP_2) | instskip(NEXT) | instid1(VALU_DEP_1)
	v_cndmask_b32_e32 v43, 0x7f800000, v44, vcc_lo
	v_add_f32_e32 v43, 1.0, v43
	s_delay_alu instid0(VALU_DEP_1) | instskip(NEXT) | instid1(TRANS32_DEP_1)
	v_rcp_f32_e32 v43, v43
	v_fma_f32 v43, v43, -2.0, 1.0
.LBB25_490:
	s_wait_alu 0xfffe
	s_and_not1_saveexec_b32 s4, s4
	s_cbranch_execz .LBB25_492
; %bb.491:
	v_mul_f32_e32 v43, v3, v3
	s_mov_b32 s5, 0xbbbac73d
	s_wait_alu 0xfffe
	s_delay_alu instid0(VALU_DEP_1) | instskip(NEXT) | instid1(VALU_DEP_1)
	v_fmaak_f32 v44, s5, v43, 0x3ca908c9
	v_fmaak_f32 v44, v43, v44, 0xbd5c1c4e
	s_delay_alu instid0(VALU_DEP_1) | instskip(NEXT) | instid1(VALU_DEP_1)
	v_fmaak_f32 v44, v43, v44, 0x3e088382
	v_fmaak_f32 v44, v43, v44, 0xbeaaaa99
	s_delay_alu instid0(VALU_DEP_1) | instskip(NEXT) | instid1(VALU_DEP_1)
	v_mul_f32_e64 v44, |v3|, v44
	v_fma_f32 v43, v43, v44, |v3|
.LBB25_492:
	s_wait_alu 0xfffe
	s_or_b32 exec_lo, exec_lo, s4
	v_cmp_ngt_f32_e64 s4, 0x3f200000, |v4|
                                        ; implicit-def: $vgpr44
	s_and_saveexec_b32 s5, s4
	s_wait_alu 0xfffe
	s_xor_b32 s4, exec_lo, s5
	s_cbranch_execz .LBB25_494
; %bb.493:
	v_add_f32_e64 v44, |v4|, |v4|
	s_delay_alu instid0(VALU_DEP_1) | instskip(SKIP_1) | instid1(VALU_DEP_2)
	v_mul_f32_e32 v45, 0x3fb8aa3b, v44
	v_cmp_ngt_f32_e32 vcc_lo, 0xc2ce8ed0, v44
	v_rndne_f32_e32 v46, v45
	v_fma_f32 v47, 0x3fb8aa3b, v44, -v45
	s_delay_alu instid0(VALU_DEP_2) | instskip(NEXT) | instid1(VALU_DEP_2)
	v_sub_f32_e32 v45, v45, v46
	v_fmamk_f32 v47, v44, 0x32a5705f, v47
	v_cvt_i32_f32_e32 v46, v46
	s_delay_alu instid0(VALU_DEP_2) | instskip(NEXT) | instid1(VALU_DEP_1)
	v_add_f32_e32 v45, v45, v47
	v_exp_f32_e32 v45, v45
	s_delay_alu instid0(TRANS32_DEP_1) | instskip(SKIP_1) | instid1(VALU_DEP_1)
	v_ldexp_f32 v45, v45, v46
	s_wait_alu 0xfffd
	v_cndmask_b32_e32 v45, 0, v45, vcc_lo
	v_cmp_nlt_f32_e32 vcc_lo, 0x42b17218, v44
	s_wait_alu 0xfffd
	s_delay_alu instid0(VALU_DEP_2) | instskip(NEXT) | instid1(VALU_DEP_1)
	v_cndmask_b32_e32 v44, 0x7f800000, v45, vcc_lo
	v_add_f32_e32 v44, 1.0, v44
	s_delay_alu instid0(VALU_DEP_1) | instskip(NEXT) | instid1(TRANS32_DEP_1)
	v_rcp_f32_e32 v44, v44
	v_fma_f32 v44, v44, -2.0, 1.0
.LBB25_494:
	s_wait_alu 0xfffe
	s_and_not1_saveexec_b32 s4, s4
	s_cbranch_execz .LBB25_496
; %bb.495:
	v_mul_f32_e32 v44, v4, v4
	s_mov_b32 s5, 0xbbbac73d
	s_wait_alu 0xfffe
	s_delay_alu instid0(VALU_DEP_1) | instskip(NEXT) | instid1(VALU_DEP_1)
	v_fmaak_f32 v45, s5, v44, 0x3ca908c9
	v_fmaak_f32 v45, v44, v45, 0xbd5c1c4e
	s_delay_alu instid0(VALU_DEP_1) | instskip(NEXT) | instid1(VALU_DEP_1)
	v_fmaak_f32 v45, v44, v45, 0x3e088382
	v_fmaak_f32 v45, v44, v45, 0xbeaaaa99
	s_delay_alu instid0(VALU_DEP_1) | instskip(NEXT) | instid1(VALU_DEP_1)
	v_mul_f32_e64 v45, |v4|, v45
	v_fma_f32 v44, v44, v45, |v4|
.LBB25_496:
	s_wait_alu 0xfffe
	s_or_b32 exec_lo, exec_lo, s4
	v_cmp_ngt_f32_e64 s4, 0x3f200000, |v5|
                                        ; implicit-def: $vgpr45
	s_and_saveexec_b32 s5, s4
	s_wait_alu 0xfffe
	s_xor_b32 s4, exec_lo, s5
	s_cbranch_execz .LBB25_498
; %bb.497:
	v_add_f32_e64 v45, |v5|, |v5|
	s_delay_alu instid0(VALU_DEP_1) | instskip(SKIP_1) | instid1(VALU_DEP_2)
	v_mul_f32_e32 v46, 0x3fb8aa3b, v45
	v_cmp_ngt_f32_e32 vcc_lo, 0xc2ce8ed0, v45
	v_rndne_f32_e32 v47, v46
	v_fma_f32 v48, 0x3fb8aa3b, v45, -v46
	s_delay_alu instid0(VALU_DEP_2) | instskip(NEXT) | instid1(VALU_DEP_2)
	v_sub_f32_e32 v46, v46, v47
	v_fmamk_f32 v48, v45, 0x32a5705f, v48
	v_cvt_i32_f32_e32 v47, v47
	s_delay_alu instid0(VALU_DEP_2) | instskip(NEXT) | instid1(VALU_DEP_1)
	v_add_f32_e32 v46, v46, v48
	v_exp_f32_e32 v46, v46
	s_delay_alu instid0(TRANS32_DEP_1) | instskip(SKIP_1) | instid1(VALU_DEP_1)
	v_ldexp_f32 v46, v46, v47
	s_wait_alu 0xfffd
	v_cndmask_b32_e32 v46, 0, v46, vcc_lo
	v_cmp_nlt_f32_e32 vcc_lo, 0x42b17218, v45
	s_wait_alu 0xfffd
	s_delay_alu instid0(VALU_DEP_2) | instskip(NEXT) | instid1(VALU_DEP_1)
	v_cndmask_b32_e32 v45, 0x7f800000, v46, vcc_lo
	v_add_f32_e32 v45, 1.0, v45
	s_delay_alu instid0(VALU_DEP_1) | instskip(NEXT) | instid1(TRANS32_DEP_1)
	v_rcp_f32_e32 v45, v45
	v_fma_f32 v45, v45, -2.0, 1.0
.LBB25_498:
	s_wait_alu 0xfffe
	s_and_not1_saveexec_b32 s4, s4
	s_cbranch_execz .LBB25_500
; %bb.499:
	v_mul_f32_e32 v45, v5, v5
	s_mov_b32 s5, 0xbbbac73d
	s_wait_alu 0xfffe
	s_delay_alu instid0(VALU_DEP_1) | instskip(NEXT) | instid1(VALU_DEP_1)
	v_fmaak_f32 v46, s5, v45, 0x3ca908c9
	v_fmaak_f32 v46, v45, v46, 0xbd5c1c4e
	s_delay_alu instid0(VALU_DEP_1) | instskip(NEXT) | instid1(VALU_DEP_1)
	v_fmaak_f32 v46, v45, v46, 0x3e088382
	v_fmaak_f32 v46, v45, v46, 0xbeaaaa99
	s_delay_alu instid0(VALU_DEP_1) | instskip(NEXT) | instid1(VALU_DEP_1)
	v_mul_f32_e64 v46, |v5|, v46
	v_fma_f32 v45, v45, v46, |v5|
.LBB25_500:
	s_wait_alu 0xfffe
	s_or_b32 exec_lo, exec_lo, s4
	v_cmp_ngt_f32_e64 s4, 0x3f200000, |v6|
                                        ; implicit-def: $vgpr46
	s_and_saveexec_b32 s5, s4
	s_wait_alu 0xfffe
	s_xor_b32 s4, exec_lo, s5
	s_cbranch_execz .LBB25_502
; %bb.501:
	v_add_f32_e64 v46, |v6|, |v6|
	s_delay_alu instid0(VALU_DEP_1) | instskip(SKIP_1) | instid1(VALU_DEP_2)
	v_mul_f32_e32 v47, 0x3fb8aa3b, v46
	v_cmp_ngt_f32_e32 vcc_lo, 0xc2ce8ed0, v46
	v_rndne_f32_e32 v48, v47
	v_fma_f32 v49, 0x3fb8aa3b, v46, -v47
	s_delay_alu instid0(VALU_DEP_2) | instskip(NEXT) | instid1(VALU_DEP_2)
	v_sub_f32_e32 v47, v47, v48
	v_fmamk_f32 v49, v46, 0x32a5705f, v49
	v_cvt_i32_f32_e32 v48, v48
	s_delay_alu instid0(VALU_DEP_2) | instskip(NEXT) | instid1(VALU_DEP_1)
	v_add_f32_e32 v47, v47, v49
	v_exp_f32_e32 v47, v47
	s_delay_alu instid0(TRANS32_DEP_1) | instskip(SKIP_1) | instid1(VALU_DEP_1)
	v_ldexp_f32 v47, v47, v48
	s_wait_alu 0xfffd
	v_cndmask_b32_e32 v47, 0, v47, vcc_lo
	v_cmp_nlt_f32_e32 vcc_lo, 0x42b17218, v46
	s_wait_alu 0xfffd
	s_delay_alu instid0(VALU_DEP_2) | instskip(NEXT) | instid1(VALU_DEP_1)
	v_cndmask_b32_e32 v46, 0x7f800000, v47, vcc_lo
	v_add_f32_e32 v46, 1.0, v46
	s_delay_alu instid0(VALU_DEP_1) | instskip(NEXT) | instid1(TRANS32_DEP_1)
	v_rcp_f32_e32 v46, v46
	v_fma_f32 v46, v46, -2.0, 1.0
.LBB25_502:
	s_wait_alu 0xfffe
	s_and_not1_saveexec_b32 s4, s4
	s_cbranch_execz .LBB25_504
; %bb.503:
	v_mul_f32_e32 v46, v6, v6
	s_mov_b32 s5, 0xbbbac73d
	s_wait_alu 0xfffe
	s_delay_alu instid0(VALU_DEP_1) | instskip(NEXT) | instid1(VALU_DEP_1)
	v_fmaak_f32 v47, s5, v46, 0x3ca908c9
	v_fmaak_f32 v47, v46, v47, 0xbd5c1c4e
	s_delay_alu instid0(VALU_DEP_1) | instskip(NEXT) | instid1(VALU_DEP_1)
	v_fmaak_f32 v47, v46, v47, 0x3e088382
	v_fmaak_f32 v47, v46, v47, 0xbeaaaa99
	s_delay_alu instid0(VALU_DEP_1) | instskip(NEXT) | instid1(VALU_DEP_1)
	v_mul_f32_e64 v47, |v6|, v47
	v_fma_f32 v46, v46, v47, |v6|
.LBB25_504:
	s_wait_alu 0xfffe
	s_or_b32 exec_lo, exec_lo, s4
	v_cmp_ngt_f32_e64 s4, 0x3f200000, |v7|
                                        ; implicit-def: $vgpr47
	s_and_saveexec_b32 s5, s4
	s_wait_alu 0xfffe
	s_xor_b32 s4, exec_lo, s5
	s_cbranch_execz .LBB25_506
; %bb.505:
	v_add_f32_e64 v47, |v7|, |v7|
	s_delay_alu instid0(VALU_DEP_1) | instskip(SKIP_1) | instid1(VALU_DEP_2)
	v_mul_f32_e32 v48, 0x3fb8aa3b, v47
	v_cmp_ngt_f32_e32 vcc_lo, 0xc2ce8ed0, v47
	v_rndne_f32_e32 v49, v48
	v_fma_f32 v50, 0x3fb8aa3b, v47, -v48
	s_delay_alu instid0(VALU_DEP_2) | instskip(NEXT) | instid1(VALU_DEP_2)
	v_sub_f32_e32 v48, v48, v49
	v_fmamk_f32 v50, v47, 0x32a5705f, v50
	v_cvt_i32_f32_e32 v49, v49
	s_delay_alu instid0(VALU_DEP_2) | instskip(NEXT) | instid1(VALU_DEP_1)
	v_add_f32_e32 v48, v48, v50
	v_exp_f32_e32 v48, v48
	s_delay_alu instid0(TRANS32_DEP_1) | instskip(SKIP_1) | instid1(VALU_DEP_1)
	v_ldexp_f32 v48, v48, v49
	s_wait_alu 0xfffd
	v_cndmask_b32_e32 v48, 0, v48, vcc_lo
	v_cmp_nlt_f32_e32 vcc_lo, 0x42b17218, v47
	s_wait_alu 0xfffd
	s_delay_alu instid0(VALU_DEP_2) | instskip(NEXT) | instid1(VALU_DEP_1)
	v_cndmask_b32_e32 v47, 0x7f800000, v48, vcc_lo
	v_add_f32_e32 v47, 1.0, v47
	s_delay_alu instid0(VALU_DEP_1) | instskip(NEXT) | instid1(TRANS32_DEP_1)
	v_rcp_f32_e32 v47, v47
	v_fma_f32 v47, v47, -2.0, 1.0
.LBB25_506:
	s_wait_alu 0xfffe
	s_and_not1_saveexec_b32 s4, s4
	s_cbranch_execz .LBB25_508
; %bb.507:
	v_mul_f32_e32 v47, v7, v7
	s_mov_b32 s5, 0xbbbac73d
	s_wait_alu 0xfffe
	s_delay_alu instid0(VALU_DEP_1) | instskip(NEXT) | instid1(VALU_DEP_1)
	v_fmaak_f32 v48, s5, v47, 0x3ca908c9
	v_fmaak_f32 v48, v47, v48, 0xbd5c1c4e
	s_delay_alu instid0(VALU_DEP_1) | instskip(NEXT) | instid1(VALU_DEP_1)
	v_fmaak_f32 v48, v47, v48, 0x3e088382
	v_fmaak_f32 v48, v47, v48, 0xbeaaaa99
	s_delay_alu instid0(VALU_DEP_1) | instskip(NEXT) | instid1(VALU_DEP_1)
	v_mul_f32_e64 v48, |v7|, v48
	v_fma_f32 v47, v47, v48, |v7|
.LBB25_508:
	s_wait_alu 0xfffe
	s_or_b32 exec_lo, exec_lo, s4
	v_mul_lo_u32 v48, v116, s26
	s_ashr_i32 s27, s26, 31
	v_lshlrev_b64_e32 v[50:51], 2, v[73:74]
	s_wait_alu 0xfffe
	s_mul_u64 s[0:1], s[0:1], s[26:27]
	v_mul_lo_u32 v52, v119, s26
	s_wait_alu 0xfffe
	s_lshl_b64 s[0:1], s[0:1], 2
	v_mul_lo_u32 v54, v120, s26
	s_wait_alu 0xfffe
	s_add_nc_u64 s[0:1], s[2:3], s[0:1]
	v_ashrrev_i32_e32 v49, 31, v48
	s_wait_alu 0xfffe
	v_add_co_u32 v50, vcc_lo, s0, v50
	s_wait_alu 0xfffd
	v_add_co_ci_u32_e64 v51, null, s1, v51, vcc_lo
	v_lshlrev_b64_e32 v[48:49], 2, v[48:49]
	s_delay_alu instid0(VALU_DEP_3) | instskip(SKIP_3) | instid1(VALU_DEP_4)
	v_add_co_u32 v50, vcc_lo, v50, v76
	v_ashrrev_i32_e32 v53, 31, v52
	s_wait_alu 0xfffd
	v_add_co_ci_u32_e64 v51, null, v51, v77, vcc_lo
	v_add_co_u32 v55, vcc_lo, s0, v48
	s_wait_alu 0xfffd
	v_add_co_ci_u32_e64 v56, null, s1, v49, vcc_lo
	v_lshlrev_b64_e32 v[48:49], 2, v[52:53]
	s_delay_alu instid0(VALU_DEP_3) | instskip(SKIP_1) | instid1(VALU_DEP_3)
	v_add_co_u32 v52, vcc_lo, v55, v76
	s_wait_alu 0xfffd
	v_add_co_ci_u32_e64 v53, null, v56, v77, vcc_lo
	v_ashrrev_i32_e32 v55, 31, v54
	v_mul_lo_u32 v56, v126, s26
	v_add_co_u32 v57, vcc_lo, s0, v48
	s_wait_alu 0xfffd
	v_add_co_ci_u32_e64 v59, null, s1, v49, vcc_lo
	v_lshlrev_b64_e32 v[48:49], 2, v[54:55]
	s_delay_alu instid0(VALU_DEP_3)
	v_add_co_u32 v58, vcc_lo, v57, v76
	v_ashrrev_i32_e32 v57, 31, v56
	v_mul_lo_u32 v54, v128, s26
	s_wait_alu 0xfffd
	v_add_co_ci_u32_e64 v59, null, v59, v77, vcc_lo
	v_add_co_u32 v55, vcc_lo, s0, v48
	s_wait_alu 0xfffd
	v_add_co_ci_u32_e64 v61, null, s1, v49, vcc_lo
	v_lshlrev_b64_e32 v[48:49], 2, v[56:57]
	s_delay_alu instid0(VALU_DEP_3)
	v_add_co_u32 v60, vcc_lo, v55, v76
	v_ashrrev_i32_e32 v55, 31, v54
	s_wait_alu 0xfffd
	v_add_co_ci_u32_e64 v61, null, v61, v77, vcc_lo
	v_mul_lo_u32 v56, v129, s26
	v_add_co_u32 v57, vcc_lo, s0, v48
	s_wait_alu 0xfffd
	v_add_co_ci_u32_e64 v62, null, s1, v49, vcc_lo
	v_lshlrev_b64_e32 v[48:49], 2, v[54:55]
	v_mul_lo_u32 v54, v130, s26
	v_add_co_u32 v64, vcc_lo, v57, v76
	v_ashrrev_i32_e32 v57, 31, v56
	s_wait_alu 0xfffd
	v_add_co_ci_u32_e64 v65, null, v62, v77, vcc_lo
	v_add_co_u32 v62, vcc_lo, s0, v48
	v_ashrrev_i32_e32 v55, 31, v54
	s_wait_alu 0xfffd
	v_add_co_ci_u32_e64 v63, null, s1, v49, vcc_lo
	v_lshlrev_b64_e32 v[48:49], 2, v[56:57]
	v_add_co_u32 v68, vcc_lo, v62, v76
	v_lshlrev_b64_e32 v[54:55], 2, v[54:55]
	s_wait_alu 0xfffd
	v_add_co_ci_u32_e64 v69, null, v63, v77, vcc_lo
	s_delay_alu instid0(VALU_DEP_4)
	v_add_co_u32 v48, vcc_lo, s0, v48
	s_wait_alu 0xfffd
	v_add_co_ci_u32_e64 v49, null, s1, v49, vcc_lo
	v_add_co_u32 v54, vcc_lo, s0, v54
	s_wait_alu 0xfffd
	v_add_co_ci_u32_e64 v55, null, s1, v55, vcc_lo
	;; [unrolled: 3-line block ×4, first 2 shown]
	s_clause 0x7
	global_load_b128 v[48:51], v[50:51], off
	global_load_b128 v[52:55], v[52:53], off
	;; [unrolled: 1-line block ×8, first 2 shown]
	v_lshrrev_b32_e32 v68, 1, v72
	v_lshrrev_b32_e32 v69, 1, v125
	v_bfi_b32 v0, 0x7fffffff, v40, v0
	v_bfi_b32 v1, 0x7fffffff, v41, v1
	;; [unrolled: 1-line block ×3, first 2 shown]
	v_and_b32_e32 v68, 0x1f8, v68
	v_mul_u32_u24_e32 v69, 0x50, v69
	v_bfi_b32 v3, 0x7fffffff, v43, v3
	v_bfi_b32 v4, 0x7fffffff, v44, v4
	v_bfi_b32 v5, 0x7fffffff, v45, v5
	v_add_lshl_u32 v70, v127, v68, 1
	v_bfi_b32 v6, 0x7fffffff, v46, v6
	v_bfi_b32 v7, 0x7fffffff, v47, v7
	v_xor_b32_e32 v43, 16, v124
	v_or_b32_e32 v44, 7, v118
	v_add3_u32 v71, 0, v69, v70
	v_cmp_gt_u32_e64 s0, 16, v72
	s_delay_alu instid0(VALU_DEP_4) | instskip(NEXT) | instid1(VALU_DEP_4)
	v_cmp_gt_i32_e32 vcc_lo, 32, v43
	v_mul_u32_u24_e32 v44, 0x110, v44
	s_delay_alu instid0(VALU_DEP_4) | instskip(SKIP_1) | instid1(VALU_DEP_3)
	v_add_nc_u32_e32 v69, 0x2200, v71
	v_add_nc_u32_e32 v71, 0x2208, v71
	v_add3_u32 v99, v85, v44, v117
	ds_load_2addr_b32 v[69:70], v69 offset1:1
	ds_load_2addr_b32 v[73:74], v71 offset1:1
	s_wait_loadcnt 0x7
	ds_store_b128 v75, v[48:51]
	s_wait_loadcnt 0x6
	ds_store_b128 v78, v[52:55]
	s_wait_loadcnt 0x5
	ds_store_b128 v79, v[56:59]
	s_wait_loadcnt 0x4
	ds_store_b128 v80, v[60:63]
	s_wait_loadcnt 0x3
	ds_store_b128 v81, v[64:67]
	s_wait_loadcnt 0x2
	ds_store_b128 v82, v[86:89]
	s_wait_loadcnt 0x1
	ds_store_b128 v83, v[90:93]
	s_wait_loadcnt 0x0
	ds_store_b128 v84, v[94:97]
	s_wait_dscnt 0x9
	v_fma_mix_f32 v0, s33, v0, v69 op_sel_hi:[0,0,1]
	v_fma_mix_f32 v1, s33, v1, v69 op_sel:[0,0,1] op_sel_hi:[0,0,1]
	v_fma_mix_f32 v2, s33, v2, v70 op_sel_hi:[0,0,1]
	v_fma_mix_f32 v3, s33, v3, v70 op_sel:[0,0,1] op_sel_hi:[0,0,1]
	s_wait_dscnt 0x8
	v_fma_mix_f32 v4, s33, v4, v73 op_sel_hi:[0,0,1]
	v_dual_add_f32 v40, 0x40051340, v0 :: v_dual_add_f32 v41, 0x40051340, v1
	v_fma_mix_f32 v5, s33, v5, v73 op_sel:[0,0,1] op_sel_hi:[0,0,1]
	v_add_f32_e32 v42, 0x40051340, v3
	v_fma_mix_f32 v6, s33, v6, v74 op_sel_hi:[0,0,1]
	v_fma_mix_f32 v7, s33, v7, v74 op_sel:[0,0,1] op_sel_hi:[0,0,1]
	v_max3_num_f32 v40, v147, v40, v41
	v_add_f32_e32 v41, 0x40051340, v2
	s_wait_dscnt 0x0
	s_barrier_signal -1
	s_barrier_wait -1
	global_inv scope:SCOPE_SE
	v_max3_num_f32 v40, v40, v41, v42
	v_dual_add_f32 v41, 0x40051340, v4 :: v_dual_add_f32 v42, 0x40051340, v5
	s_delay_alu instid0(VALU_DEP_1) | instskip(SKIP_3) | instid1(VALU_DEP_2)
	v_max3_num_f32 v40, v40, v41, v42
	s_wait_alu 0xfffd
	v_dual_add_f32 v41, 0x40051340, v6 :: v_dual_cndmask_b32 v42, v124, v43
	v_add_f32_e32 v43, 0x40051340, v7
	v_lshlrev_b32_e32 v69, 2, v42
	s_delay_alu instid0(VALU_DEP_2) | instskip(SKIP_3) | instid1(VALU_DEP_1)
	v_max3_num_f32 v40, v40, v41, v43
	v_or_b32_e32 v43, 6, v118
	ds_bpermute_b32 v41, v69, v40
	v_mul_u32_u24_e32 v43, 0x110, v43
	v_add3_u32 v98, v85, v43, v117
	s_wait_dscnt 0x0
	v_max_num_f32_e32 v41, v41, v41
	s_delay_alu instid0(VALU_DEP_1) | instskip(NEXT) | instid1(VALU_DEP_1)
	v_max_num_f32_e32 v70, v40, v41
	v_sub_f32_e32 v0, v0, v70
	v_sub_f32_e32 v6, v6, v70
	;; [unrolled: 1-line block ×4, first 2 shown]
	s_delay_alu instid0(VALU_DEP_4) | instskip(SKIP_1) | instid1(VALU_DEP_4)
	v_dual_sub_f32 v2, v2, v70 :: v_dual_mul_f32 v41, 0x3fb8aa3b, v0
	v_cmp_ngt_f32_e32 vcc_lo, 0xc2ce8ed0, v0
	v_mul_f32_e32 v45, 0x3fb8aa3b, v4
	s_delay_alu instid0(VALU_DEP_4) | instskip(NEXT) | instid1(VALU_DEP_4)
	v_dual_sub_f32 v5, v5, v70 :: v_dual_mul_f32 v74, 0x3fb8aa3b, v40
	v_rndne_f32_e32 v77, v41
	v_and_b32_e32 v42, 0x1f8, v118
	v_fma_f32 v76, 0x3fb8aa3b, v0, -v41
	s_delay_alu instid0(VALU_DEP_4) | instskip(NEXT) | instid1(VALU_DEP_4)
	v_dual_sub_f32 v3, v3, v70 :: v_dual_mul_f32 v46, 0x3fb8aa3b, v5
	v_sub_f32_e32 v41, v41, v77
	s_delay_alu instid0(VALU_DEP_4) | instskip(NEXT) | instid1(VALU_DEP_3)
	v_mul_u32_u24_e32 v42, 0x110, v42
	v_dual_sub_f32 v1, v1, v70 :: v_dual_mul_f32 v44, 0x3fb8aa3b, v3
	v_dual_sub_f32 v7, v7, v70 :: v_dual_fmac_f32 v76, 0x32a5705f, v0
	s_delay_alu instid0(VALU_DEP_3) | instskip(NEXT) | instid1(VALU_DEP_3)
	v_add3_u32 v73, v85, v42, v117
	v_mul_f32_e32 v42, 0x3fb8aa3b, v1
	s_delay_alu instid0(VALU_DEP_4)
	v_rndne_f32_e32 v105, v44
	v_mul_f32_e32 v47, 0x3fb8aa3b, v6
	v_fma_f32 v104, 0x3fb8aa3b, v3, -v44
	v_add_nc_u32_e32 v85, 0x400, v73
	v_fma_f32 v100, 0x3fb8aa3b, v1, -v42
	v_rndne_f32_e32 v101, v42
	v_dual_mul_f32 v43, 0x3fb8aa3b, v2 :: v_dual_sub_f32 v44, v44, v105
	v_fma_f32 v110, 0x3fb8aa3b, v6, -v47
	v_fma_f32 v106, 0x3fb8aa3b, v4, -v45
	v_rndne_f32_e32 v107, v45
	v_rndne_f32_e32 v109, v46
	v_mul_f32_e32 v71, 0x3fb8aa3b, v7
	v_rndne_f32_e32 v111, v47
	v_sub_f32_e32 v42, v42, v101
	v_fma_f32 v102, 0x3fb8aa3b, v2, -v43
	v_rndne_f32_e32 v103, v43
	v_fmac_f32_e32 v100, 0x32a5705f, v1
	v_dual_fmac_f32 v110, 0x32a5705f, v6 :: v_dual_add_f32 v41, v41, v76
	v_fma_f32 v108, 0x3fb8aa3b, v5, -v46
	v_dual_fmac_f32 v102, 0x32a5705f, v2 :: v_dual_sub_f32 v45, v45, v107
	v_dual_sub_f32 v43, v43, v103 :: v_dual_fmac_f32 v106, 0x32a5705f, v4
	v_dual_sub_f32 v47, v47, v111 :: v_dual_sub_f32 v46, v46, v109
	v_fma_f32 v112, 0x3fb8aa3b, v7, -v71
	s_delay_alu instid0(VALU_DEP_3)
	v_dual_add_f32 v42, v42, v100 :: v_dual_add_f32 v45, v45, v106
	v_exp_f32_e32 v41, v41
	v_rndne_f32_e32 v116, v71
	v_cvt_i32_f32_e32 v77, v77
	v_fmac_f32_e32 v104, 0x32a5705f, v3
	v_dual_fmac_f32 v112, 0x32a5705f, v7 :: v_dual_add_f32 v43, v43, v102
	v_exp_f32_e32 v42, v42
	v_fma_f32 v117, 0x3fb8aa3b, v40, -v74
	v_cvt_i32_f32_e32 v101, v101
	v_dual_fmac_f32 v108, 0x32a5705f, v5 :: v_dual_sub_f32 v71, v71, v116
	v_dual_add_f32 v44, v44, v104 :: v_dual_add_f32 v47, v47, v110
	v_exp_f32_e32 v43, v43
	v_exp_f32_e32 v45, v45
	v_ldexp_f32 v41, v41, v77
	v_rndne_f32_e32 v118, v74
	v_cvt_i32_f32_e32 v103, v103
	v_cvt_i32_f32_e32 v107, v107
	v_fmac_f32_e32 v117, 0x32a5705f, v40
	s_wait_alu 0xfffd
	v_dual_add_f32 v46, v46, v108 :: v_dual_cndmask_b32 v41, 0, v41
	v_exp_f32_e32 v44, v44
	v_ldexp_f32 v42, v42, v101
	v_cmp_ngt_f32_e32 vcc_lo, 0xc2ce8ed0, v1
	v_cvt_i32_f32_e32 v105, v105
	v_dual_sub_f32 v74, v74, v118 :: v_dual_add_f32 v71, v71, v112
	v_exp_f32_e32 v47, v47
	v_ldexp_f32 v43, v43, v103
	v_ldexp_f32 v45, v45, v107
	s_wait_alu 0xfffd
	v_cndmask_b32_e32 v42, 0, v42, vcc_lo
	v_cmp_ngt_f32_e32 vcc_lo, 0xc2ce8ed0, v2
	v_cvt_i32_f32_e32 v111, v111
	v_add_f32_e32 v74, v74, v117
	v_exp_f32_e32 v46, v46
	v_ldexp_f32 v44, v44, v105
	s_wait_alu 0xfffd
	v_cndmask_b32_e32 v43, 0, v43, vcc_lo
	v_cmp_ngt_f32_e32 vcc_lo, 0xc2ce8ed0, v3
	v_cvt_i32_f32_e32 v109, v109
	v_exp_f32_e32 v71, v71
	v_ldexp_f32 v47, v47, v111
	v_cvt_i32_f32_e32 v116, v116
	s_wait_alu 0xfffd
	v_cndmask_b32_e32 v44, 0, v44, vcc_lo
	v_cmp_ngt_f32_e32 vcc_lo, 0xc2ce8ed0, v4
	v_ldexp_f32 v46, v46, v109
	v_exp_f32_e32 v74, v74
	v_cvt_i32_f32_e32 v76, v118
	ds_load_2addr_b32 v[48:49], v73 offset1:16
	ds_load_2addr_b32 v[50:51], v73 offset0:68 offset1:84
	ds_load_2addr_b32 v[52:53], v73 offset0:136 offset1:152
	;; [unrolled: 1-line block ×5, first 2 shown]
	ds_load_2addr_b32 v[61:62], v98 offset1:16
	ds_load_2addr_b32 v[63:64], v99 offset1:16
	s_wait_alu 0xfffd
	v_cndmask_b32_e32 v45, 0, v45, vcc_lo
	v_cmp_ngt_f32_e32 vcc_lo, 0xc2ce8ed0, v5
	v_ldexp_f32 v71, v71, v116
	s_wait_alu 0xfffd
	v_cndmask_b32_e32 v46, 0, v46, vcc_lo
	v_cmp_ngt_f32_e32 vcc_lo, 0xc2ce8ed0, v6
	v_ldexp_f32 v74, v74, v76
	s_wait_alu 0xfffd
	v_cndmask_b32_e32 v47, 0, v47, vcc_lo
	v_cmp_ngt_f32_e32 vcc_lo, 0xc2ce8ed0, v7
	s_wait_dscnt 0x2
	v_perm_b32 v54, v60, v58, 0x5040100
	s_wait_alu 0xfffd
	v_cndmask_b32_e32 v71, 0, v71, vcc_lo
	v_cmp_ngt_f32_e32 vcc_lo, 0xc2ce8ed0, v40
	s_wait_alu 0xfffd
	v_cndmask_b32_e32 v74, 0, v74, vcc_lo
	v_cmp_nlt_f32_e32 vcc_lo, 0x42b17218, v0
	s_wait_alu 0xfffd
	v_cndmask_b32_e32 v0, 0x7f800000, v41, vcc_lo
	v_cmp_nlt_f32_e32 vcc_lo, 0x42b17218, v1
	;; [unrolled: 3-line block ×6, first 2 shown]
	s_delay_alu instid0(VALU_DEP_2) | instskip(SKIP_3) | instid1(VALU_DEP_2)
	v_cvt_f16_f32_e32 v41, v4
	s_wait_alu 0xfffd
	v_cndmask_b32_e32 v5, 0x7f800000, v46, vcc_lo
	v_cmp_nlt_f32_e32 vcc_lo, 0x42b17218, v6
	v_cvt_f16_f32_e32 v42, v5
	s_wait_alu 0xfffd
	v_cndmask_b32_e32 v76, 0x7f800000, v47, vcc_lo
	v_cmp_nlt_f32_e32 vcc_lo, 0x42b17218, v40
	s_delay_alu instid0(VALU_DEP_3) | instskip(NEXT) | instid1(VALU_DEP_3)
	v_perm_b32 v46, v42, v41, 0x5040100
	v_cvt_f16_f32_e32 v43, v76
	s_wait_alu 0xfffd
	v_cndmask_b32_e32 v6, 0x7f800000, v74, vcc_lo
	v_cmp_nlt_f32_e32 vcc_lo, 0x42b17218, v7
	v_add_f32_e32 v7, v0, v1
	v_cvt_f16_f32_e32 v0, v0
	s_wait_alu 0xfffd
	v_cndmask_b32_e32 v71, 0x7f800000, v71, vcc_lo
	v_cmp_le_f32_e32 vcc_lo, 0xc1a00000, v40
	s_wait_alu 0xfffd
	v_cndmask_b32_e32 v74, 0, v6, vcc_lo
	v_cvt_f16_f32_e32 v6, v2
	v_add_f32_e32 v2, v2, v7
	v_cvt_f16_f32_e32 v1, v1
	s_delay_alu instid0(VALU_DEP_4) | instskip(NEXT) | instid1(VALU_DEP_3)
	v_cvt_f16_f32_e32 v7, v74
	v_add_f32_e32 v2, v3, v2
	v_cvt_f16_f32_e32 v44, v71
	s_delay_alu instid0(VALU_DEP_2) | instskip(SKIP_2) | instid1(VALU_DEP_4)
	v_add_f32_e32 v2, v4, v2
	v_cvt_f16_f32_e32 v40, v3
	v_and_b32_e32 v3, 0xffff, v7
	v_perm_b32 v47, v44, v43, 0x5040100
	v_perm_b32 v44, v1, v0, 0x5040100
	v_add_f32_e32 v2, v5, v2
	v_perm_b32 v45, v40, v6, 0x5040100
	v_mul_u32_u24_e32 v77, 0x10001, v3
	s_delay_alu instid0(VALU_DEP_1) | instskip(NEXT) | instid1(VALU_DEP_4)
	v_pk_mul_f16 v0, v12, v77
	v_add_f32_e32 v12, v76, v2
	v_pk_mul_f16 v36, v36, v77
	v_pk_mul_f16 v37, v37, v77
	;; [unrolled: 1-line block ×4, first 2 shown]
	v_add_f32_e32 v71, v71, v12
	v_pk_mul_f16 v40, v28, v77
	v_pk_mul_f16 v41, v29, v77
	;; [unrolled: 1-line block ×27, first 2 shown]
	v_fmac_f32_e32 v71, v146, v74
	ds_load_2addr_b32 v[74:75], v73 offset0:32 offset1:48
	ds_load_2addr_b32 v[76:77], v73 offset0:100 offset1:116
	;; [unrolled: 1-line block ×8, first 2 shown]
	v_perm_b32 v12, v50, v48, 0x7060302
	v_perm_b32 v13, v55, v52, 0x7060302
	;; [unrolled: 1-line block ×3, first 2 shown]
	ds_bpermute_b32 v73, v69, v71
	s_wait_dscnt 0x9
	v_perm_b32 v15, v63, v61, 0x7060302
	v_perm_b32 v35, v63, v61, 0x5040100
	;; [unrolled: 1-line block ×12, first 2 shown]
	s_wait_dscnt 0x7
	v_perm_b32 v48, v76, v74, 0x7060302
	s_wait_dscnt 0x5
	v_perm_b32 v49, v80, v78, 0x7060302
	s_wait_dscnt 0x3
	v_perm_b32 v50, v82, v65, 0x7060302
	s_wait_dscnt 0x1
	v_perm_b32 v51, v86, v84, 0x7060302
	v_perm_b32 v63, v86, v84, 0x5040100
	v_perm_b32 v62, v82, v65, 0x5040100
	;; [unrolled: 1-line block ×12, first 2 shown]
	s_wait_loadcnt_dscnt 0x0
	s_barrier_signal -1
	s_barrier_wait -1
	global_inv scope:SCOPE_SE
	s_and_saveexec_b32 s1, s0
	s_cbranch_execz .LBB25_510
; %bb.509:
	v_or_b32_e32 v74, v115, v72
	v_add_f32_e32 v71, v71, v73
	s_delay_alu instid0(VALU_DEP_2)
	v_mad_i32_i24 v73, 0x110, v74, 0
	ds_store_2addr_b32 v73, v70, v71 offset0:64 offset1:65
.LBB25_510:
	s_wait_alu 0xfffe
	s_or_b32 exec_lo, exec_lo, s1
	v_cmp_ne_u32_e64 s1, 0, v123
	v_cmp_eq_u32_e32 vcc_lo, 0, v123
	s_wait_loadcnt_dscnt 0x0
	s_barrier_signal -1
	s_barrier_wait -1
	global_inv scope:SCOPE_SE
	s_and_saveexec_b32 s2, s1
	s_wait_alu 0xfffe
	s_xor_b32 s1, exec_lo, s2
	s_cbranch_execz .LBB25_512
; %bb.511:
	s_wait_loadcnt 0x0
	s_barrier_signal -1
	s_barrier_wait -1
	global_inv scope:SCOPE_SE
                                        ; implicit-def: $vgpr69
                                        ; implicit-def: $vgpr226
.LBB25_512:
	s_wait_alu 0xfffe
	s_or_saveexec_b32 s2, s1
	v_wmma_f16_16x16x16_f16 v[36:39], v[32:35], v[44:47], v[36:39]
	v_wmma_f16_16x16x16_f16 v[40:43], v[12:15], v[44:47], v[40:43]
	;; [unrolled: 1-line block ×8, first 2 shown]
	s_wait_alu 0xfffe
	s_xor_b32 exec_lo, exec_lo, s2
	s_cbranch_execz .LBB25_516
; %bb.513:
	v_add_nc_u32_e32 v12, v115, v72
	s_delay_alu instid0(VALU_DEP_1)
	v_mad_i32_i24 v20, 0x110, v12, 0
	ds_load_b64 v[14:15], v20 offset:256
	s_wait_loadcnt_dscnt 0x0
	s_barrier_signal -1
	s_barrier_wait -1
	global_inv scope:SCOPE_SE
	ds_bpermute_b32 v12, v69, v14
	s_wait_dscnt 0x0
	v_dual_max_num_f32 v13, v14, v14 :: v_dual_max_num_f32 v12, v12, v12
	s_delay_alu instid0(VALU_DEP_1) | instskip(NEXT) | instid1(VALU_DEP_1)
	v_max_num_f32_e32 v12, v13, v12
	v_sub_f32_e32 v13, v14, v12
	s_delay_alu instid0(VALU_DEP_1) | instskip(SKIP_1) | instid1(VALU_DEP_2)
	v_mul_f32_e32 v14, 0x3fb8aa3b, v13
	v_cmp_ngt_f32_e64 s1, 0xc2ce8ed0, v13
	v_fma_f32 v21, 0x3fb8aa3b, v13, -v14
	v_rndne_f32_e32 v22, v14
	s_delay_alu instid0(VALU_DEP_1) | instskip(NEXT) | instid1(VALU_DEP_1)
	v_dual_fmamk_f32 v21, v13, 0x32a5705f, v21 :: v_dual_sub_f32 v14, v14, v22
	v_add_f32_e32 v14, v14, v21
	v_cvt_i32_f32_e32 v21, v22
	s_delay_alu instid0(VALU_DEP_2) | instskip(NEXT) | instid1(TRANS32_DEP_1)
	v_exp_f32_e32 v14, v14
	v_ldexp_f32 v14, v14, v21
	s_wait_alu 0xf1ff
	s_delay_alu instid0(VALU_DEP_1) | instskip(SKIP_2) | instid1(VALU_DEP_1)
	v_cndmask_b32_e64 v14, 0, v14, s1
	v_cmp_nlt_f32_e64 s1, 0x42b17218, v13
	s_wait_alu 0xf1ff
	v_cndmask_b32_e64 v13, 0x7f800000, v14, s1
	s_mov_b32 s1, 0
	s_delay_alu instid0(VALU_DEP_1)
	v_mul_f32_e32 v14, v15, v13
	ds_bpermute_b32 v14, v69, v14
	s_wait_dscnt 0x0
	v_fmac_f32_e32 v14, v15, v13
	ds_store_b64 v20, v[13:14] offset:256
	s_and_saveexec_b32 s3, s0
	s_cbranch_execz .LBB25_515
; %bb.514:
	v_or_b32_e32 v13, v226, v72
	s_add_co_i32 s0, s34, ttmp9
	s_wait_alu 0xfffe
	s_lshl_b32 s0, s0, 4
	s_wait_alu 0xfffe
	s_lshl_b64 s[0:1], s[0:1], 3
	v_lshlrev_b32_e32 v15, 3, v13
	v_mov_b32_e32 v13, v14
	s_wait_alu 0xfffe
	s_add_nc_u64 s[0:1], s[22:23], s[0:1]
	global_store_b64 v15, v[12:13], s[0:1]
.LBB25_515:
	s_wait_alu 0xfffe
	s_or_b32 exec_lo, exec_lo, s3
.LBB25_516:
	s_delay_alu instid0(SALU_CYCLE_1)
	s_or_b32 exec_lo, exec_lo, s2
	v_or_b32_e32 v12, v115, v114
	v_lshlrev_b32_e32 v13, 2, v68
	v_perm_b32 v14, v40, v36, 0x5040100
	v_perm_b32 v15, v40, v36, 0x7060302
	;; [unrolled: 1-line block ×3, first 2 shown]
	v_mul_i32_i24_e32 v12, 0x110, v12
	v_perm_b32 v21, v41, v37, 0x7060302
	v_perm_b32 v22, v42, v38, 0x5040100
	;; [unrolled: 1-line block ×4, first 2 shown]
	v_add3_u32 v12, 0, v13, v12
	v_perm_b32 v13, v43, v39, 0x5040100
	v_perm_b32 v33, v24, v28, 0x5040100
	;; [unrolled: 1-line block ×9, first 2 shown]
	ds_store_2addr_b32 v12, v14, v15 offset1:1
	ds_store_2addr_b32 v12, v20, v21 offset0:2 offset1:3
	ds_store_2addr_b32 v12, v22, v23 offset0:4 offset1:5
	;; [unrolled: 1-line block ×7, first 2 shown]
	v_perm_b32 v13, v16, v4, 0x5040100
	v_perm_b32 v4, v16, v4, 0x7060302
	;; [unrolled: 1-line block ×6, first 2 shown]
	s_mov_b32 s1, 0
	v_perm_b32 v16, v19, v7, 0x5040100
	v_perm_b32 v7, v19, v7, 0x7060302
	;; [unrolled: 1-line block ×10, first 2 shown]
	ds_store_2addr_b32 v12, v13, v4 offset0:32 offset1:33
	ds_store_2addr_b32 v12, v14, v5 offset0:34 offset1:35
	;; [unrolled: 1-line block ×8, first 2 shown]
	s_wait_storecnt 0x0
	s_wait_loadcnt_dscnt 0x0
	s_barrier_signal -1
	s_barrier_wait -1
	global_inv scope:SCOPE_SE
	s_and_saveexec_b32 s2, vcc_lo
	s_cbranch_execz .LBB25_518
; %bb.517:
	v_bfe_u32 v0, v121, 1, 4
	v_add_nc_u32_e32 v17, 1, v113
	v_add_nc_u32_e32 v18, 2, v113
	v_lshlrev_b32_e32 v11, 5, v121
	s_lshl_b32 s0, ttmp9, 10
	v_and_or_b32 v1, 0x3e0, v121, v0
	v_lshlrev_b32_e32 v2, 1, v17
	v_and_b32_e32 v3, 15, v17
	v_lshlrev_b32_e32 v0, 2, v72
	v_lshlrev_b32_e32 v8, 1, v18
	v_mad_u32_u24 v1, 0x110, v1, 0
	v_and_b32_e32 v9, 15, v18
	v_and_or_b32 v3, 0x7e0, v2, v3
	v_add_lshl_u32 v19, v72, v11, 3
	s_wait_alu 0xfffe
	s_lshl_b64 s[4:5], s[0:1], 3
	v_add_nc_u32_e32 v5, v1, v0
	ds_load_2addr_stride64_b32 v[1:2], v1 offset0:1 offset1:18
	v_mad_u32_u24 v7, 0x110, v3, 0
	v_and_or_b32 v13, 0x7e0, v8, v9
	s_lshl_b32 s0, s34, 5
	ds_load_2addr_b32 v[3:4], v5 offset1:32
	v_add_nc_u32_e32 v5, 0x1000, v5
	v_add_nc_u32_e32 v12, v7, v0
	v_mad_u32_u24 v15, 0x110, v13, 0
	v_add_nc_u32_e32 v23, 3, v113
	s_wait_alu 0xfffe
	s_add_nc_u64 s[4:5], s[22:23], s[4:5]
	ds_load_2addr_b32 v[5:6], v5 offset0:64 offset1:96
	ds_load_2addr_stride64_b32 v[7:8], v7 offset0:1 offset1:18
	ds_load_2addr_b32 v[9:10], v12 offset1:32
	v_add_nc_u32_e32 v12, 0x1000, v12
	ds_load_2addr_stride64_b32 v[13:14], v15 offset0:1 offset1:18
	v_add_nc_u32_e32 v22, v15, v0
	s_lshl_b64 s[0:1], s[0:1], 3
	v_lshlrev_b32_e32 v20, 1, v23
	ds_load_2addr_b32 v[11:12], v12 offset0:64 offset1:96
	s_wait_alu 0xfffe
	s_add_nc_u64 s[0:1], s[4:5], s[0:1]
	v_and_b32_e32 v21, 15, v23
	v_add_nc_u32_e32 v27, 5, v113
	s_wait_dscnt 0x5
	v_fma_mix_f32 v15, v1, v3, 0 op_sel_hi:[0,1,0]
	v_fma_mix_f32 v16, v1, v3, 0 op_sel:[0,1,0] op_sel_hi:[0,1,0]
	v_fma_mix_f32 v24, v1, v4, 0 op_sel_hi:[0,1,0]
	v_fma_mix_f32 v25, v1, v4, 0 op_sel:[0,1,0] op_sel_hi:[0,1,0]
	ds_load_2addr_b32 v[3:4], v22 offset1:32
	v_and_b32_e32 v28, 15, v27
	s_wait_dscnt 0x5
	v_fma_mix_f32 v15, v2, v5, v15 op_sel_hi:[0,1,0]
	v_fma_mix_f32 v16, v2, v5, v16 op_sel:[0,1,0] op_sel_hi:[0,1,0]
	v_fma_mix_f32 v1, v2, v6, v24 op_sel_hi:[0,1,0]
	v_fma_mix_f32 v2, v2, v6, v25 op_sel:[0,1,0] op_sel_hi:[0,1,0]
	v_add_nc_u32_e32 v5, 0x1000, v22
	s_wait_dscnt 0x3
	v_fma_mix_f32 v6, v7, v9, 0 op_sel_hi:[0,1,0]
	s_clause 0x1
	global_store_b64 v19, v[15:16], s[0:1]
	global_store_b64 v19, v[1:2], s[0:1] offset:256
	v_lshlrev_b32_e32 v16, 6, v17
	v_add_nc_u32_e32 v24, 4, v113
	s_wait_dscnt 0x1
	v_fma_mix_f32 v1, v8, v11, v6 op_sel_hi:[0,1,0]
	ds_load_2addr_b32 v[5:6], v5 offset0:64 offset1:96
	v_fma_mix_f32 v9, v7, v9, 0 op_sel:[0,1,0] op_sel_hi:[0,1,0]
	v_and_or_b32 v15, 0x7e0, v20, v21
	v_add_lshl_u32 v25, v72, v16, 3
	v_lshlrev_b32_e32 v16, 1, v24
	v_and_b32_e32 v17, 15, v24
	v_fma_mix_f32 v2, v8, v11, v9 op_sel:[0,1,0] op_sel_hi:[0,1,0]
	v_mad_u32_u24 v9, 0x110, v15, 0
	v_fma_mix_f32 v11, v7, v10, 0 op_sel_hi:[0,1,0]
	v_fma_mix_f32 v10, v7, v10, 0 op_sel:[0,1,0] op_sel_hi:[0,1,0]
	v_and_or_b32 v16, 0x7e0, v16, v17
	s_wait_dscnt 0x1
	v_fma_mix_f32 v17, v13, v3, 0 op_sel_hi:[0,1,0]
	v_add_nc_u32_e32 v15, v9, v0
	v_fma_mix_f32 v3, v13, v3, 0 op_sel:[0,1,0] op_sel_hi:[0,1,0]
	v_fma_mix_f32 v7, v8, v12, v11 op_sel_hi:[0,1,0]
	v_mad_u32_u24 v20, 0x110, v16, 0
	v_fma_mix_f32 v8, v8, v12, v10 op_sel:[0,1,0] op_sel_hi:[0,1,0]
	ds_load_2addr_stride64_b32 v[9:10], v9 offset0:1 offset1:18
	ds_load_2addr_b32 v[11:12], v15 offset1:32
	v_lshlrev_b32_e32 v19, 6, v18
	v_add_nc_u32_e32 v18, 0x1000, v15
	s_wait_dscnt 0x2
	v_fma_mix_f32 v15, v14, v5, v17 op_sel_hi:[0,1,0]
	v_fma_mix_f32 v16, v14, v5, v3 op_sel:[0,1,0] op_sel_hi:[0,1,0]
	v_add_nc_u32_e32 v5, v20, v0
	v_fma_mix_f32 v21, v13, v4, 0 op_sel_hi:[0,1,0]
	ds_load_2addr_b32 v[17:18], v18 offset0:64 offset1:96
	v_fma_mix_f32 v4, v13, v4, 0 op_sel:[0,1,0] op_sel_hi:[0,1,0]
	v_add_lshl_u32 v26, v72, v19, 3
	v_add_nc_u32_e32 v13, 0x1000, v5
	v_fma_mix_f32 v3, v14, v6, v21 op_sel_hi:[0,1,0]
	ds_load_2addr_stride64_b32 v[19:20], v20 offset0:1 offset1:18
	ds_load_2addr_b32 v[21:22], v5 offset1:32
	v_fma_mix_f32 v4, v14, v6, v4 op_sel:[0,1,0] op_sel_hi:[0,1,0]
	ds_load_2addr_b32 v[5:6], v13 offset0:64 offset1:96
	v_lshlrev_b32_e32 v13, 1, v27
	s_clause 0x2
	global_store_b64 v25, v[1:2], s[0:1]
	global_store_b64 v25, v[7:8], s[0:1] offset:256
	global_store_b64 v26, v[3:4], s[0:1] offset:256
	v_lshlrev_b32_e32 v3, 6, v23
	v_add_nc_u32_e32 v23, 6, v113
	s_wait_dscnt 0x4
	v_fma_mix_f32 v14, v9, v11, 0 op_sel_hi:[0,1,0]
	v_and_or_b32 v4, 0x7e0, v13, v28
	v_fma_mix_f32 v2, v9, v11, 0 op_sel:[0,1,0] op_sel_hi:[0,1,0]
	v_fma_mix_f32 v7, v9, v12, 0 op_sel_hi:[0,1,0]
	v_fma_mix_f32 v8, v9, v12, 0 op_sel:[0,1,0] op_sel_hi:[0,1,0]
	v_add_nc_u32_e32 v25, 7, v113
	v_mad_u32_u24 v9, 0x110, v4, 0
	s_wait_dscnt 0x3
	v_fma_mix_f32 v1, v10, v17, v14 op_sel_hi:[0,1,0]
	v_fma_mix_f32 v2, v10, v17, v2 op_sel:[0,1,0] op_sel_hi:[0,1,0]
	v_fma_mix_f32 v4, v10, v18, v8 op_sel:[0,1,0] op_sel_hi:[0,1,0]
	v_add_lshl_u32 v17, v72, v3, 3
	v_add_nc_u32_e32 v8, v9, v0
	v_fma_mix_f32 v3, v10, v18, v7 op_sel_hi:[0,1,0]
	s_wait_dscnt 0x1
	v_fma_mix_f32 v7, v19, v21, 0 op_sel_hi:[0,1,0]
	v_lshlrev_b32_e32 v18, 6, v24
	v_fma_mix_f32 v13, v19, v21, 0 op_sel:[0,1,0] op_sel_hi:[0,1,0]
	ds_load_2addr_stride64_b32 v[9:10], v9 offset0:1 offset1:18
	ds_load_2addr_b32 v[11:12], v8 offset1:32
	v_lshlrev_b32_e32 v14, 1, v23
	v_and_b32_e32 v21, 15, v23
	v_add_nc_u32_e32 v24, 0x1000, v8
	s_wait_dscnt 0x2
	v_fma_mix_f32 v8, v20, v5, v13 op_sel:[0,1,0] op_sel_hi:[0,1,0]
	v_fma_mix_f32 v7, v20, v5, v7 op_sel_hi:[0,1,0]
	v_fma_mix_f32 v5, v19, v22, 0 op_sel_hi:[0,1,0]
	v_and_or_b32 v21, 0x7e0, v14, v21
	ds_load_2addr_b32 v[13:14], v24 offset0:64 offset1:96
	v_fma_mix_f32 v19, v19, v22, 0 op_sel:[0,1,0] op_sel_hi:[0,1,0]
	v_add_lshl_u32 v24, v72, v18, 3
	v_fma_mix_f32 v5, v20, v6, v5 op_sel_hi:[0,1,0]
	v_mad_u32_u24 v18, 0x110, v21, 0
	s_delay_alu instid0(VALU_DEP_4)
	v_fma_mix_f32 v6, v20, v6, v19 op_sel:[0,1,0] op_sel_hi:[0,1,0]
	s_clause 0x3
	global_store_b64 v26, v[15:16], s[0:1]
	global_store_b64 v17, v[1:2], s[0:1]
	global_store_b64 v17, v[3:4], s[0:1] offset:256
	global_store_b64 v24, v[5:6], s[0:1] offset:256
	v_add_nc_u32_e32 v5, v18, v0
	v_lshlrev_b32_e32 v6, 1, v25
	v_and_b32_e32 v15, 15, v25
	s_wait_dscnt 0x1
	v_fma_mix_f32 v16, v9, v11, 0 op_sel_hi:[0,1,0]
	ds_load_2addr_stride64_b32 v[1:2], v18 offset0:1 offset1:18
	ds_load_2addr_b32 v[3:4], v5 offset1:32
	v_add_nc_u32_e32 v17, 0x1000, v5
	v_fma_mix_f32 v11, v9, v11, 0 op_sel:[0,1,0] op_sel_hi:[0,1,0]
	v_and_or_b32 v6, 0x7e0, v6, v15
	v_add_nc_u32_e32 v26, 8, v113
	v_lshlrev_b32_e32 v18, 6, v27
	v_fma_mix_f32 v20, v9, v12, 0 op_sel:[0,1,0] op_sel_hi:[0,1,0]
	s_wait_dscnt 0x2
	v_fma_mix_f32 v5, v10, v13, v16 op_sel_hi:[0,1,0]
	ds_load_2addr_b32 v[15:16], v17 offset0:64 offset1:96
	v_mad_u32_u24 v17, 0x110, v6, 0
	v_fma_mix_f32 v6, v10, v13, v11 op_sel:[0,1,0] op_sel_hi:[0,1,0]
	v_fma_mix_f32 v13, v9, v12, 0 op_sel_hi:[0,1,0]
	v_lshlrev_b32_e32 v21, 1, v26
	v_and_b32_e32 v22, 15, v26
	v_add_nc_u32_e32 v19, v17, v0
	v_add_lshl_u32 v27, v72, v18, 3
	v_fma_mix_f32 v9, v10, v14, v13 op_sel_hi:[0,1,0]
	ds_load_2addr_stride64_b32 v[11:12], v17 offset0:1 offset1:18
	ds_load_2addr_b32 v[17:18], v19 offset1:32
	v_and_or_b32 v13, 0x7e0, v21, v22
	v_fma_mix_f32 v10, v10, v14, v20 op_sel:[0,1,0] op_sel_hi:[0,1,0]
	s_wait_dscnt 0x3
	v_fma_mix_f32 v14, v1, v3, 0 op_sel_hi:[0,1,0]
	v_add_nc_u32_e32 v19, 0x1000, v19
	v_fma_mix_f32 v21, v1, v3, 0 op_sel:[0,1,0] op_sel_hi:[0,1,0]
	v_mad_u32_u24 v22, 0x110, v13, 0
	v_lshlrev_b32_e32 v20, 6, v23
	v_fma_mix_f32 v23, v1, v4, 0 op_sel_hi:[0,1,0]
	v_fma_mix_f32 v28, v1, v4, 0 op_sel:[0,1,0] op_sel_hi:[0,1,0]
	s_wait_dscnt 0x2
	v_fma_mix_f32 v3, v2, v15, v14 op_sel_hi:[0,1,0]
	ds_load_2addr_b32 v[13:14], v19 offset0:64 offset1:96
	v_add_nc_u32_e32 v19, v22, v0
	v_fma_mix_f32 v4, v2, v15, v21 op_sel:[0,1,0] op_sel_hi:[0,1,0]
	v_fma_mix_f32 v1, v2, v16, v23 op_sel_hi:[0,1,0]
	v_add_nc_u32_e32 v23, 9, v113
	v_add_lshl_u32 v29, v72, v20, 3
	v_add_nc_u32_e32 v21, 0x1000, v19
	v_fma_mix_f32 v2, v2, v16, v28 op_sel:[0,1,0] op_sel_hi:[0,1,0]
	ds_load_2addr_stride64_b32 v[15:16], v22 offset0:1 offset1:18
	ds_load_2addr_b32 v[19:20], v19 offset1:32
	ds_load_2addr_b32 v[21:22], v21 offset0:64 offset1:96
	v_lshlrev_b32_e32 v30, 1, v23
	v_and_b32_e32 v31, 15, v23
	s_clause 0x3
	global_store_b64 v24, v[7:8], s[0:1]
	global_store_b64 v27, v[5:6], s[0:1]
	global_store_b64 v27, v[9:10], s[0:1] offset:256
	global_store_b64 v29, v[1:2], s[0:1] offset:256
	s_wait_dscnt 0x4
	v_fma_mix_f32 v28, v11, v17, 0 op_sel_hi:[0,1,0]
	v_lshlrev_b32_e32 v5, 6, v25
	v_fma_mix_f32 v2, v11, v17, 0 op_sel:[0,1,0] op_sel_hi:[0,1,0]
	v_and_or_b32 v6, 0x7e0, v30, v31
	v_fma_mix_f32 v7, v11, v18, 0 op_sel_hi:[0,1,0]
	v_fma_mix_f32 v8, v11, v18, 0 op_sel:[0,1,0] op_sel_hi:[0,1,0]
	v_add_nc_u32_e32 v24, 10, v113
	s_wait_dscnt 0x3
	v_fma_mix_f32 v1, v12, v13, v28 op_sel_hi:[0,1,0]
	v_mad_u32_u24 v9, 0x110, v6, 0
	v_fma_mix_f32 v2, v12, v13, v2 op_sel:[0,1,0] op_sel_hi:[0,1,0]
	v_add_lshl_u32 v17, v72, v5, 3
	v_fma_mix_f32 v5, v12, v14, v7 op_sel_hi:[0,1,0]
	v_fma_mix_f32 v6, v12, v14, v8 op_sel:[0,1,0] op_sel_hi:[0,1,0]
	v_add_nc_u32_e32 v12, v9, v0
	v_lshlrev_b32_e32 v14, 1, v24
	s_wait_dscnt 0x1
	v_fma_mix_f32 v11, v15, v19, 0 op_sel_hi:[0,1,0]
	v_fma_mix_f32 v13, v15, v19, 0 op_sel:[0,1,0] op_sel_hi:[0,1,0]
	v_and_b32_e32 v19, 15, v24
	v_lshlrev_b32_e32 v18, 6, v26
	ds_load_2addr_stride64_b32 v[7:8], v9 offset0:1 offset1:18
	ds_load_2addr_b32 v[9:10], v12 offset1:32
	v_add_nc_u32_e32 v25, 0x1000, v12
	s_wait_dscnt 0x2
	v_fma_mix_f32 v11, v16, v21, v11 op_sel_hi:[0,1,0]
	v_and_or_b32 v19, 0x7e0, v14, v19
	v_fma_mix_f32 v12, v16, v21, v13 op_sel:[0,1,0] op_sel_hi:[0,1,0]
	v_fma_mix_f32 v21, v15, v20, 0 op_sel_hi:[0,1,0]
	v_fma_mix_f32 v20, v15, v20, 0 op_sel:[0,1,0] op_sel_hi:[0,1,0]
	ds_load_2addr_b32 v[13:14], v25 offset0:64 offset1:96
	v_add_lshl_u32 v25, v72, v18, 3
	v_mad_u32_u24 v18, 0x110, v19, 0
	v_fma_mix_f32 v15, v16, v22, v21 op_sel_hi:[0,1,0]
	v_fma_mix_f32 v16, v16, v22, v20 op_sel:[0,1,0] op_sel_hi:[0,1,0]
	v_add_nc_u32_e32 v26, 11, v113
	s_clause 0x3
	global_store_b64 v29, v[3:4], s[0:1]
	global_store_b64 v17, v[1:2], s[0:1]
	global_store_b64 v17, v[5:6], s[0:1] offset:256
	global_store_b64 v25, v[15:16], s[0:1] offset:256
	v_add_nc_u32_e32 v5, v18, v0
	ds_load_2addr_stride64_b32 v[1:2], v18 offset0:1 offset1:18
	ds_load_2addr_b32 v[3:4], v5 offset1:32
	v_lshlrev_b32_e32 v15, 1, v26
	v_and_b32_e32 v16, 15, v26
	v_add_nc_u32_e32 v17, 0x1000, v5
	s_wait_dscnt 0x3
	v_fma_mix_f32 v6, v7, v9, 0 op_sel_hi:[0,1,0]
	v_fma_mix_f32 v9, v7, v9, 0 op_sel:[0,1,0] op_sel_hi:[0,1,0]
	v_lshlrev_b32_e32 v19, 6, v23
	v_and_or_b32 v18, 0x7e0, v15, v16
	ds_load_2addr_b32 v[15:16], v17 offset0:64 offset1:96
	v_add_nc_u32_e32 v23, 12, v113
	s_wait_dscnt 0x3
	v_fma_mix_f32 v5, v8, v13, v6 op_sel_hi:[0,1,0]
	v_fma_mix_f32 v6, v8, v13, v9 op_sel:[0,1,0] op_sel_hi:[0,1,0]
	v_fma_mix_f32 v13, v7, v10, 0 op_sel_hi:[0,1,0]
	v_mad_u32_u24 v9, 0x110, v18, 0
	v_lshlrev_b32_e32 v21, 1, v23
	v_and_b32_e32 v22, 15, v23
	v_add_lshl_u32 v27, v72, v19, 3
	v_fma_mix_f32 v19, v7, v10, 0 op_sel:[0,1,0] op_sel_hi:[0,1,0]
	v_fma_mix_f32 v7, v8, v14, v13 op_sel_hi:[0,1,0]
	v_add_nc_u32_e32 v20, v9, v0
	v_and_or_b32 v13, 0x7e0, v21, v22
	ds_load_2addr_stride64_b32 v[9:10], v9 offset0:1 offset1:18
	ds_load_2addr_b32 v[17:18], v20 offset1:32
	v_fma_mix_f32 v8, v8, v14, v19 op_sel:[0,1,0] op_sel_hi:[0,1,0]
	s_wait_dscnt 0x3
	v_fma_mix_f32 v14, v1, v3, 0 op_sel_hi:[0,1,0]
	v_fma_mix_f32 v3, v1, v3, 0 op_sel:[0,1,0] op_sel_hi:[0,1,0]
	v_mad_u32_u24 v22, 0x110, v13, 0
	v_add_nc_u32_e32 v19, 0x1000, v20
	v_lshlrev_b32_e32 v21, 6, v24
	s_wait_dscnt 0x2
	v_fma_mix_f32 v13, v2, v15, v14 op_sel_hi:[0,1,0]
	v_fma_mix_f32 v24, v1, v4, 0 op_sel_hi:[0,1,0]
	v_fma_mix_f32 v14, v2, v15, v3 op_sel:[0,1,0] op_sel_hi:[0,1,0]
	v_add_nc_u32_e32 v15, v22, v0
	ds_load_2addr_b32 v[19:20], v19 offset0:64 offset1:96
	v_add_lshl_u32 v28, v72, v21, 3
	v_fma_mix_f32 v29, v1, v4, 0 op_sel:[0,1,0] op_sel_hi:[0,1,0]
	v_fma_mix_f32 v1, v2, v16, v24 op_sel_hi:[0,1,0]
	ds_load_2addr_stride64_b32 v[3:4], v22 offset0:1 offset1:18
	v_add_nc_u32_e32 v24, 0x1000, v15
	ds_load_2addr_b32 v[21:22], v15 offset1:32
	v_fma_mix_f32 v2, v2, v16, v29 op_sel:[0,1,0] op_sel_hi:[0,1,0]
	s_wait_dscnt 0x3
	v_fma_mix_f32 v29, v9, v17, 0 op_sel_hi:[0,1,0]
	ds_load_2addr_b32 v[15:16], v24 offset0:64 offset1:96
	v_add_nc_u32_e32 v24, 13, v113
	v_fma_mix_f32 v17, v9, v17, 0 op_sel:[0,1,0] op_sel_hi:[0,1,0]
	s_clause 0x3
	global_store_b64 v25, v[11:12], s[0:1]
	global_store_b64 v27, v[5:6], s[0:1]
	global_store_b64 v27, v[7:8], s[0:1] offset:256
	global_store_b64 v28, v[1:2], s[0:1] offset:256
	v_fma_mix_f32 v6, v9, v18, 0 op_sel_hi:[0,1,0]
	v_fma_mix_f32 v7, v9, v18, 0 op_sel:[0,1,0] op_sel_hi:[0,1,0]
	v_lshlrev_b32_e32 v8, 1, v24
	v_and_b32_e32 v9, 15, v24
	v_lshlrev_b32_e32 v5, 6, v26
	v_add_nc_u32_e32 v26, 14, v113
	s_wait_dscnt 0x3
	v_fma_mix_f32 v1, v10, v19, v29 op_sel_hi:[0,1,0]
	v_fma_mix_f32 v2, v10, v19, v17 op_sel:[0,1,0] op_sel_hi:[0,1,0]
	v_and_or_b32 v8, 0x7e0, v8, v9
	v_add_lshl_u32 v25, v72, v5, 3
	v_fma_mix_f32 v5, v10, v20, v6 op_sel_hi:[0,1,0]
	v_fma_mix_f32 v6, v10, v20, v7 op_sel:[0,1,0] op_sel_hi:[0,1,0]
	s_wait_dscnt 0x1
	v_fma_mix_f32 v7, v3, v21, 0 op_sel_hi:[0,1,0]
	v_fma_mix_f32 v10, v3, v21, 0 op_sel:[0,1,0] op_sel_hi:[0,1,0]
	v_mad_u32_u24 v11, 0x110, v8, 0
	v_lshlrev_b32_e32 v9, 6, v23
	v_lshlrev_b32_e32 v12, 1, v26
	s_wait_dscnt 0x0
	v_fma_mix_f32 v7, v4, v15, v7 op_sel_hi:[0,1,0]
	v_and_b32_e32 v17, 15, v26
	v_fma_mix_f32 v8, v4, v15, v10 op_sel:[0,1,0] op_sel_hi:[0,1,0]
	v_add_nc_u32_e32 v15, v11, v0
	v_add_nc_u32_e32 v23, 15, v113
	v_add_lshl_u32 v21, v72, v9, 3
	v_and_or_b32 v17, 0x7e0, v12, v17
	ds_load_2addr_stride64_b32 v[9:10], v11 offset0:1 offset1:18
	ds_load_2addr_b32 v[11:12], v15 offset1:32
	v_add_nc_u32_e32 v15, 0x1000, v15
	v_lshlrev_b32_e32 v27, 1, v23
	v_and_b32_e32 v29, 15, v23
	v_mad_u32_u24 v20, 0x110, v17, 0
	v_fma_mix_f32 v19, v3, v22, 0 op_sel_hi:[0,1,0]
	ds_load_2addr_b32 v[17:18], v15 offset0:64 offset1:96
	v_fma_mix_f32 v22, v3, v22, 0 op_sel:[0,1,0] op_sel_hi:[0,1,0]
	v_and_or_b32 v27, 0x7e0, v27, v29
	v_add_nc_u32_e32 v30, v20, v0
	v_fma_mix_f32 v3, v4, v16, v19 op_sel_hi:[0,1,0]
	s_delay_alu instid0(VALU_DEP_4) | instskip(NEXT) | instid1(VALU_DEP_4)
	v_fma_mix_f32 v4, v4, v16, v22 op_sel:[0,1,0] op_sel_hi:[0,1,0]
	v_mad_u32_u24 v27, 0x110, v27, 0
	ds_load_2addr_stride64_b32 v[15:16], v20 offset0:1 offset1:18
	ds_load_2addr_b32 v[19:20], v30 offset1:32
	v_add_nc_u32_e32 v22, 0x1000, v30
	s_clause 0x3
	global_store_b64 v28, v[13:14], s[0:1]
	global_store_b64 v25, v[1:2], s[0:1]
	global_store_b64 v25, v[5:6], s[0:1] offset:256
	global_store_b64 v21, v[3:4], s[0:1] offset:256
	v_add_nc_u32_e32 v6, v27, v0
	ds_load_2addr_b32 v[0:1], v22 offset0:64 offset1:96
	s_wait_dscnt 0x4
	v_fma_mix_f32 v13, v9, v11, 0 op_sel_hi:[0,1,0]
	ds_load_2addr_stride64_b32 v[2:3], v27 offset0:1 offset1:18
	ds_load_2addr_b32 v[4:5], v6 offset1:32
	v_add_nc_u32_e32 v6, 0x1000, v6
	v_lshlrev_b32_e32 v22, 6, v24
	v_fma_mix_f32 v24, v9, v11, 0 op_sel:[0,1,0] op_sel_hi:[0,1,0]
	s_wait_dscnt 0x5
	v_fma_mix_f32 v11, v10, v17, v13 op_sel_hi:[0,1,0]
	v_fma_mix_f32 v25, v9, v12, 0 op_sel_hi:[0,1,0]
	ds_load_2addr_b32 v[13:14], v6 offset0:64 offset1:96
	v_fma_mix_f32 v27, v9, v12, 0 op_sel:[0,1,0] op_sel_hi:[0,1,0]
	v_fma_mix_f32 v12, v10, v17, v24 op_sel:[0,1,0] op_sel_hi:[0,1,0]
	v_add_lshl_u32 v6, v72, v22, 3
	v_fma_mix_f32 v9, v10, v18, v25 op_sel_hi:[0,1,0]
	s_delay_alu instid0(VALU_DEP_4)
	v_fma_mix_f32 v10, v10, v18, v27 op_sel:[0,1,0] op_sel_hi:[0,1,0]
	s_wait_dscnt 0x4
	v_fma_mix_f32 v17, v15, v19, 0 op_sel_hi:[0,1,0]
	v_fma_mix_f32 v18, v15, v19, 0 op_sel:[0,1,0] op_sel_hi:[0,1,0]
	v_fma_mix_f32 v22, v15, v20, 0 op_sel_hi:[0,1,0]
	v_fma_mix_f32 v15, v15, v20, 0 op_sel:[0,1,0] op_sel_hi:[0,1,0]
	v_lshlrev_b32_e32 v19, 6, v26
	s_wait_dscnt 0x3
	v_fma_mix_f32 v17, v16, v0, v17 op_sel_hi:[0,1,0]
	v_fma_mix_f32 v18, v16, v0, v18 op_sel:[0,1,0] op_sel_hi:[0,1,0]
	v_fma_mix_f32 v0, v16, v1, v22 op_sel_hi:[0,1,0]
	v_fma_mix_f32 v1, v16, v1, v15 op_sel:[0,1,0] op_sel_hi:[0,1,0]
	s_wait_dscnt 0x1
	v_fma_mix_f32 v15, v2, v4, 0 op_sel_hi:[0,1,0]
	v_fma_mix_f32 v16, v2, v4, 0 op_sel:[0,1,0] op_sel_hi:[0,1,0]
	v_lshlrev_b32_e32 v20, 6, v23
	v_fma_mix_f32 v22, v2, v5, 0 op_sel_hi:[0,1,0]
	v_fma_mix_f32 v23, v2, v5, 0 op_sel:[0,1,0] op_sel_hi:[0,1,0]
	v_add_lshl_u32 v19, v72, v19, 3
	s_wait_dscnt 0x0
	v_fma_mix_f32 v4, v3, v13, v15 op_sel_hi:[0,1,0]
	v_fma_mix_f32 v5, v3, v13, v16 op_sel:[0,1,0] op_sel_hi:[0,1,0]
	v_add_lshl_u32 v13, v72, v20, 3
	v_fma_mix_f32 v2, v3, v14, v22 op_sel_hi:[0,1,0]
	v_fma_mix_f32 v3, v3, v14, v23 op_sel:[0,1,0] op_sel_hi:[0,1,0]
	s_clause 0x6
	global_store_b64 v21, v[7:8], s[0:1]
	global_store_b64 v6, v[11:12], s[0:1]
	global_store_b64 v6, v[9:10], s[0:1] offset:256
	global_store_b64 v19, v[0:1], s[0:1] offset:256
	global_store_b64 v19, v[17:18], s[0:1]
	global_store_b64 v13, v[4:5], s[0:1]
	global_store_b64 v13, v[2:3], s[0:1] offset:256
.LBB25_518:
	s_wait_alu 0xfffe
	s_or_b32 exec_lo, exec_lo, s2
	s_wait_loadcnt 0x0
	s_wait_storecnt 0x0
	s_barrier_signal -1
	s_barrier_wait -1
	global_inv scope:SCOPE_SE
	s_endpgm
	.section	.rodata,"a",@progbits
	.p2align	6, 0x0
	.amdhsa_kernel _ZL18flash_attn_ext_f16ILi128ELi128ELi8ELi2ELb1ELb0EEvPKcS1_S1_S1_S1_PKiPfP15HIP_vector_typeIfLj2EEffffjfiS5_IjLj3EEiiiiiiiiiiiliiliiiiil
		.amdhsa_group_segment_fixed_size 0
		.amdhsa_private_segment_fixed_size 340
		.amdhsa_kernarg_size 464
		.amdhsa_user_sgpr_count 2
		.amdhsa_user_sgpr_dispatch_ptr 0
		.amdhsa_user_sgpr_queue_ptr 0
		.amdhsa_user_sgpr_kernarg_segment_ptr 1
		.amdhsa_user_sgpr_dispatch_id 0
		.amdhsa_user_sgpr_private_segment_size 0
		.amdhsa_wavefront_size32 1
		.amdhsa_uses_dynamic_stack 0
		.amdhsa_enable_private_segment 1
		.amdhsa_system_sgpr_workgroup_id_x 1
		.amdhsa_system_sgpr_workgroup_id_y 0
		.amdhsa_system_sgpr_workgroup_id_z 0
		.amdhsa_system_sgpr_workgroup_info 0
		.amdhsa_system_vgpr_workitem_id 1
		.amdhsa_next_free_vgpr 256
		.amdhsa_next_free_sgpr 105
		.amdhsa_reserve_vcc 1
		.amdhsa_float_round_mode_32 0
		.amdhsa_float_round_mode_16_64 0
		.amdhsa_float_denorm_mode_32 3
		.amdhsa_float_denorm_mode_16_64 3
		.amdhsa_fp16_overflow 0
		.amdhsa_workgroup_processor_mode 1
		.amdhsa_memory_ordered 1
		.amdhsa_forward_progress 1
		.amdhsa_inst_pref_size 255
		.amdhsa_round_robin_scheduling 0
		.amdhsa_exception_fp_ieee_invalid_op 0
		.amdhsa_exception_fp_denorm_src 0
		.amdhsa_exception_fp_ieee_div_zero 0
		.amdhsa_exception_fp_ieee_overflow 0
		.amdhsa_exception_fp_ieee_underflow 0
		.amdhsa_exception_fp_ieee_inexact 0
		.amdhsa_exception_int_div_zero 0
	.end_amdhsa_kernel
	.section	.text._ZL18flash_attn_ext_f16ILi128ELi128ELi8ELi2ELb1ELb0EEvPKcS1_S1_S1_S1_PKiPfP15HIP_vector_typeIfLj2EEffffjfiS5_IjLj3EEiiiiiiiiiiiliiliiiiil,"axG",@progbits,_ZL18flash_attn_ext_f16ILi128ELi128ELi8ELi2ELb1ELb0EEvPKcS1_S1_S1_S1_PKiPfP15HIP_vector_typeIfLj2EEffffjfiS5_IjLj3EEiiiiiiiiiiiliiliiiiil,comdat
.Lfunc_end25:
	.size	_ZL18flash_attn_ext_f16ILi128ELi128ELi8ELi2ELb1ELb0EEvPKcS1_S1_S1_S1_PKiPfP15HIP_vector_typeIfLj2EEffffjfiS5_IjLj3EEiiiiiiiiiiiliiliiiiil, .Lfunc_end25-_ZL18flash_attn_ext_f16ILi128ELi128ELi8ELi2ELb1ELb0EEvPKcS1_S1_S1_S1_PKiPfP15HIP_vector_typeIfLj2EEffffjfiS5_IjLj3EEiiiiiiiiiiiliiliiiiil
                                        ; -- End function
	.set _ZL18flash_attn_ext_f16ILi128ELi128ELi8ELi2ELb1ELb0EEvPKcS1_S1_S1_S1_PKiPfP15HIP_vector_typeIfLj2EEffffjfiS5_IjLj3EEiiiiiiiiiiiliiliiiiil.num_vgpr, 256
	.set _ZL18flash_attn_ext_f16ILi128ELi128ELi8ELi2ELb1ELb0EEvPKcS1_S1_S1_S1_PKiPfP15HIP_vector_typeIfLj2EEffffjfiS5_IjLj3EEiiiiiiiiiiiliiliiiiil.num_agpr, 0
	.set _ZL18flash_attn_ext_f16ILi128ELi128ELi8ELi2ELb1ELb0EEvPKcS1_S1_S1_S1_PKiPfP15HIP_vector_typeIfLj2EEffffjfiS5_IjLj3EEiiiiiiiiiiiliiliiiiil.numbered_sgpr, 105
	.set _ZL18flash_attn_ext_f16ILi128ELi128ELi8ELi2ELb1ELb0EEvPKcS1_S1_S1_S1_PKiPfP15HIP_vector_typeIfLj2EEffffjfiS5_IjLj3EEiiiiiiiiiiiliiliiiiil.num_named_barrier, 0
	.set _ZL18flash_attn_ext_f16ILi128ELi128ELi8ELi2ELb1ELb0EEvPKcS1_S1_S1_S1_PKiPfP15HIP_vector_typeIfLj2EEffffjfiS5_IjLj3EEiiiiiiiiiiiliiliiiiil.private_seg_size, 340
	.set _ZL18flash_attn_ext_f16ILi128ELi128ELi8ELi2ELb1ELb0EEvPKcS1_S1_S1_S1_PKiPfP15HIP_vector_typeIfLj2EEffffjfiS5_IjLj3EEiiiiiiiiiiiliiliiiiil.uses_vcc, 1
	.set _ZL18flash_attn_ext_f16ILi128ELi128ELi8ELi2ELb1ELb0EEvPKcS1_S1_S1_S1_PKiPfP15HIP_vector_typeIfLj2EEffffjfiS5_IjLj3EEiiiiiiiiiiiliiliiiiil.uses_flat_scratch, 1
	.set _ZL18flash_attn_ext_f16ILi128ELi128ELi8ELi2ELb1ELb0EEvPKcS1_S1_S1_S1_PKiPfP15HIP_vector_typeIfLj2EEffffjfiS5_IjLj3EEiiiiiiiiiiiliiliiiiil.has_dyn_sized_stack, 0
	.set _ZL18flash_attn_ext_f16ILi128ELi128ELi8ELi2ELb1ELb0EEvPKcS1_S1_S1_S1_PKiPfP15HIP_vector_typeIfLj2EEffffjfiS5_IjLj3EEiiiiiiiiiiiliiliiiiil.has_recursion, 0
	.set _ZL18flash_attn_ext_f16ILi128ELi128ELi8ELi2ELb1ELb0EEvPKcS1_S1_S1_S1_PKiPfP15HIP_vector_typeIfLj2EEffffjfiS5_IjLj3EEiiiiiiiiiiiliiliiiiil.has_indirect_call, 0
	.section	.AMDGPU.csdata,"",@progbits
; Kernel info:
; codeLenInByte = 77624
; TotalNumSgprs: 107
; NumVgprs: 256
; ScratchSize: 340
; MemoryBound: 0
; FloatMode: 240
; IeeeMode: 1
; LDSByteSize: 0 bytes/workgroup (compile time only)
; SGPRBlocks: 0
; VGPRBlocks: 31
; NumSGPRsForWavesPerEU: 107
; NumVGPRsForWavesPerEU: 256
; Occupancy: 5
; WaveLimiterHint : 1
; COMPUTE_PGM_RSRC2:SCRATCH_EN: 1
; COMPUTE_PGM_RSRC2:USER_SGPR: 2
; COMPUTE_PGM_RSRC2:TRAP_HANDLER: 0
; COMPUTE_PGM_RSRC2:TGID_X_EN: 1
; COMPUTE_PGM_RSRC2:TGID_Y_EN: 0
; COMPUTE_PGM_RSRC2:TGID_Z_EN: 0
; COMPUTE_PGM_RSRC2:TIDIG_COMP_CNT: 1
	.section	.text._ZL33flash_attn_stream_k_fixup_uniformILi128ELi8ELi2EEvPfPK15HIP_vector_typeIfLj2EEiiiiiiS1_IjLj3EES5_S5_,"axG",@progbits,_ZL33flash_attn_stream_k_fixup_uniformILi128ELi8ELi2EEvPfPK15HIP_vector_typeIfLj2EEiiiiiiS1_IjLj3EES5_S5_,comdat
	.globl	_ZL33flash_attn_stream_k_fixup_uniformILi128ELi8ELi2EEvPfPK15HIP_vector_typeIfLj2EEiiiiiiS1_IjLj3EES5_S5_ ; -- Begin function _ZL33flash_attn_stream_k_fixup_uniformILi128ELi8ELi2EEvPfPK15HIP_vector_typeIfLj2EEiiiiiiS1_IjLj3EES5_S5_
	.p2align	8
	.type	_ZL33flash_attn_stream_k_fixup_uniformILi128ELi8ELi2EEvPfPK15HIP_vector_typeIfLj2EEiiiiiiS1_IjLj3EES5_S5_,@function
_ZL33flash_attn_stream_k_fixup_uniformILi128ELi8ELi2EEvPfPK15HIP_vector_typeIfLj2EEiiiiiiS1_IjLj3EES5_S5_: ; @_ZL33flash_attn_stream_k_fixup_uniformILi128ELi8ELi2EEvPfPK15HIP_vector_typeIfLj2EEiiiiiiS1_IjLj3EES5_S5_
; %bb.0:
	s_clause 0x1
	s_load_b256 s[4:11], s[0:1], 0x1c
	s_load_b128 s[12:15], s[0:1], 0x3c
	s_wait_kmcnt 0x0
	s_mul_hi_u32 s2, s7, ttmp9
	s_delay_alu instid0(SALU_CYCLE_1) | instskip(NEXT) | instid1(SALU_CYCLE_1)
	s_add_co_i32 s2, ttmp9, s2
	s_lshr_b32 s2, s2, s8
	s_delay_alu instid0(SALU_CYCLE_1) | instskip(SKIP_2) | instid1(SALU_CYCLE_1)
	s_mul_i32 s3, s2, s9
	s_load_b64 s[8:9], s[0:1], 0x10
	s_sub_co_i32 s7, ttmp9, s3
	s_mul_hi_u32 s3, s7, s10
	s_delay_alu instid0(SALU_CYCLE_1) | instskip(NEXT) | instid1(SALU_CYCLE_1)
	s_add_co_i32 s3, s7, s3
	s_lshr_b32 s3, s3, s11
	s_delay_alu instid0(SALU_CYCLE_1) | instskip(NEXT) | instid1(SALU_CYCLE_1)
	s_mul_i32 s10, s3, s12
	s_sub_co_i32 s7, s7, s10
	s_delay_alu instid0(SALU_CYCLE_1) | instskip(NEXT) | instid1(SALU_CYCLE_1)
	s_mul_hi_u32 s10, s7, s13
	s_add_co_i32 s10, s7, s10
	s_delay_alu instid0(SALU_CYCLE_1) | instskip(NEXT) | instid1(SALU_CYCLE_1)
	s_lshr_b32 s12, s10, s14
	s_mul_i32 s10, s12, s15
	s_lshl_b32 s12, s12, 1
	s_sub_co_i32 s11, s7, s10
	s_and_b32 s7, ttmp7, 0xffff
	s_lshl_b32 s13, s11, 3
	s_lshr_b32 s10, ttmp7, 16
	s_add_co_i32 s13, s13, s7
	s_wait_kmcnt 0x0
	s_cmp_lt_i32 s13, s8
	s_cselect_b32 s13, -1, 0
	s_add_co_i32 s14, s12, s10
	s_delay_alu instid0(SALU_CYCLE_1) | instskip(SKIP_1) | instid1(SALU_CYCLE_1)
	s_cmp_lt_i32 s14, s5
	s_cselect_b32 s14, -1, 0
	s_and_b32 s13, s13, s14
	s_delay_alu instid0(SALU_CYCLE_1)
	s_and_not1_b32 vcc_lo, exec_lo, s13
	s_cbranch_vccnz .LBB26_6
; %bb.1:
	s_mul_i32 s2, s2, s8
	s_mul_i32 s5, s3, s5
	s_add_co_i32 s2, s2, s7
	s_delay_alu instid0(SALU_CYCLE_1) | instskip(NEXT) | instid1(SALU_CYCLE_1)
	s_mul_i32 s2, s2, s9
	s_add_co_i32 s8, s2, s10
	s_load_b128 s[0:3], s[0:1], 0x0
	s_add_co_i32 s5, s8, s5
	s_mul_i32 s8, s9, s11
	s_add_co_i32 s5, s5, s12
	s_lshl_b32 s8, s8, 10
	s_lshl_b32 s5, s5, 7
	s_delay_alu instid0(SALU_CYCLE_1)
	s_add_co_i32 s8, s8, s5
	s_lshl_b32 s5, s7, 1
	v_or_b32_e32 v1, s8, v0
	s_mul_i32 s8, s6, ttmp9
	s_wait_alu 0xfffe
	s_add_co_i32 s9, s8, s6
	s_wait_alu 0xfffe
	s_add_co_i32 s12, s9, -2
	v_ashrrev_i32_e32 v2, 31, v1
	s_delay_alu instid0(VALU_DEP_1) | instskip(SKIP_1) | instid1(VALU_DEP_1)
	v_lshlrev_b64_e32 v[1:2], 2, v[1:2]
	s_wait_kmcnt 0x0
	v_add_co_u32 v1, vcc_lo, s0, v1
	s_delay_alu instid0(VALU_DEP_1)
	v_add_co_ci_u32_e64 v2, null, s1, v2, vcc_lo
	s_add_co_i32 s0, s5, s10
	s_lshl_b32 s1, s9, 4
	global_load_b32 v5, v[1:2], off
	s_wait_alu 0xfffe
	s_add_co_i32 s0, s0, s1
	s_wait_alu 0xfffe
	s_add_co_i32 s0, s0, -16
	s_wait_alu 0xfffe
	s_ashr_i32 s1, s0, 31
	s_wait_alu 0xfffe
	s_lshl_b64 s[0:1], s[0:1], 3
	s_cmp_lt_i32 s12, s8
	s_wait_alu 0xfffe
	s_add_nc_u64 s[0:1], s[2:3], s[0:1]
	s_load_b32 s11, s[0:1], 0x4
	s_cbranch_scc1 .LBB26_4
; %bb.2:
	s_load_b32 s0, s[0:1], 0x0
	s_add_co_i32 s13, ttmp9, 1
	s_lshl_b32 s12, s4, 6
	s_mul_i32 s1, s6, s13
	s_lshl_b32 s6, s7, 8
	s_lshl_b32 s7, s10, 7
	s_wait_alu 0xfffe
	s_lshl_b32 s14, s1, 11
	s_add_co_i32 s6, s7, s6
	s_lshl_b32 s1, s1, 4
	s_add_co_i32 s14, s6, s14
	s_wait_alu 0xfffe
	s_add_co_i32 s1, s10, s1
	v_or_b32_e32 v0, s14, v0
	s_lshl_b32 s4, s4, 4
	s_ashr_i32 s13, s12, 31
	s_wait_alu 0xfffe
	s_add_co_i32 s1, s1, s4
	s_wait_kmcnt 0x0
	v_dual_mov_b32 v6, s11 :: v_dual_add_nc_u32 v3, 0xfffff000, v0
	s_lshl_b64 s[6:7], s[12:13], 2
	s_wait_alu 0xfffe
	s_add_co_i32 s4, s1, s5
	s_add_nc_u64 s[6:7], s[2:3], s[6:7]
	s_add_co_i32 s1, s9, -1
	s_sub_co_i32 s4, s4, 32
.LBB26_3:                               ; =>This Inner Loop Header: Depth=1
	v_ashrrev_i32_e32 v4, 31, v3
	s_ashr_i32 s5, s4, 31
	v_mov_b32_e32 v10, v6
	s_lshl_b64 s[10:11], s[4:5], 3
	s_wait_loadcnt 0x0
	v_mov_b32_e32 v9, v5
	v_lshlrev_b64_e32 v[7:8], 2, v[3:4]
	s_wait_alu 0xfffe
	s_add_nc_u64 s[10:11], s[2:3], s[10:11]
	v_max_num_f32_e64 v4, s0, s0
	s_load_b64 s[10:11], s[10:11], 0x0
	v_add_nc_u32_e32 v3, 0xfffff800, v3
	v_add_co_u32 v7, vcc_lo, s6, v7
	s_wait_alu 0xfffd
	v_add_co_ci_u32_e64 v8, null, s7, v8, vcc_lo
	v_readfirstlane_b32 s5, v4
	global_load_b32 v0, v[7:8], off
	s_wait_kmcnt 0x0
	v_max_num_f32_e64 v4, s10, s10
	s_delay_alu instid0(VALU_DEP_1) | instskip(SKIP_1) | instid1(SALU_CYCLE_3)
	v_readfirstlane_b32 s9, v4
	s_max_num_f32 s5, s5, s9
	s_sub_f32 s0, s0, s5
	s_sub_f32 s9, s10, s5
	s_wait_alu 0xfffe
	s_delay_alu instid0(SALU_CYCLE_1) | instskip(NEXT) | instid1(SALU_CYCLE_1)
	s_mul_f32 s10, s0, 0x3fb8aa3b
	s_mul_f32 s12, s9, 0x3fb8aa3b
	s_wait_alu 0xfffe
	s_delay_alu instid0(SALU_CYCLE_1)
	s_xor_b32 s13, s10, 0x80000000
	s_rndne_f32 s14, s10
	s_fmamk_f32 s13, s0, 0x3fb8aa3b, s13
	s_cmp_nlt_f32 s0, 0xc2ce8ed0
	s_rndne_f32 s15, s12
	s_wait_alu 0xfffe
	s_sub_f32 s10, s10, s14
	s_fmamk_f32 s13, s0, 0x32a5705f, s13
	s_cvt_i32_f32 s14, s14
	s_cselect_b32 vcc_lo, -1, 0
	s_cmp_ngt_f32 s0, 0x42b17218
	s_wait_alu 0xfffe
	s_add_f32 s10, s10, s13
	s_sub_f32 s13, s12, s15
	s_wait_alu 0xfffe
	s_delay_alu instid0(SALU_CYCLE_1) | instskip(SKIP_1) | instid1(TRANS32_DEP_1)
	v_s_exp_f32 s10, s10
	s_wait_alu 0xf1ff
	v_ldexp_f32 v4, s10, s14
	s_cvt_i32_f32 s10, s15
	s_delay_alu instid0(VALU_DEP_1) | instskip(SKIP_3) | instid1(VALU_DEP_1)
	v_cndmask_b32_e32 v4, 0, v4, vcc_lo
	s_cselect_b32 vcc_lo, -1, 0
	s_cmp_ge_f32 s0, 0xc1a00000
	s_wait_alu 0xfffe
	v_cndmask_b32_e32 v4, 0x7f800000, v4, vcc_lo
	s_cselect_b32 vcc_lo, -1, 0
	s_xor_b32 s0, s12, 0x80000000
	s_cmp_nlt_f32 s9, 0xc2ce8ed0
	s_wait_alu 0xfffe
	s_fmamk_f32 s0, s9, 0x3fb8aa3b, s0
	s_wait_alu 0xfffe
	s_delay_alu instid0(SALU_CYCLE_2) | instskip(SKIP_1) | instid1(SALU_CYCLE_2)
	s_fmamk_f32 s0, s9, 0x32a5705f, s0
	s_wait_alu 0xfffe
	s_add_f32 s0, s13, s0
	s_wait_alu 0xfffe
	s_delay_alu instid0(SALU_CYCLE_2) | instskip(SKIP_1) | instid1(TRANS32_DEP_1)
	v_s_exp_f32 s0, s0
	s_wait_alu 0xf1ff
	v_ldexp_f32 v7, s0, s10
	s_cselect_b32 s0, -1, 0
	s_cmp_ngt_f32 s9, 0x42b17218
	s_wait_alu 0xfffe
	s_delay_alu instid0(VALU_DEP_1) | instskip(SKIP_3) | instid1(VALU_DEP_1)
	v_cndmask_b32_e64 v7, 0, v7, s0
	s_cselect_b32 s0, -1, 0
	s_cmp_ge_f32 s9, 0xc1a00000
	s_wait_alu 0xfffe
	v_cndmask_b32_e64 v7, 0x7f800000, v7, s0
	s_cselect_b32 s0, -1, 0
	s_add_co_i32 s1, s1, -1
	s_add_co_i32 s4, s4, -16
	s_wait_alu 0xfffe
	s_cmp_le_i32 s1, s8
	v_cndmask_b32_e64 v7, 0, v7, s0
	s_mov_b32 s0, s5
	s_wait_loadcnt 0x0
	s_delay_alu instid0(VALU_DEP_1) | instskip(NEXT) | instid1(VALU_DEP_1)
	v_dual_mul_f32 v5, v0, v7 :: v_dual_cndmask_b32 v4, 0, v4
	v_dual_mul_f32 v8, s11, v7 :: v_dual_fmac_f32 v5, v9, v4
	s_delay_alu instid0(VALU_DEP_1) | instskip(NEXT) | instid1(VALU_DEP_1)
	v_mov_b32_e32 v6, v8
	v_fmac_f32_e32 v6, v10, v4
	s_cbranch_scc0 .LBB26_3
	s_branch .LBB26_5
.LBB26_4:
	s_wait_kmcnt 0x0
	v_mov_b32_e32 v6, s11
.LBB26_5:
	s_wait_loadcnt 0x0
	s_delay_alu instid0(VALU_DEP_1) | instskip(NEXT) | instid1(VALU_DEP_1)
	v_div_scale_f32 v0, null, v6, v6, v5
	v_rcp_f32_e32 v3, v0
	s_delay_alu instid0(TRANS32_DEP_1) | instskip(NEXT) | instid1(VALU_DEP_1)
	v_fma_f32 v4, -v0, v3, 1.0
	v_fmac_f32_e32 v3, v4, v3
	v_div_scale_f32 v4, vcc_lo, v5, v6, v5
	s_delay_alu instid0(VALU_DEP_1) | instskip(NEXT) | instid1(VALU_DEP_1)
	v_mul_f32_e32 v7, v4, v3
	v_fma_f32 v8, -v0, v7, v4
	s_delay_alu instid0(VALU_DEP_1) | instskip(NEXT) | instid1(VALU_DEP_1)
	v_fmac_f32_e32 v7, v8, v3
	v_fma_f32 v0, -v0, v7, v4
	s_wait_alu 0xfffd
	s_delay_alu instid0(VALU_DEP_1) | instskip(NEXT) | instid1(VALU_DEP_1)
	v_div_fmas_f32 v0, v0, v3, v7
	v_div_fixup_f32 v0, v0, v6, v5
	global_store_b32 v[1:2], v0, off
.LBB26_6:
	s_endpgm
	.section	.rodata,"a",@progbits
	.p2align	6, 0x0
	.amdhsa_kernel _ZL33flash_attn_stream_k_fixup_uniformILi128ELi8ELi2EEvPfPK15HIP_vector_typeIfLj2EEiiiiiiS1_IjLj3EES5_S5_
		.amdhsa_group_segment_fixed_size 0
		.amdhsa_private_segment_fixed_size 0
		.amdhsa_kernarg_size 76
		.amdhsa_user_sgpr_count 2
		.amdhsa_user_sgpr_dispatch_ptr 0
		.amdhsa_user_sgpr_queue_ptr 0
		.amdhsa_user_sgpr_kernarg_segment_ptr 1
		.amdhsa_user_sgpr_dispatch_id 0
		.amdhsa_user_sgpr_private_segment_size 0
		.amdhsa_wavefront_size32 1
		.amdhsa_uses_dynamic_stack 0
		.amdhsa_enable_private_segment 0
		.amdhsa_system_sgpr_workgroup_id_x 1
		.amdhsa_system_sgpr_workgroup_id_y 1
		.amdhsa_system_sgpr_workgroup_id_z 1
		.amdhsa_system_sgpr_workgroup_info 0
		.amdhsa_system_vgpr_workitem_id 0
		.amdhsa_next_free_vgpr 11
		.amdhsa_next_free_sgpr 16
		.amdhsa_reserve_vcc 1
		.amdhsa_float_round_mode_32 0
		.amdhsa_float_round_mode_16_64 0
		.amdhsa_float_denorm_mode_32 3
		.amdhsa_float_denorm_mode_16_64 3
		.amdhsa_fp16_overflow 0
		.amdhsa_workgroup_processor_mode 1
		.amdhsa_memory_ordered 1
		.amdhsa_forward_progress 1
		.amdhsa_inst_pref_size 9
		.amdhsa_round_robin_scheduling 0
		.amdhsa_exception_fp_ieee_invalid_op 0
		.amdhsa_exception_fp_denorm_src 0
		.amdhsa_exception_fp_ieee_div_zero 0
		.amdhsa_exception_fp_ieee_overflow 0
		.amdhsa_exception_fp_ieee_underflow 0
		.amdhsa_exception_fp_ieee_inexact 0
		.amdhsa_exception_int_div_zero 0
	.end_amdhsa_kernel
	.section	.text._ZL33flash_attn_stream_k_fixup_uniformILi128ELi8ELi2EEvPfPK15HIP_vector_typeIfLj2EEiiiiiiS1_IjLj3EES5_S5_,"axG",@progbits,_ZL33flash_attn_stream_k_fixup_uniformILi128ELi8ELi2EEvPfPK15HIP_vector_typeIfLj2EEiiiiiiS1_IjLj3EES5_S5_,comdat
.Lfunc_end26:
	.size	_ZL33flash_attn_stream_k_fixup_uniformILi128ELi8ELi2EEvPfPK15HIP_vector_typeIfLj2EEiiiiiiS1_IjLj3EES5_S5_, .Lfunc_end26-_ZL33flash_attn_stream_k_fixup_uniformILi128ELi8ELi2EEvPfPK15HIP_vector_typeIfLj2EEiiiiiiS1_IjLj3EES5_S5_
                                        ; -- End function
	.set _ZL33flash_attn_stream_k_fixup_uniformILi128ELi8ELi2EEvPfPK15HIP_vector_typeIfLj2EEiiiiiiS1_IjLj3EES5_S5_.num_vgpr, 11
	.set _ZL33flash_attn_stream_k_fixup_uniformILi128ELi8ELi2EEvPfPK15HIP_vector_typeIfLj2EEiiiiiiS1_IjLj3EES5_S5_.num_agpr, 0
	.set _ZL33flash_attn_stream_k_fixup_uniformILi128ELi8ELi2EEvPfPK15HIP_vector_typeIfLj2EEiiiiiiS1_IjLj3EES5_S5_.numbered_sgpr, 16
	.set _ZL33flash_attn_stream_k_fixup_uniformILi128ELi8ELi2EEvPfPK15HIP_vector_typeIfLj2EEiiiiiiS1_IjLj3EES5_S5_.num_named_barrier, 0
	.set _ZL33flash_attn_stream_k_fixup_uniformILi128ELi8ELi2EEvPfPK15HIP_vector_typeIfLj2EEiiiiiiS1_IjLj3EES5_S5_.private_seg_size, 0
	.set _ZL33flash_attn_stream_k_fixup_uniformILi128ELi8ELi2EEvPfPK15HIP_vector_typeIfLj2EEiiiiiiS1_IjLj3EES5_S5_.uses_vcc, 1
	.set _ZL33flash_attn_stream_k_fixup_uniformILi128ELi8ELi2EEvPfPK15HIP_vector_typeIfLj2EEiiiiiiS1_IjLj3EES5_S5_.uses_flat_scratch, 0
	.set _ZL33flash_attn_stream_k_fixup_uniformILi128ELi8ELi2EEvPfPK15HIP_vector_typeIfLj2EEiiiiiiS1_IjLj3EES5_S5_.has_dyn_sized_stack, 0
	.set _ZL33flash_attn_stream_k_fixup_uniformILi128ELi8ELi2EEvPfPK15HIP_vector_typeIfLj2EEiiiiiiS1_IjLj3EES5_S5_.has_recursion, 0
	.set _ZL33flash_attn_stream_k_fixup_uniformILi128ELi8ELi2EEvPfPK15HIP_vector_typeIfLj2EEiiiiiiS1_IjLj3EES5_S5_.has_indirect_call, 0
	.section	.AMDGPU.csdata,"",@progbits
; Kernel info:
; codeLenInByte = 1140
; TotalNumSgprs: 18
; NumVgprs: 11
; ScratchSize: 0
; MemoryBound: 0
; FloatMode: 240
; IeeeMode: 1
; LDSByteSize: 0 bytes/workgroup (compile time only)
; SGPRBlocks: 0
; VGPRBlocks: 1
; NumSGPRsForWavesPerEU: 18
; NumVGPRsForWavesPerEU: 11
; Occupancy: 16
; WaveLimiterHint : 0
; COMPUTE_PGM_RSRC2:SCRATCH_EN: 0
; COMPUTE_PGM_RSRC2:USER_SGPR: 2
; COMPUTE_PGM_RSRC2:TRAP_HANDLER: 0
; COMPUTE_PGM_RSRC2:TGID_X_EN: 1
; COMPUTE_PGM_RSRC2:TGID_Y_EN: 1
; COMPUTE_PGM_RSRC2:TGID_Z_EN: 1
; COMPUTE_PGM_RSRC2:TIDIG_COMP_CNT: 0
	.section	.text._ZL33flash_attn_stream_k_fixup_generalILi128ELi8ELi2EEvPfPK15HIP_vector_typeIfLj2EEiiiiS1_IjLj3EES5_S5_S5_,"axG",@progbits,_ZL33flash_attn_stream_k_fixup_generalILi128ELi8ELi2EEvPfPK15HIP_vector_typeIfLj2EEiiiiS1_IjLj3EES5_S5_S5_,comdat
	.globl	_ZL33flash_attn_stream_k_fixup_generalILi128ELi8ELi2EEvPfPK15HIP_vector_typeIfLj2EEiiiiS1_IjLj3EES5_S5_S5_ ; -- Begin function _ZL33flash_attn_stream_k_fixup_generalILi128ELi8ELi2EEvPfPK15HIP_vector_typeIfLj2EEiiiiS1_IjLj3EES5_S5_S5_
	.p2align	8
	.type	_ZL33flash_attn_stream_k_fixup_generalILi128ELi8ELi2EEvPfPK15HIP_vector_typeIfLj2EEiiiiS1_IjLj3EES5_S5_S5_,@function
_ZL33flash_attn_stream_k_fixup_generalILi128ELi8ELi2EEvPfPK15HIP_vector_typeIfLj2EEiiiiS1_IjLj3EES5_S5_S5_: ; @_ZL33flash_attn_stream_k_fixup_generalILi128ELi8ELi2EEvPfPK15HIP_vector_typeIfLj2EEiiiiS1_IjLj3EES5_S5_S5_
; %bb.0:
	s_clause 0x1
	s_load_b128 s[4:7], s[0:1], 0x10
	s_load_b32 s16, s[0:1], 0x50
	s_mov_b32 s2, ttmp9
	s_ashr_i32 s3, ttmp9, 31
	s_mov_b32 s17, 0
	s_delay_alu instid0(SALU_CYCLE_1) | instskip(SKIP_3) | instid1(SALU_CYCLE_1)
	s_mov_b32 s8, s17
	s_wait_kmcnt 0x0
	s_ashr_i32 s19, s7, 31
	s_mov_b32 s18, s7
	s_mul_u64 s[2:3], s[18:19], s[2:3]
	s_delay_alu instid0(SALU_CYCLE_1) | instskip(NEXT) | instid1(SALU_CYCLE_1)
	s_mov_b32 s9, s3
	s_cmp_lg_u64 s[8:9], 0
	s_cbranch_scc0 .LBB27_21
; %bb.1:
	s_add_nc_u64 s[8:9], s[16:17], 0
	s_mov_b32 s15, s17
	s_xor_b64 s[8:9], s[8:9], 0
	s_mov_b32 s23, s17
	s_cvt_f32_u32 s7, s8
	s_cvt_f32_u32 s10, s9
	s_sub_nc_u64 s[12:13], 0, s[8:9]
	s_delay_alu instid0(SALU_CYCLE_2) | instskip(NEXT) | instid1(SALU_CYCLE_3)
	s_fmamk_f32 s7, s10, 0x4f800000, s7
	v_s_rcp_f32 s7, s7
	s_delay_alu instid0(TRANS32_DEP_1) | instskip(SKIP_1) | instid1(SALU_CYCLE_2)
	s_mul_f32 s7, s7, 0x5f7ffffc
	s_wait_alu 0xfffe
	s_mul_f32 s10, s7, 0x2f800000
	s_delay_alu instid0(SALU_CYCLE_3) | instskip(NEXT) | instid1(SALU_CYCLE_3)
	s_trunc_f32 s10, s10
	s_fmamk_f32 s7, s10, 0xcf800000, s7
	s_cvt_u32_f32 s11, s10
	s_wait_alu 0xfffe
	s_delay_alu instid0(SALU_CYCLE_1) | instskip(NEXT) | instid1(SALU_CYCLE_3)
	s_cvt_u32_f32 s10, s7
	s_mul_u64 s[20:21], s[12:13], s[10:11]
	s_delay_alu instid0(SALU_CYCLE_1)
	s_mul_hi_u32 s25, s10, s21
	s_mul_i32 s24, s10, s21
	s_mul_hi_u32 s14, s10, s20
	s_mul_i32 s22, s11, s20
	s_add_nc_u64 s[14:15], s[14:15], s[24:25]
	s_mul_hi_u32 s7, s11, s20
	s_mul_hi_u32 s26, s11, s21
	s_add_co_u32 s14, s14, s22
	s_wait_alu 0xfffe
	s_add_co_ci_u32 s22, s15, s7
	s_mul_i32 s20, s11, s21
	s_add_co_ci_u32 s21, s26, 0
	s_delay_alu instid0(SALU_CYCLE_1)
	s_add_nc_u64 s[14:15], s[22:23], s[20:21]
	s_mov_b32 s21, s17
	s_add_co_u32 s10, s10, s14
	s_cselect_b32 s7, -1, 0
	s_wait_alu 0xfffe
	s_cmp_lg_u32 s7, 0
	s_add_co_ci_u32 s11, s11, s15
	s_mov_b32 s15, s17
	s_mul_u64 s[12:13], s[12:13], s[10:11]
	s_delay_alu instid0(SALU_CYCLE_1)
	s_mul_hi_u32 s23, s10, s13
	s_mul_i32 s22, s10, s13
	s_mul_hi_u32 s14, s10, s12
	s_mul_i32 s20, s11, s12
	s_add_nc_u64 s[14:15], s[14:15], s[22:23]
	s_mul_hi_u32 s7, s11, s12
	s_mul_hi_u32 s24, s11, s13
	s_mul_i32 s12, s11, s13
	s_add_co_u32 s13, s14, s20
	s_wait_alu 0xfffe
	s_add_co_ci_u32 s20, s15, s7
	s_add_co_ci_u32 s13, s24, 0
	s_mov_b32 s15, s17
	s_add_nc_u64 s[12:13], s[20:21], s[12:13]
	s_delay_alu instid0(SALU_CYCLE_1) | instskip(SKIP_1) | instid1(SALU_CYCLE_1)
	s_add_co_u32 s7, s10, s12
	s_cselect_b32 s10, -1, 0
	s_cmp_lg_u32 s10, 0
	s_add_co_ci_u32 s20, s11, s13
	s_ashr_i32 s10, s3, 31
	s_delay_alu instid0(SALU_CYCLE_1) | instskip(NEXT) | instid1(SALU_CYCLE_1)
	s_mov_b32 s11, s10
	s_add_nc_u64 s[12:13], s[2:3], s[10:11]
	s_delay_alu instid0(SALU_CYCLE_1) | instskip(NEXT) | instid1(SALU_CYCLE_1)
	s_xor_b64 s[12:13], s[12:13], s[10:11]
	s_mul_hi_u32 s23, s12, s20
	s_mul_i32 s22, s12, s20
	s_wait_alu 0xfffe
	s_mul_hi_u32 s14, s12, s7
	s_mul_hi_u32 s24, s13, s7
	s_mul_i32 s7, s13, s7
	s_add_nc_u64 s[14:15], s[14:15], s[22:23]
	s_mul_hi_u32 s3, s13, s20
	s_wait_alu 0xfffe
	s_add_co_u32 s7, s14, s7
	s_mul_i32 s22, s13, s20
	s_add_co_ci_u32 s20, s15, s24
	s_add_co_ci_u32 s23, s3, 0
	s_delay_alu instid0(SALU_CYCLE_1) | instskip(NEXT) | instid1(SALU_CYCLE_1)
	s_add_nc_u64 s[14:15], s[20:21], s[22:23]
	s_mul_u64 s[20:21], s[8:9], s[14:15]
	s_delay_alu instid0(SALU_CYCLE_1)
	s_sub_co_u32 s3, s12, s20
	s_cselect_b32 s7, -1, 0
	s_sub_co_i32 s12, s13, s21
	s_wait_alu 0xfffe
	s_cmp_lg_u32 s7, 0
	s_sub_co_ci_u32 s12, s12, s9
	s_sub_co_u32 s20, s3, s8
	s_cselect_b32 s22, -1, 0
	s_delay_alu instid0(SALU_CYCLE_1) | instskip(SKIP_2) | instid1(SALU_CYCLE_1)
	s_cmp_lg_u32 s22, 0
	s_add_nc_u64 s[22:23], s[14:15], 1
	s_sub_co_ci_u32 s12, s12, 0
	s_cmp_ge_u32 s12, s9
	s_cselect_b32 s24, -1, 0
	s_cmp_ge_u32 s20, s8
	s_cselect_b32 s20, -1, 0
	s_cmp_eq_u32 s12, s9
	s_cselect_b32 s12, s20, s24
	s_add_nc_u64 s[24:25], s[14:15], 2
	s_cmp_lg_u32 s12, 0
	s_cselect_b32 s12, s24, s22
	s_cselect_b32 s20, s25, s23
	s_cmp_lg_u32 s7, 0
	s_sub_co_ci_u32 s7, s13, s21
	s_wait_alu 0xfffe
	s_cmp_ge_u32 s7, s9
	s_cselect_b32 s13, -1, 0
	s_cmp_ge_u32 s3, s8
	s_cselect_b32 s3, -1, 0
	s_cmp_eq_u32 s7, s9
	s_cselect_b32 s3, s3, s13
	s_delay_alu instid0(SALU_CYCLE_1) | instskip(SKIP_4) | instid1(SALU_CYCLE_1)
	s_cmp_lg_u32 s3, 0
	s_mov_b32 s3, s17
	s_cselect_b32 s9, s20, s15
	s_cselect_b32 s8, s12, s14
	s_xor_b64 s[10:11], s[10:11], 0
	s_xor_b64 s[8:9], s[8:9], s[10:11]
	s_delay_alu instid0(SALU_CYCLE_1)
	s_sub_nc_u64 s[20:21], s[8:9], s[10:11]
	s_and_not1_b32 vcc_lo, exec_lo, s3
	s_cbranch_vccnz .LBB27_3
.LBB27_2:
	v_cvt_f32_u32_e32 v1, s16
	s_sub_co_i32 s7, 0, s16
	s_delay_alu instid0(VALU_DEP_1) | instskip(NEXT) | instid1(TRANS32_DEP_1)
	v_rcp_iflag_f32_e32 v1, v1
	v_mul_f32_e32 v1, 0x4f7ffffe, v1
	s_delay_alu instid0(VALU_DEP_1) | instskip(NEXT) | instid1(VALU_DEP_1)
	v_cvt_u32_f32_e32 v1, v1
	v_readfirstlane_b32 s3, v1
	s_wait_alu 0xfffe
	s_mul_i32 s7, s7, s3
	s_wait_alu 0xfffe
	s_mul_hi_u32 s7, s3, s7
	s_wait_alu 0xfffe
	s_add_co_i32 s3, s3, s7
	s_delay_alu instid0(SALU_CYCLE_1) | instskip(NEXT) | instid1(SALU_CYCLE_1)
	s_mul_hi_u32 s3, s2, s3
	s_mul_i32 s7, s3, s16
	s_wait_alu 0xfffe
	s_sub_co_i32 s2, s2, s7
	s_add_co_i32 s7, s3, 1
	s_sub_co_i32 s8, s2, s16
	s_cmp_ge_u32 s2, s16
	s_wait_alu 0xfffe
	s_cselect_b32 s3, s7, s3
	s_cselect_b32 s2, s8, s2
	s_add_co_i32 s7, s3, 1
	s_cmp_ge_u32 s2, s16
	s_wait_alu 0xfffe
	s_cselect_b32 s20, s7, s3
.LBB27_3:
	s_add_co_i32 s2, ttmp9, 1
	s_mov_b32 s8, 0
	s_ashr_i32 s3, s2, 31
	s_delay_alu instid0(SALU_CYCLE_1) | instskip(NEXT) | instid1(SALU_CYCLE_1)
	s_mul_u64 s[2:3], s[18:19], s[2:3]
	s_mov_b32 s9, s3
	s_delay_alu instid0(SALU_CYCLE_1)
	s_cmp_lg_u64 s[8:9], 0
	s_cbranch_scc0 .LBB27_22
; %bb.4:
	s_add_nc_u64 s[10:11], s[16:17], 0
	s_mov_b32 s23, s8
	s_xor_b64 s[10:11], s[10:11], 0
	s_mov_b32 s27, s8
	s_cvt_f32_u32 s7, s10
	s_cvt_f32_u32 s9, s11
	s_sub_nc_u64 s[14:15], 0, s[10:11]
	s_wait_alu 0xfffe
	s_delay_alu instid0(SALU_CYCLE_1) | instskip(SKIP_1) | instid1(SALU_CYCLE_2)
	s_fmamk_f32 s7, s9, 0x4f800000, s7
	s_wait_alu 0xfffe
	v_s_rcp_f32 s7, s7
	s_delay_alu instid0(TRANS32_DEP_1) | instskip(SKIP_1) | instid1(SALU_CYCLE_2)
	s_mul_f32 s7, s7, 0x5f7ffffc
	s_wait_alu 0xfffe
	s_mul_f32 s9, s7, 0x2f800000
	s_delay_alu instid0(SALU_CYCLE_3) | instskip(NEXT) | instid1(SALU_CYCLE_3)
	s_trunc_f32 s9, s9
	s_fmamk_f32 s7, s9, 0xcf800000, s7
	s_cvt_u32_f32 s13, s9
	s_wait_alu 0xfffe
	s_delay_alu instid0(SALU_CYCLE_1) | instskip(NEXT) | instid1(SALU_CYCLE_3)
	s_cvt_u32_f32 s12, s7
	s_mul_u64 s[24:25], s[14:15], s[12:13]
	s_delay_alu instid0(SALU_CYCLE_1)
	s_mul_hi_u32 s29, s12, s25
	s_mul_i32 s28, s12, s25
	s_mul_hi_u32 s22, s12, s24
	s_mul_i32 s9, s13, s24
	s_add_nc_u64 s[22:23], s[22:23], s[28:29]
	s_mul_hi_u32 s7, s13, s24
	s_mul_hi_u32 s21, s13, s25
	s_add_co_u32 s9, s22, s9
	s_wait_alu 0xfffe
	s_add_co_ci_u32 s26, s23, s7
	s_mul_i32 s24, s13, s25
	s_add_co_ci_u32 s25, s21, 0
	s_delay_alu instid0(SALU_CYCLE_1)
	s_add_nc_u64 s[22:23], s[26:27], s[24:25]
	s_mov_b32 s25, s8
	s_add_co_u32 s12, s12, s22
	s_cselect_b32 s7, -1, 0
	s_wait_alu 0xfffe
	s_cmp_lg_u32 s7, 0
	s_add_co_ci_u32 s13, s13, s23
	s_mov_b32 s23, s8
	s_mul_u64 s[14:15], s[14:15], s[12:13]
	s_delay_alu instid0(SALU_CYCLE_1)
	s_mul_hi_u32 s27, s12, s15
	s_mul_i32 s26, s12, s15
	s_mul_hi_u32 s22, s12, s14
	s_mul_i32 s9, s13, s14
	s_add_nc_u64 s[22:23], s[22:23], s[26:27]
	s_mul_hi_u32 s7, s13, s14
	s_mul_hi_u32 s21, s13, s15
	s_add_co_u32 s9, s22, s9
	s_wait_alu 0xfffe
	s_add_co_ci_u32 s24, s23, s7
	s_mul_i32 s14, s13, s15
	s_add_co_ci_u32 s15, s21, 0
	s_mov_b32 s23, s8
	s_add_nc_u64 s[14:15], s[24:25], s[14:15]
	s_delay_alu instid0(SALU_CYCLE_1) | instskip(SKIP_1) | instid1(SALU_CYCLE_1)
	s_add_co_u32 s7, s12, s14
	s_cselect_b32 s9, -1, 0
	s_cmp_lg_u32 s9, 0
	s_add_co_ci_u32 s9, s13, s15
	s_ashr_i32 s12, s3, 31
	s_delay_alu instid0(SALU_CYCLE_1) | instskip(NEXT) | instid1(SALU_CYCLE_1)
	s_mov_b32 s13, s12
	s_add_nc_u64 s[14:15], s[2:3], s[12:13]
	s_delay_alu instid0(SALU_CYCLE_1) | instskip(NEXT) | instid1(SALU_CYCLE_1)
	s_xor_b64 s[14:15], s[14:15], s[12:13]
	s_mul_hi_u32 s27, s14, s9
	s_mul_i32 s26, s14, s9
	s_wait_alu 0xfffe
	s_mul_hi_u32 s22, s14, s7
	s_mul_hi_u32 s21, s15, s7
	s_mul_i32 s7, s15, s7
	s_add_nc_u64 s[22:23], s[22:23], s[26:27]
	s_mul_hi_u32 s3, s15, s9
	s_wait_alu 0xfffe
	s_add_co_u32 s7, s22, s7
	s_add_co_ci_u32 s24, s23, s21
	s_mul_i32 s26, s15, s9
	s_add_co_ci_u32 s27, s3, 0
	s_delay_alu instid0(SALU_CYCLE_1) | instskip(NEXT) | instid1(SALU_CYCLE_1)
	s_add_nc_u64 s[22:23], s[24:25], s[26:27]
	s_mul_u64 s[24:25], s[10:11], s[22:23]
	s_add_nc_u64 s[26:27], s[22:23], 1
	s_sub_co_u32 s3, s14, s24
	s_cselect_b32 s7, -1, 0
	s_sub_co_i32 s9, s15, s25
	s_wait_alu 0xfffe
	s_cmp_lg_u32 s7, 0
	s_add_nc_u64 s[28:29], s[22:23], 2
	s_sub_co_ci_u32 s9, s9, s11
	s_sub_co_u32 s14, s3, s10
	s_cselect_b32 s21, -1, 0
	s_delay_alu instid0(SALU_CYCLE_1) | instskip(SKIP_1) | instid1(SALU_CYCLE_1)
	s_cmp_lg_u32 s21, 0
	s_sub_co_ci_u32 s9, s9, 0
	s_cmp_ge_u32 s9, s11
	s_cselect_b32 s21, -1, 0
	s_cmp_ge_u32 s14, s10
	s_cselect_b32 s14, -1, 0
	s_cmp_eq_u32 s9, s11
	s_cselect_b32 s9, s14, s21
	s_delay_alu instid0(SALU_CYCLE_1)
	s_cmp_lg_u32 s9, 0
	s_cselect_b32 s9, s28, s26
	s_cselect_b32 s14, s29, s27
	s_cmp_lg_u32 s7, 0
	s_sub_co_ci_u32 s7, s15, s25
	s_wait_alu 0xfffe
	s_cmp_ge_u32 s7, s11
	s_cselect_b32 s15, -1, 0
	s_cmp_ge_u32 s3, s10
	s_cselect_b32 s3, -1, 0
	s_cmp_eq_u32 s7, s11
	s_cselect_b32 s3, s3, s15
	s_delay_alu instid0(SALU_CYCLE_1) | instskip(SKIP_3) | instid1(SALU_CYCLE_1)
	s_cmp_lg_u32 s3, 0
	s_cselect_b32 s11, s14, s23
	s_cselect_b32 s10, s9, s22
	s_xor_b64 s[12:13], s[12:13], 0
	s_xor_b64 s[10:11], s[10:11], s[12:13]
	s_delay_alu instid0(SALU_CYCLE_1)
	s_sub_nc_u64 s[10:11], s[10:11], s[12:13]
	s_load_b96 s[12:14], s[0:1], 0x44
	s_and_not1_b32 vcc_lo, exec_lo, s8
	s_cbranch_vccnz .LBB27_6
.LBB27_5:
	v_cvt_f32_u32_e32 v1, s16
	s_sub_co_i32 s7, 0, s16
	s_delay_alu instid0(VALU_DEP_1) | instskip(NEXT) | instid1(TRANS32_DEP_1)
	v_rcp_iflag_f32_e32 v1, v1
	v_mul_f32_e32 v1, 0x4f7ffffe, v1
	s_delay_alu instid0(VALU_DEP_1) | instskip(NEXT) | instid1(VALU_DEP_1)
	v_cvt_u32_f32_e32 v1, v1
	v_readfirstlane_b32 s3, v1
	s_wait_alu 0xfffe
	s_mul_i32 s7, s7, s3
	s_wait_alu 0xfffe
	s_mul_hi_u32 s7, s3, s7
	s_wait_alu 0xfffe
	s_add_co_i32 s3, s3, s7
	s_delay_alu instid0(SALU_CYCLE_1) | instskip(NEXT) | instid1(SALU_CYCLE_1)
	s_mul_hi_u32 s3, s2, s3
	s_mul_i32 s7, s3, s16
	s_wait_alu 0xfffe
	s_sub_co_i32 s2, s2, s7
	s_add_co_i32 s7, s3, 1
	s_sub_co_i32 s8, s2, s16
	s_cmp_ge_u32 s2, s16
	s_wait_alu 0xfffe
	s_cselect_b32 s3, s7, s3
	s_cselect_b32 s2, s8, s2
	s_add_co_i32 s7, s3, 1
	s_cmp_ge_u32 s2, s16
	s_wait_alu 0xfffe
	s_cselect_b32 s10, s7, s3
.LBB27_6:
	s_mov_b32 s21, 0
	s_wait_kmcnt 0x0
	s_mov_b32 s22, s12
	s_mov_b32 s23, s21
	s_cmp_eq_u32 s20, s10
	s_mul_u64 s[2:3], s[20:21], s[22:23]
	s_cselect_b32 s7, -1, 0
	s_add_co_i32 s2, s3, s20
	s_mov_b32 s11, s21
	s_lshr_b32 s12, s2, s13
	s_mul_u64 s[2:3], s[10:11], s[22:23]
	s_mul_i32 s2, s12, s14
	s_delay_alu instid0(SALU_CYCLE_1) | instskip(SKIP_2) | instid1(SALU_CYCLE_1)
	s_cmp_eq_u32 s2, s20
	s_cselect_b32 s2, -1, 0
	s_add_co_i32 s3, s3, s10
	s_lshr_b32 s3, s3, s13
	s_delay_alu instid0(SALU_CYCLE_1)
	s_cmp_eq_u32 s12, s3
	s_mul_i32 s3, s3, s14
	s_cselect_b32 s8, -1, 0
	s_cmp_lg_u32 s3, s10
	s_cselect_b32 s3, -1, 0
	s_wait_alu 0xfffe
	s_or_b32 s2, s7, s2
	s_and_b32 s3, s8, s3
	s_delay_alu instid0(SALU_CYCLE_1) | instskip(NEXT) | instid1(SALU_CYCLE_1)
	s_or_b32 s2, s2, s3
	s_and_b32 vcc_lo, exec_lo, s2
	s_cbranch_vccnz .LBB27_24
; %bb.7:
	s_load_b256 s[24:31], s[0:1], 0x20
	s_mov_b32 s3, s21
	s_wait_kmcnt 0x0
	s_mov_b32 s2, s24
	s_delay_alu instid0(SALU_CYCLE_1) | instskip(NEXT) | instid1(SALU_CYCLE_1)
	s_mul_u64 s[2:3], s[20:21], s[2:3]
	s_add_co_i32 s2, s3, s20
	s_delay_alu instid0(SALU_CYCLE_1) | instskip(SKIP_2) | instid1(SALU_CYCLE_1)
	s_lshr_b32 s7, s2, s25
	s_load_b32 s2, s[0:1], 0x40
	s_mul_i32 s3, s7, s26
	s_sub_co_i32 s3, s20, s3
	s_delay_alu instid0(SALU_CYCLE_1) | instskip(NEXT) | instid1(SALU_CYCLE_1)
	s_mul_hi_u32 s8, s3, s27
	s_add_co_i32 s8, s3, s8
	s_delay_alu instid0(SALU_CYCLE_1) | instskip(NEXT) | instid1(SALU_CYCLE_1)
	s_lshr_b32 s8, s8, s28
	s_mul_i32 s9, s8, s29
	s_delay_alu instid0(SALU_CYCLE_1) | instskip(NEXT) | instid1(SALU_CYCLE_1)
	s_sub_co_i32 s9, s3, s9
	s_mul_hi_u32 s3, s9, s30
	s_delay_alu instid0(SALU_CYCLE_1) | instskip(NEXT) | instid1(SALU_CYCLE_1)
	s_add_co_i32 s3, s9, s3
	s_lshr_b32 s24, s3, s31
	s_mov_b32 s3, s21
	s_wait_kmcnt 0x0
	s_mul_i32 s2, s24, s2
	s_lshl_b32 s21, s24, 1
	s_sub_co_i32 s2, s9, s2
	s_delay_alu instid0(SALU_CYCLE_1) | instskip(SKIP_2) | instid1(SALU_CYCLE_1)
	s_mul_u64 s[10:11], s[2:3], s[22:23]
	s_lshr_b32 s3, ttmp7, 16
	s_add_co_i32 s2, s2, s11
	s_lshr_b32 s15, s2, s13
	s_and_b32 s2, ttmp7, 0xffff
	s_lshl_b32 s9, s15, 3
	s_delay_alu instid0(SALU_CYCLE_1) | instskip(NEXT) | instid1(SALU_CYCLE_1)
	s_add_co_i32 s9, s9, s2
	s_cmp_lt_i32 s9, s4
	s_cselect_b32 s9, -1, 0
	s_add_co_i32 s10, s21, s3
	s_delay_alu instid0(SALU_CYCLE_1) | instskip(SKIP_1) | instid1(SALU_CYCLE_1)
	s_cmp_lt_i32 s10, s6
	s_cselect_b32 s10, -1, 0
	s_and_b32 s9, s9, s10
	s_delay_alu instid0(SALU_CYCLE_1)
	s_and_not1_b32 vcc_lo, exec_lo, s9
	s_cbranch_vccnz .LBB27_24
; %bb.8:
	s_mul_i32 s4, s7, s4
	s_mul_i32 s6, s8, s6
	s_add_co_i32 s4, s4, s2
	s_load_b128 s[8:11], s[0:1], 0x0
	s_mul_i32 s4, s4, s5
	s_mul_i32 s1, s5, s15
	s_add_co_i32 s4, s4, s3
	s_lshl_b32 s1, s1, 10
	s_add_co_i32 s0, s4, s6
	s_lshl_b32 s15, s2, 1
	s_add_co_i32 s0, s0, s21
	s_add_co_i32 s15, s15, s3
	s_lshl_b32 s0, s0, 7
	v_cvt_f32_u32_e32 v4, s16
	s_add_co_i32 s1, s1, s0
	s_add_co_i32 s34, ttmp9, -1
	v_or_b32_e32 v1, s1, v0
	s_add_nc_u64 s[0:1], s[16:17], 0
	v_rcp_iflag_f32_e32 v4, v4
	s_wait_alu 0xfffe
	s_xor_b64 s[6:7], s[0:1], 0
	s_lshl_b32 s0, ttmp9, 4
	v_ashrrev_i32_e32 v2, 31, v1
	s_wait_alu 0xfffe
	s_cvt_f32_u32 s1, s6
	s_cvt_f32_u32 s2, s7
	s_add_co_i32 s0, s15, s0
	v_lshl_or_b32 v0, s15, 7, v0
	v_lshlrev_b64_e32 v[1:2], 2, v[1:2]
	s_wait_alu 0xfffe
	s_fmamk_f32 s2, s2, 0x4f800000, s1
	s_ashr_i32 s1, s0, 31
	s_sub_nc_u64 s[30:31], 0, s[6:7]
	s_wait_alu 0xfffe
	s_lshl_b64 s[0:1], s[0:1], 3
	v_s_rcp_f32 s2, s2
	s_wait_kmcnt 0x0
	v_add_co_u32 v1, vcc_lo, s8, v1
	s_delay_alu instid0(VALU_DEP_1)
	v_add_co_ci_u32_e64 v2, null, s9, v2, vcc_lo
	s_wait_alu 0xfffe
	s_add_nc_u64 s[0:1], s[10:11], s[0:1]
	s_mov_b32 s8, 0
	s_load_b64 s[26:27], s[0:1], 0x0
	global_load_b32 v3, v[1:2], off
	s_mul_f32 s2, s2, 0x5f7ffffc
	v_mul_f32_e32 v4, 0x4f7ffffe, v4
	s_lshl_b32 s0, s16, 6
	s_wait_alu 0xfffe
	s_mul_f32 s1, s2, 0x2f800000
	s_wait_alu 0xfffe
	s_delay_alu instid0(SALU_CYCLE_2)
	s_trunc_f32 s3, s1
	s_mov_b32 s1, s8
	s_wait_alu 0xfffe
	s_lshl_b64 s[0:1], s[0:1], 2
	s_fmamk_f32 s2, s3, 0xcf800000, s2
	s_cvt_u32_f32 s29, s3
	s_wait_alu 0xfffe
	s_add_nc_u64 s[24:25], s[10:11], s[0:1]
	s_cvt_u32_f32 s28, s2
	s_wait_kmcnt 0x0
	v_mov_b32_e32 v5, s27
	v_cvt_u32_f32_e32 v4, v4
.LBB27_9:                               ; =>This Inner Loop Header: Depth=1
	s_wait_alu 0xfffe
	s_ashr_i32 s35, s34, 31
	s_mov_b32 s2, -1
	s_wait_alu 0xfffe
	s_mul_u64 s[0:1], s[34:35], s[18:19]
                                        ; implicit-def: $sgpr38_sgpr39
	s_wait_alu 0xfffe
	s_mov_b32 s9, s1
	s_wait_alu 0xfffe
	s_cmp_lg_u64 s[8:9], 0
	s_cbranch_scc0 .LBB27_11
; %bb.10:                               ;   in Loop: Header=BB27_9 Depth=1
	s_mul_u64 s[2:3], s[30:31], s[28:29]
	s_mov_b32 s37, s8
	s_wait_alu 0xfffe
	s_mul_hi_u32 s5, s28, s3
	s_mul_i32 s4, s28, s3
	s_mul_hi_u32 s36, s28, s2
	s_mul_hi_u32 s9, s29, s2
	s_wait_alu 0xfffe
	s_add_nc_u64 s[4:5], s[36:37], s[4:5]
	s_mul_i32 s2, s29, s2
	s_mul_hi_u32 s17, s29, s3
	s_wait_alu 0xfffe
	s_add_co_u32 s2, s4, s2
	s_add_co_ci_u32 s2, s5, s9
	s_add_co_ci_u32 s5, s17, 0
	s_mul_i32 s4, s29, s3
	s_mov_b32 s3, s8
	s_mov_b32 s39, s8
	s_wait_alu 0xfffe
	s_add_nc_u64 s[2:3], s[2:3], s[4:5]
	s_wait_alu 0xfffe
	s_add_co_u32 s2, s28, s2
	s_cselect_b32 s4, -1, 0
	s_wait_alu 0xfffe
	s_cmp_lg_u32 s4, 0
	s_add_co_ci_u32 s3, s29, s3
	s_wait_alu 0xfffe
	s_mul_u64 s[4:5], s[30:31], s[2:3]
	s_wait_alu 0xfffe
	s_mul_hi_u32 s37, s2, s5
	s_mul_i32 s36, s2, s5
	s_mul_hi_u32 s38, s2, s4
	s_mul_hi_u32 s9, s3, s4
	s_mul_i32 s4, s3, s4
	s_wait_alu 0xfffe
	s_add_nc_u64 s[36:37], s[38:39], s[36:37]
	s_mul_hi_u32 s17, s3, s5
	s_wait_alu 0xfffe
	s_add_co_u32 s4, s36, s4
	s_add_co_ci_u32 s4, s37, s9
	s_add_co_ci_u32 s37, s17, 0
	s_mul_i32 s36, s3, s5
	s_mov_b32 s5, s8
	s_wait_alu 0xfffe
	s_add_nc_u64 s[4:5], s[4:5], s[36:37]
	s_mov_b32 s37, s8
	s_wait_alu 0xfffe
	s_add_co_u32 s9, s2, s4
	s_cselect_b32 s2, -1, 0
	s_wait_alu 0xfffe
	s_cmp_lg_u32 s2, 0
	s_add_co_ci_u32 s17, s3, s5
	s_ashr_i32 s2, s1, 31
	s_wait_alu 0xfffe
	s_mov_b32 s3, s2
	s_wait_alu 0xfffe
	s_add_nc_u64 s[4:5], s[0:1], s[2:3]
	s_wait_alu 0xfffe
	s_xor_b64 s[4:5], s[4:5], s[2:3]
	s_wait_alu 0xfffe
	s_mul_hi_u32 s39, s4, s17
	s_mul_i32 s38, s4, s17
	s_mul_hi_u32 s36, s4, s9
	s_mul_i32 s21, s5, s9
	s_wait_alu 0xfffe
	s_add_nc_u64 s[36:37], s[36:37], s[38:39]
	s_mul_hi_u32 s9, s5, s9
	s_mul_hi_u32 s1, s5, s17
	s_wait_alu 0xfffe
	s_add_co_u32 s21, s36, s21
	s_add_co_ci_u32 s36, s37, s9
	s_add_co_ci_u32 s39, s1, 0
	s_mul_i32 s38, s5, s17
	s_mov_b32 s37, s8
	s_wait_alu 0xfffe
	s_add_nc_u64 s[36:37], s[36:37], s[38:39]
	s_wait_alu 0xfffe
	s_mul_u64 s[38:39], s[6:7], s[36:37]
	s_add_nc_u64 s[40:41], s[36:37], 1
	s_sub_co_u32 s1, s4, s38
	s_cselect_b32 s4, -1, 0
	s_sub_co_i32 s9, s5, s39
	s_wait_alu 0xfffe
	s_cmp_lg_u32 s4, 0
	s_add_nc_u64 s[42:43], s[36:37], 2
	s_sub_co_ci_u32 s9, s9, s7
	s_sub_co_u32 s17, s1, s6
	s_cselect_b32 s21, -1, 0
	s_delay_alu instid0(SALU_CYCLE_1)
	s_cmp_lg_u32 s21, 0
	s_wait_alu 0xfffe
	s_sub_co_ci_u32 s9, s9, 0
	s_wait_alu 0xfffe
	s_cmp_ge_u32 s9, s7
	s_cselect_b32 s21, -1, 0
	s_cmp_ge_u32 s17, s6
	s_cselect_b32 s17, -1, 0
	s_cmp_eq_u32 s9, s7
	s_wait_alu 0xfffe
	s_cselect_b32 s9, s17, s21
	s_wait_alu 0xfffe
	s_cmp_lg_u32 s9, 0
	s_cselect_b32 s9, s42, s40
	s_cselect_b32 s17, s43, s41
	s_cmp_lg_u32 s4, 0
	s_sub_co_ci_u32 s4, s5, s39
	s_wait_alu 0xfffe
	s_cmp_ge_u32 s4, s7
	s_cselect_b32 s5, -1, 0
	s_cmp_ge_u32 s1, s6
	s_cselect_b32 s1, -1, 0
	s_cmp_eq_u32 s4, s7
	s_wait_alu 0xfffe
	s_cselect_b32 s1, s1, s5
	s_wait_alu 0xfffe
	s_cmp_lg_u32 s1, 0
	s_cselect_b32 s5, s17, s37
	s_cselect_b32 s4, s9, s36
	s_xor_b64 s[2:3], s[2:3], 0
	s_wait_alu 0xfffe
	s_xor_b64 s[4:5], s[4:5], s[2:3]
	s_wait_alu 0xfffe
	s_sub_nc_u64 s[38:39], s[4:5], s[2:3]
	s_mov_b32 s2, 0
.LBB27_11:                              ;   in Loop: Header=BB27_9 Depth=1
	s_wait_alu 0xfffe
	s_and_not1_b32 vcc_lo, exec_lo, s2
	s_wait_alu 0xfffe
	s_cbranch_vccnz .LBB27_13
; %bb.12:                               ;   in Loop: Header=BB27_9 Depth=1
	v_readfirstlane_b32 s1, v4
	s_sub_co_i32 s2, 0, s16
	s_wait_alu 0xfffe
	s_mul_i32 s2, s2, s1
	s_wait_alu 0xfffe
	s_mul_hi_u32 s2, s1, s2
	s_wait_alu 0xfffe
	s_add_co_i32 s1, s1, s2
	s_wait_alu 0xfffe
	s_mul_hi_u32 s1, s0, s1
	s_wait_alu 0xfffe
	s_mul_i32 s2, s1, s16
	s_wait_alu 0xfffe
	s_sub_co_i32 s0, s0, s2
	s_add_co_i32 s2, s1, 1
	s_wait_alu 0xfffe
	s_sub_co_i32 s3, s0, s16
	s_cmp_ge_u32 s0, s16
	s_cselect_b32 s1, s2, s1
	s_wait_alu 0xfffe
	s_cselect_b32 s0, s3, s0
	s_add_co_i32 s2, s1, 1
	s_wait_alu 0xfffe
	s_cmp_ge_u32 s0, s16
	s_cselect_b32 s38, s2, s1
.LBB27_13:                              ;   in Loop: Header=BB27_9 Depth=1
	v_readfirstlane_b32 s9, v0
	s_cmp_lg_u32 s20, s38
	s_mov_b32 s0, -1
                                        ; implicit-def: $sgpr21
                                        ; implicit-def: $vgpr6
                                        ; implicit-def: $vgpr7
                                        ; implicit-def: $sgpr17
                                        ; implicit-def: $sgpr27
	s_cbranch_scc1 .LBB27_16
; %bb.14:                               ;   in Loop: Header=BB27_9 Depth=1
	s_wait_alu 0xfffe
	s_and_not1_b32 vcc_lo, exec_lo, s0
	s_wait_alu 0xfffe
	s_cbranch_vccz .LBB27_19
.LBB27_15:                              ;   in Loop: Header=BB27_9 Depth=1
	s_and_not1_b32 vcc_lo, exec_lo, s21
	s_wait_alu 0xfffe
	s_cbranch_vccnz .LBB27_20
	s_branch .LBB27_23
.LBB27_16:                              ;   in Loop: Header=BB27_9 Depth=1
	s_add_co_i32 s0, s34, s16
	s_mov_b32 s1, s8
	s_wait_alu 0xfffe
	s_lshl_b32 s0, s0, 4
	v_max_num_f32_e64 v6, s26, s26
	s_wait_alu 0xfffe
	s_add_co_i32 s0, s0, s15
	s_mov_b32 s39, s8
	s_wait_alu 0xfffe
	s_lshl_b64 s[0:1], s[0:1], 3
	s_mul_u64 s[40:41], s[38:39], s[22:23]
	s_wait_alu 0xfffe
	s_add_nc_u64 s[0:1], s[10:11], s[0:1]
	s_mov_b32 s27, s20
	s_load_b64 s[36:37], s[0:1], 0x0
	v_readfirstlane_b32 s0, v6
	s_wait_kmcnt 0x0
	v_max_num_f32_e64 v7, s36, s36
	s_delay_alu instid0(VALU_DEP_1) | instskip(SKIP_2) | instid1(SALU_CYCLE_2)
	v_readfirstlane_b32 s1, v7
	s_max_num_f32 s9, s0, s1
	s_wait_alu 0xfffe
	s_sub_f32 s33, s26, s9
	s_sub_f32 s35, s36, s9
	s_wait_alu 0xfffe
	s_delay_alu instid0(SALU_CYCLE_1)
	s_cmp_nlt_f32 s33, 0xc2ce8ed0
	s_cselect_b32 s0, -1, 0
	s_cmp_ngt_f32 s33, 0x42b17218
	s_cselect_b32 s1, -1, 0
	s_cmp_ge_f32 s33, 0xc1a00000
	s_cselect_b32 s2, -1, 0
	s_cmp_nlt_f32 s35, 0xc2ce8ed0
	s_cselect_b32 s3, -1, 0
	s_cmp_ngt_f32 s35, 0x42b17218
	s_cselect_b32 s4, -1, 0
	s_cmp_ge_f32 s35, 0xc1a00000
	s_cselect_b32 s5, -1, 0
	s_add_co_i32 s17, s41, s38
	s_wait_alu 0xfffe
	s_lshr_b32 s17, s17, s13
	s_wait_alu 0xfffe
	s_mul_i32 s21, s17, s14
	s_delay_alu instid0(SALU_CYCLE_1)
	s_cmp_eq_u32 s21, s38
	s_cselect_b32 s21, -1, 0
	s_cmp_lt_u32 s17, s12
	s_cselect_b32 s17, -1, 0
	s_wait_alu 0xfffe
	s_or_b32 s17, s17, s21
	s_mov_b32 s21, -1
	s_wait_alu 0xfffe
	s_and_b32 vcc_lo, exec_lo, s17
	s_mov_b32 s17, s34
	s_wait_alu 0xfffe
	s_cbranch_vccnz .LBB27_18
; %bb.17:                               ;   in Loop: Header=BB27_9 Depth=1
	s_add_co_i32 s17, s34, -1
	s_mov_b32 s21, 0
	s_mov_b32 s27, s38
.LBB27_18:                              ;   in Loop: Header=BB27_9 Depth=1
	v_lshl_add_u32 v6, s34, 11, v0
	s_mul_f32 s36, s35, 0x3fb8aa3b
	s_mul_f32 s38, s33, 0x3fb8aa3b
	s_wait_alu 0xfffe
	s_delay_alu instid0(SALU_CYCLE_1)
	s_xor_b32 s39, s36, 0x80000000
	v_ashrrev_i32_e32 v7, 31, v6
	s_rndne_f32 s40, s36
	s_fmamk_f32 s39, s35, 0x3fb8aa3b, s39
	s_xor_b32 s41, s38, 0x80000000
	s_rndne_f32 s42, s38
	v_lshlrev_b64_e32 v[6:7], 2, v[6:7]
	s_sub_f32 s36, s36, s40
	s_fmamk_f32 s35, s35, 0x32a5705f, s39
	s_fmamk_f32 s39, s33, 0x3fb8aa3b, s41
	s_sub_f32 s38, s38, s42
	s_delay_alu instid0(VALU_DEP_1)
	v_add_co_u32 v6, vcc_lo, s24, v6
	s_wait_alu 0xfffd
	v_add_co_ci_u32_e64 v7, null, s25, v7, vcc_lo
	s_wait_alu 0xfffe
	s_add_f32 s35, s36, s35
	s_fmamk_f32 s33, s33, 0x32a5705f, s39
	s_cvt_i32_f32 s36, s40
	global_load_b32 v6, v[6:7], off
	s_wait_alu 0xfffe
	v_s_exp_f32 s35, s35
	s_add_f32 s33, s38, s33
	s_wait_alu 0xfffe
	s_delay_alu instid0(SALU_CYCLE_2) | instskip(NEXT) | instid1(TRANS32_DEP_2)
	v_s_exp_f32 s33, s33
	v_ldexp_f32 v7, s35, s36
	s_cvt_i32_f32 s35, s42
	s_wait_alu 0xf1fe
	s_delay_alu instid0(TRANS32_DEP_1) | instid1(SALU_CYCLE_2)
	v_ldexp_f32 v8, s33, s35
	s_delay_alu instid0(VALU_DEP_2) | instskip(NEXT) | instid1(VALU_DEP_2)
	v_cndmask_b32_e64 v7, 0, v7, s3
	v_cndmask_b32_e64 v8, 0, v8, s0
	s_delay_alu instid0(VALU_DEP_2) | instskip(NEXT) | instid1(VALU_DEP_2)
	v_cndmask_b32_e64 v7, 0x7f800000, v7, s4
	v_cndmask_b32_e64 v8, 0x7f800000, v8, s1
	;; [unrolled: 3-line block ×3, first 2 shown]
	s_wait_loadcnt 0x0
	s_delay_alu instid0(VALU_DEP_2) | instskip(SKIP_1) | instid1(VALU_DEP_1)
	v_mul_f32_e32 v6, v6, v7
	v_mul_f32_e32 v7, s37, v7
	v_fmac_f32_e32 v7, v5, v8
	s_delay_alu instid0(VALU_DEP_3)
	v_fmac_f32_e32 v6, v3, v8
	s_cbranch_execnz .LBB27_15
.LBB27_19:                              ;   in Loop: Header=BB27_9 Depth=1
	s_wait_loadcnt 0x0
	v_dual_mov_b32 v7, v5 :: v_dual_mov_b32 v6, v3
	s_add_co_i32 s17, s34, -1
	s_mov_b32 s27, s20
	s_mov_b32 s9, s26
	s_cbranch_execz .LBB27_23
.LBB27_20:                              ;   in Loop: Header=BB27_9 Depth=1
	v_mov_b32_e32 v5, v7
	s_wait_loadcnt 0x0
	v_mov_b32_e32 v3, v6
	s_wait_alu 0xfffe
	s_mov_b32 s20, s27
	s_mov_b32 s34, s17
	;; [unrolled: 1-line block ×3, first 2 shown]
	s_branch .LBB27_9
.LBB27_21:
                                        ; implicit-def: $sgpr20_sgpr21
	s_branch .LBB27_2
.LBB27_22:
                                        ; implicit-def: $sgpr10_sgpr11
	s_load_b96 s[12:14], s[0:1], 0x44
	s_branch .LBB27_5
.LBB27_23:
	v_div_scale_f32 v0, null, v7, v7, v6
	s_wait_loadcnt 0x0
	s_delay_alu instid0(VALU_DEP_1) | instskip(NEXT) | instid1(TRANS32_DEP_1)
	v_rcp_f32_e32 v3, v0
	v_fma_f32 v4, -v0, v3, 1.0
	s_delay_alu instid0(VALU_DEP_1) | instskip(SKIP_1) | instid1(VALU_DEP_1)
	v_fmac_f32_e32 v3, v4, v3
	v_div_scale_f32 v4, vcc_lo, v6, v7, v6
	v_mul_f32_e32 v5, v4, v3
	s_delay_alu instid0(VALU_DEP_1) | instskip(NEXT) | instid1(VALU_DEP_1)
	v_fma_f32 v8, -v0, v5, v4
	v_fmac_f32_e32 v5, v8, v3
	s_delay_alu instid0(VALU_DEP_1) | instskip(SKIP_1) | instid1(VALU_DEP_1)
	v_fma_f32 v0, -v0, v5, v4
	s_wait_alu 0xfffd
	v_div_fmas_f32 v0, v0, v3, v5
	s_delay_alu instid0(VALU_DEP_1)
	v_div_fixup_f32 v0, v0, v7, v6
	global_store_b32 v[1:2], v0, off
.LBB27_24:
	s_endpgm
	.section	.rodata,"a",@progbits
	.p2align	6, 0x0
	.amdhsa_kernel _ZL33flash_attn_stream_k_fixup_generalILi128ELi8ELi2EEvPfPK15HIP_vector_typeIfLj2EEiiiiS1_IjLj3EES5_S5_S5_
		.amdhsa_group_segment_fixed_size 0
		.amdhsa_private_segment_fixed_size 0
		.amdhsa_kernarg_size 336
		.amdhsa_user_sgpr_count 2
		.amdhsa_user_sgpr_dispatch_ptr 0
		.amdhsa_user_sgpr_queue_ptr 0
		.amdhsa_user_sgpr_kernarg_segment_ptr 1
		.amdhsa_user_sgpr_dispatch_id 0
		.amdhsa_user_sgpr_private_segment_size 0
		.amdhsa_wavefront_size32 1
		.amdhsa_uses_dynamic_stack 0
		.amdhsa_enable_private_segment 0
		.amdhsa_system_sgpr_workgroup_id_x 1
		.amdhsa_system_sgpr_workgroup_id_y 1
		.amdhsa_system_sgpr_workgroup_id_z 1
		.amdhsa_system_sgpr_workgroup_info 0
		.amdhsa_system_vgpr_workitem_id 0
		.amdhsa_next_free_vgpr 9
		.amdhsa_next_free_sgpr 44
		.amdhsa_reserve_vcc 1
		.amdhsa_float_round_mode_32 0
		.amdhsa_float_round_mode_16_64 0
		.amdhsa_float_denorm_mode_32 3
		.amdhsa_float_denorm_mode_16_64 3
		.amdhsa_fp16_overflow 0
		.amdhsa_workgroup_processor_mode 1
		.amdhsa_memory_ordered 1
		.amdhsa_forward_progress 1
		.amdhsa_inst_pref_size 28
		.amdhsa_round_robin_scheduling 0
		.amdhsa_exception_fp_ieee_invalid_op 0
		.amdhsa_exception_fp_denorm_src 0
		.amdhsa_exception_fp_ieee_div_zero 0
		.amdhsa_exception_fp_ieee_overflow 0
		.amdhsa_exception_fp_ieee_underflow 0
		.amdhsa_exception_fp_ieee_inexact 0
		.amdhsa_exception_int_div_zero 0
	.end_amdhsa_kernel
	.section	.text._ZL33flash_attn_stream_k_fixup_generalILi128ELi8ELi2EEvPfPK15HIP_vector_typeIfLj2EEiiiiS1_IjLj3EES5_S5_S5_,"axG",@progbits,_ZL33flash_attn_stream_k_fixup_generalILi128ELi8ELi2EEvPfPK15HIP_vector_typeIfLj2EEiiiiS1_IjLj3EES5_S5_S5_,comdat
.Lfunc_end27:
	.size	_ZL33flash_attn_stream_k_fixup_generalILi128ELi8ELi2EEvPfPK15HIP_vector_typeIfLj2EEiiiiS1_IjLj3EES5_S5_S5_, .Lfunc_end27-_ZL33flash_attn_stream_k_fixup_generalILi128ELi8ELi2EEvPfPK15HIP_vector_typeIfLj2EEiiiiS1_IjLj3EES5_S5_S5_
                                        ; -- End function
	.set _ZL33flash_attn_stream_k_fixup_generalILi128ELi8ELi2EEvPfPK15HIP_vector_typeIfLj2EEiiiiS1_IjLj3EES5_S5_S5_.num_vgpr, 9
	.set _ZL33flash_attn_stream_k_fixup_generalILi128ELi8ELi2EEvPfPK15HIP_vector_typeIfLj2EEiiiiS1_IjLj3EES5_S5_S5_.num_agpr, 0
	.set _ZL33flash_attn_stream_k_fixup_generalILi128ELi8ELi2EEvPfPK15HIP_vector_typeIfLj2EEiiiiS1_IjLj3EES5_S5_S5_.numbered_sgpr, 44
	.set _ZL33flash_attn_stream_k_fixup_generalILi128ELi8ELi2EEvPfPK15HIP_vector_typeIfLj2EEiiiiS1_IjLj3EES5_S5_S5_.num_named_barrier, 0
	.set _ZL33flash_attn_stream_k_fixup_generalILi128ELi8ELi2EEvPfPK15HIP_vector_typeIfLj2EEiiiiS1_IjLj3EES5_S5_S5_.private_seg_size, 0
	.set _ZL33flash_attn_stream_k_fixup_generalILi128ELi8ELi2EEvPfPK15HIP_vector_typeIfLj2EEiiiiS1_IjLj3EES5_S5_S5_.uses_vcc, 1
	.set _ZL33flash_attn_stream_k_fixup_generalILi128ELi8ELi2EEvPfPK15HIP_vector_typeIfLj2EEiiiiS1_IjLj3EES5_S5_S5_.uses_flat_scratch, 0
	.set _ZL33flash_attn_stream_k_fixup_generalILi128ELi8ELi2EEvPfPK15HIP_vector_typeIfLj2EEiiiiS1_IjLj3EES5_S5_S5_.has_dyn_sized_stack, 0
	.set _ZL33flash_attn_stream_k_fixup_generalILi128ELi8ELi2EEvPfPK15HIP_vector_typeIfLj2EEiiiiS1_IjLj3EES5_S5_S5_.has_recursion, 0
	.set _ZL33flash_attn_stream_k_fixup_generalILi128ELi8ELi2EEvPfPK15HIP_vector_typeIfLj2EEiiiiS1_IjLj3EES5_S5_S5_.has_indirect_call, 0
	.section	.AMDGPU.csdata,"",@progbits
; Kernel info:
; codeLenInByte = 3548
; TotalNumSgprs: 46
; NumVgprs: 9
; ScratchSize: 0
; MemoryBound: 0
; FloatMode: 240
; IeeeMode: 1
; LDSByteSize: 0 bytes/workgroup (compile time only)
; SGPRBlocks: 0
; VGPRBlocks: 1
; NumSGPRsForWavesPerEU: 46
; NumVGPRsForWavesPerEU: 9
; Occupancy: 16
; WaveLimiterHint : 0
; COMPUTE_PGM_RSRC2:SCRATCH_EN: 0
; COMPUTE_PGM_RSRC2:USER_SGPR: 2
; COMPUTE_PGM_RSRC2:TRAP_HANDLER: 0
; COMPUTE_PGM_RSRC2:TGID_X_EN: 1
; COMPUTE_PGM_RSRC2:TGID_Y_EN: 1
; COMPUTE_PGM_RSRC2:TGID_Z_EN: 1
; COMPUTE_PGM_RSRC2:TIDIG_COMP_CNT: 0
	.section	.text._ZL26flash_attn_combine_resultsILi128EEvPKfPK15HIP_vector_typeIfLj2EEPfi,"axG",@progbits,_ZL26flash_attn_combine_resultsILi128EEvPKfPK15HIP_vector_typeIfLj2EEPfi,comdat
	.globl	_ZL26flash_attn_combine_resultsILi128EEvPKfPK15HIP_vector_typeIfLj2EEPfi ; -- Begin function _ZL26flash_attn_combine_resultsILi128EEvPKfPK15HIP_vector_typeIfLj2EEPfi
	.p2align	8
	.type	_ZL26flash_attn_combine_resultsILi128EEvPKfPK15HIP_vector_typeIfLj2EEPfi,@function
_ZL26flash_attn_combine_resultsILi128EEvPKfPK15HIP_vector_typeIfLj2EEPfi: ; @_ZL26flash_attn_combine_resultsILi128EEvPKfPK15HIP_vector_typeIfLj2EEPfi
; %bb.0:
	s_clause 0x2
	s_load_b64 s[2:3], s[0:1], 0x20
	s_load_b96 s[8:10], s[0:1], 0x10
	s_load_b128 s[4:7], s[0:1], 0x0
	s_lshr_b32 s0, ttmp7, 16
	v_lshlrev_b32_e32 v5, 2, v0
	s_mov_b32 s12, exec_lo
	s_wait_kmcnt 0x0
	s_mul_i32 s0, s2, s0
	s_and_b32 s2, ttmp7, 0xffff
	s_add_co_i32 s0, s0, ttmp9
	s_lshl_b32 s1, s10, 1
	s_mul_i32 s11, s0, s3
	s_delay_alu instid0(SALU_CYCLE_1) | instskip(NEXT) | instid1(SALU_CYCLE_1)
	s_add_co_i32 s11, s11, s2
	s_mul_i32 s2, s11, s10
	v_cmpx_gt_i32_e64 s1, v0
	s_cbranch_execz .LBB28_3
; %bb.1:
	s_ashr_i32 s3, s2, 31
	v_dual_mov_b32 v4, v0 :: v_dual_add_nc_u32 v3, 0, v5
	s_lshl_b64 s[14:15], s[2:3], 3
	s_mov_b32 s3, 0
	s_add_nc_u64 s[6:7], s[6:7], s[14:15]
	s_delay_alu instid0(SALU_CYCLE_1)
	v_add_co_u32 v1, s0, s6, v5
	s_wait_alu 0xf1ff
	v_add_co_ci_u32_e64 v2, null, s7, 0, s0
.LBB28_2:                               ; =>This Inner Loop Header: Depth=1
	global_load_b32 v6, v[1:2], off
	v_add_nc_u32_e32 v4, 0x80, v4
	v_add_co_u32 v1, vcc_lo, 0x200, v1
	s_wait_alu 0xfffd
	v_add_co_ci_u32_e64 v2, null, 0, v2, vcc_lo
	s_delay_alu instid0(VALU_DEP_3)
	v_cmp_le_i32_e64 s0, s1, v4
	s_or_b32 s3, s0, s3
	s_wait_loadcnt 0x0
	ds_store_b32 v3, v6
	v_add_nc_u32_e32 v3, 0x200, v3
	s_and_not1_b32 exec_lo, exec_lo, s3
	s_cbranch_execnz .LBB28_2
.LBB28_3:
	s_or_b32 exec_lo, exec_lo, s12
	v_mov_b32_e32 v1, 0
	s_wait_dscnt 0x0
	s_barrier_signal -1
	s_barrier_wait -1
	global_inv scope:SCOPE_SE
	ds_load_b32 v6, v1
	s_cmp_lt_i32 s10, 2
	s_cbranch_scc1 .LBB28_11
; %bb.4:
	s_add_co_i32 s1, s10, -2
	s_add_co_i32 s0, s10, -1
	s_wait_alu 0xfffe
	s_cmp_lt_u32 s1, 7
	s_cbranch_scc1 .LBB28_8
; %bb.5:
	s_mov_b32 s3, 0
	s_add_co_i32 s1, 0, 8
	s_and_b32 s6, s0, -8
.LBB28_6:                               ; =>This Inner Loop Header: Depth=1
	s_wait_alu 0xfffe
	v_mov_b32_e32 v9, s1
	s_mov_b32 s7, s3
	s_add_co_i32 s3, s3, 8
	s_add_co_i32 s1, s1, 64
	s_cmp_eq_u32 s6, s3
	ds_load_2addr_b32 v[1:2], v9 offset1:2
	ds_load_2addr_b32 v[3:4], v9 offset0:4 offset1:6
	ds_load_2addr_b32 v[7:8], v9 offset0:8 offset1:10
	;; [unrolled: 1-line block ×3, first 2 shown]
	s_wait_dscnt 0x3
	v_max3_num_f32 v1, v6, v1, v2
	s_wait_dscnt 0x2
	s_delay_alu instid0(VALU_DEP_1) | instskip(SKIP_1) | instid1(VALU_DEP_1)
	v_max3_num_f32 v1, v1, v3, v4
	s_wait_dscnt 0x1
	v_max3_num_f32 v1, v1, v7, v8
	s_wait_dscnt 0x0
	s_delay_alu instid0(VALU_DEP_1)
	v_max3_num_f32 v6, v1, v9, v10
	s_cbranch_scc0 .LBB28_6
; %bb.7:
	s_wait_alu 0xfffe
	s_add_co_i32 s1, s7, 9
	s_and_b32 s0, s0, 7
	s_wait_alu 0xfffe
	s_cmp_eq_u32 s0, 0
	s_cbranch_scc0 .LBB28_9
	s_branch .LBB28_11
.LBB28_8:
	s_mov_b32 s1, 1
	s_and_b32 s0, s0, 7
	s_wait_alu 0xfffe
	s_cmp_eq_u32 s0, 0
	s_cbranch_scc1 .LBB28_11
.LBB28_9:
	s_lshl_b32 s1, s1, 3
	s_wait_alu 0xfffe
	s_add_co_i32 s1, s1, 0
.LBB28_10:                              ; =>This Inner Loop Header: Depth=1
	s_wait_dscnt 0x0
	s_wait_alu 0xfffe
	s_delay_alu instid0(VALU_DEP_1)
	v_dual_mov_b32 v1, s1 :: v_dual_max_num_f32 v2, v6, v6
	s_add_co_i32 s0, s0, -1
	s_add_co_i32 s1, s1, 8
	s_wait_alu 0xfffe
	s_cmp_lg_u32 s0, 0
	ds_load_b32 v1, v1
	s_wait_dscnt 0x0
	v_max_num_f32_e32 v1, v1, v1
	s_delay_alu instid0(VALU_DEP_1)
	v_max_num_f32_e32 v6, v2, v1
	s_cbranch_scc1 .LBB28_10
.LBB28_11:
	s_cmp_lt_i32 s10, 1
	s_cbranch_scc1 .LBB28_16
; %bb.12:
	s_lshl_b32 s0, s2, 7
	s_wait_alu 0xfffe
	s_ashr_i32 s1, s0, 31
	s_wait_alu 0xfffe
	s_lshl_b64 s[0:1], s[0:1], 2
	s_cmp_lt_u32 s10, 8
	s_wait_alu 0xfffe
	s_add_nc_u64 s[6:7], s[4:5], s[0:1]
	s_cbranch_scc1 .LBB28_17
; %bb.13:
	v_or_b32_e32 v1, 0x380, v0
	v_dual_mov_b32 v4, 0 :: v_dual_mov_b32 v7, 0
	v_mov_b32_e32 v8, 0
	s_and_b32 s12, s10, 0x7ffffff8
	s_mov_b32 s13, 0
	s_mov_b32 s14, 0
.LBB28_14:                              ; =>This Inner Loop Header: Depth=1
	v_dual_mov_b32 v2, v4 :: v_dual_add_nc_u32 v3, 0xfffffc80, v1
	v_mov_b32_e32 v21, s14
	s_add_co_i32 s13, s13, 8
	s_add_co_i32 s14, s14, 64
	s_delay_alu instid0(VALU_DEP_2) | instskip(SKIP_3) | instid1(VALU_DEP_2)
	v_lshlrev_b64_e32 v[9:10], 2, v[3:4]
	v_add_nc_u32_e32 v3, 0xfffffd00, v1
	v_lshlrev_b64_e32 v[11:12], 2, v[1:2]
	s_cmp_eq_u32 s12, s13
	v_lshlrev_b64_e32 v[13:14], 2, v[3:4]
	s_wait_alu 0xfffe
	v_add_co_u32 v9, vcc_lo, s6, v9
	s_wait_alu 0xfffd
	v_add_co_ci_u32_e64 v10, null, s7, v10, vcc_lo
	v_add_nc_u32_e32 v3, 0xfffffd80, v1
	v_add_co_u32 v13, vcc_lo, s6, v13
	global_load_b32 v25, v[9:10], off
	s_wait_alu 0xfffd
	v_add_co_ci_u32_e64 v14, null, s7, v14, vcc_lo
	v_lshlrev_b64_e32 v[15:16], 2, v[3:4]
	v_add_nc_u32_e32 v3, 0xfffffe00, v1
	global_load_b32 v26, v[13:14], off
	v_add_co_u32 v13, vcc_lo, s6, v15
	s_wait_alu 0xfffd
	v_add_co_ci_u32_e64 v14, null, s7, v16, vcc_lo
	v_lshlrev_b64_e32 v[9:10], 2, v[3:4]
	v_add_nc_u32_e32 v3, 0xfffffe80, v1
	global_load_b32 v27, v[13:14], off
	v_add_co_u32 v9, vcc_lo, s6, v9
	v_lshlrev_b64_e32 v[15:16], 2, v[3:4]
	v_add_nc_u32_e32 v3, 0xffffff00, v1
	s_wait_alu 0xfffd
	v_add_co_ci_u32_e64 v10, null, s7, v10, vcc_lo
	global_load_b32 v28, v[9:10], off
	v_lshlrev_b64_e32 v[13:14], 2, v[3:4]
	v_add_nc_u32_e32 v3, 0xffffff80, v1
	v_add_co_u32 v9, vcc_lo, s6, v15
	s_wait_alu 0xfffd
	v_add_co_ci_u32_e64 v10, null, s7, v16, vcc_lo
	s_delay_alu instid0(VALU_DEP_4)
	v_add_co_u32 v13, vcc_lo, s6, v13
	v_lshlrev_b64_e32 v[2:3], 2, v[3:4]
	s_wait_alu 0xfffd
	v_add_co_ci_u32_e64 v14, null, s7, v14, vcc_lo
	s_clause 0x1
	global_load_b32 v29, v[9:10], off
	global_load_b32 v30, v[13:14], off
	v_add_co_u32 v2, vcc_lo, s6, v2
	s_wait_alu 0xfffd
	v_add_co_ci_u32_e64 v3, null, s7, v3, vcc_lo
	v_add_co_u32 v9, vcc_lo, s6, v11
	s_wait_alu 0xfffd
	v_add_co_ci_u32_e64 v10, null, s7, v12, vcc_lo
	s_clause 0x1
	global_load_b32 v2, v[2:3], off
	global_load_b32 v3, v[9:10], off
	ds_load_2addr_b64 v[9:12], v21 offset1:1
	ds_load_2addr_b64 v[13:16], v21 offset0:2 offset1:3
	ds_load_2addr_b64 v[17:20], v21 offset0:4 offset1:5
	;; [unrolled: 1-line block ×3, first 2 shown]
	v_add_nc_u32_e32 v1, 0x400, v1
	s_wait_dscnt 0x1
	v_sub_f32_e32 v19, v19, v6
	v_sub_f32_e32 v11, v11, v6
	s_wait_dscnt 0x0
	v_sub_f32_e32 v23, v23, v6
	s_delay_alu instid0(VALU_DEP_3) | instskip(NEXT) | instid1(VALU_DEP_3)
	v_dual_sub_f32 v13, v13, v6 :: v_dual_mul_f32 v36, 0x3fb8aa3b, v19
	v_mul_f32_e32 v32, 0x3fb8aa3b, v11
	s_delay_alu instid0(VALU_DEP_2) | instskip(SKIP_1) | instid1(VALU_DEP_4)
	v_dual_mul_f32 v38, 0x3fb8aa3b, v23 :: v_dual_mul_f32 v33, 0x3fb8aa3b, v13
	v_cmp_ngt_f32_e32 vcc_lo, 0xc2ce8ed0, v13
	v_xor_b32_e32 v49, 0x80000000, v36
	s_delay_alu instid0(VALU_DEP_4) | instskip(SKIP_4) | instid1(VALU_DEP_4)
	v_xor_b32_e32 v41, 0x80000000, v32
	v_rndne_f32_e32 v42, v32
	v_xor_b32_e32 v43, 0x80000000, v33
	v_rndne_f32_e32 v44, v33
	v_rndne_f32_e32 v50, v36
	v_dual_fmac_f32 v41, 0x3fb8aa3b, v11 :: v_dual_sub_f32 v32, v32, v42
	s_delay_alu instid0(VALU_DEP_4) | instskip(NEXT) | instid1(VALU_DEP_4)
	v_fmac_f32_e32 v43, 0x3fb8aa3b, v13
	v_sub_f32_e32 v33, v33, v44
	v_cvt_i32_f32_e32 v42, v42
	s_delay_alu instid0(VALU_DEP_4) | instskip(SKIP_3) | instid1(VALU_DEP_4)
	v_fmac_f32_e32 v41, 0x32a5705f, v11
	v_sub_f32_e32 v15, v15, v6
	v_fmac_f32_e32 v43, 0x32a5705f, v13
	v_cvt_i32_f32_e32 v44, v44
	v_dual_fmac_f32 v49, 0x3fb8aa3b, v19 :: v_dual_add_f32 v32, v32, v41
	s_delay_alu instid0(VALU_DEP_4) | instskip(NEXT) | instid1(VALU_DEP_4)
	v_dual_sub_f32 v9, v9, v6 :: v_dual_mul_f32 v34, 0x3fb8aa3b, v15
	v_add_f32_e32 v33, v33, v43
	v_cmp_ngt_f32_e64 s0, 0xc2ce8ed0, v15
	s_delay_alu instid0(VALU_DEP_4) | instskip(NEXT) | instid1(VALU_DEP_3)
	v_exp_f32_e32 v32, v32
	v_mul_f32_e32 v31, 0x3fb8aa3b, v9
	v_xor_b32_e32 v45, 0x80000000, v34
	v_rndne_f32_e32 v46, v34
	v_exp_f32_e32 v33, v33
	v_cmp_ngt_f32_e64 s5, 0xc2ce8ed0, v9
	v_xor_b32_e32 v39, 0x80000000, v31
	v_rndne_f32_e32 v40, v31
	v_dual_fmac_f32 v45, 0x3fb8aa3b, v15 :: v_dual_sub_f32 v34, v34, v46
	s_delay_alu instid0(TRANS32_DEP_2) | instskip(NEXT) | instid1(VALU_DEP_4)
	v_ldexp_f32 v32, v32, v42
	v_fmac_f32_e32 v39, 0x3fb8aa3b, v9
	s_delay_alu instid0(VALU_DEP_4)
	v_sub_f32_e32 v31, v31, v40
	v_cvt_i32_f32_e32 v40, v40
	v_fmac_f32_e32 v45, 0x32a5705f, v15
	v_sub_f32_e32 v17, v17, v6
	v_fmac_f32_e32 v39, 0x32a5705f, v9
	v_ldexp_f32 v33, v33, v44
	v_cvt_i32_f32_e32 v46, v46
	v_add_f32_e32 v34, v34, v45
	s_delay_alu instid0(VALU_DEP_4) | instskip(SKIP_2) | instid1(VALU_DEP_4)
	v_dual_sub_f32 v36, v36, v50 :: v_dual_add_f32 v31, v31, v39
	v_fmac_f32_e32 v49, 0x32a5705f, v19
	v_xor_b32_e32 v53, 0x80000000, v38
	v_exp_f32_e32 v34, v34
	v_cvt_i32_f32_e32 v50, v50
	v_exp_f32_e32 v31, v31
	v_add_f32_e32 v36, v36, v49
	v_cmp_ngt_f32_e64 s1, 0xc2ce8ed0, v17
	v_rndne_f32_e32 v54, v38
	v_cmp_ngt_f32_e64 s2, 0xc2ce8ed0, v19
	s_delay_alu instid0(VALU_DEP_4) | instskip(NEXT) | instid1(TRANS32_DEP_3)
	v_exp_f32_e32 v36, v36
	v_ldexp_f32 v34, v34, v46
	s_delay_alu instid0(VALU_DEP_3) | instskip(NEXT) | instid1(TRANS32_DEP_2)
	v_sub_f32_e32 v38, v38, v54
	v_ldexp_f32 v31, v31, v40
	v_cvt_i32_f32_e32 v54, v54
	s_wait_alu 0xf1ff
	s_delay_alu instid0(VALU_DEP_2) | instskip(SKIP_1) | instid1(TRANS32_DEP_1)
	v_cndmask_b32_e64 v31, 0, v31, s5
	v_cmp_ngt_f32_e64 s5, 0xc2ce8ed0, v11
	v_ldexp_f32 v36, v36, v50
	s_wait_alu 0xf1ff
	s_delay_alu instid0(VALU_DEP_2) | instskip(SKIP_2) | instid1(VALU_DEP_1)
	v_cndmask_b32_e64 v32, 0, v32, s5
	v_cmp_nlt_f32_e64 s5, 0x42b17218, v9
	s_wait_alu 0xf1ff
	v_cndmask_b32_e64 v9, 0x7f800000, v31, s5
	s_wait_alu 0xfffd
	v_cndmask_b32_e32 v31, 0, v33, vcc_lo
	v_cmp_nlt_f32_e32 vcc_lo, 0x42b17218, v11
	s_wait_alu 0xfffd
	v_dual_fmac_f32 v8, v9, v10 :: v_dual_cndmask_b32 v11, 0x7f800000, v32
	v_cmp_nlt_f32_e32 vcc_lo, 0x42b17218, v13
	s_delay_alu instid0(VALU_DEP_2)
	v_fmac_f32_e32 v8, v11, v12
	s_wait_alu 0xfffd
	v_cndmask_b32_e32 v10, 0x7f800000, v31, vcc_lo
	v_cmp_nlt_f32_e32 vcc_lo, 0x42b17218, v15
	v_fmac_f32_e32 v53, 0x3fb8aa3b, v23
	v_cmp_ngt_f32_e64 s4, 0xc2ce8ed0, v23
	s_delay_alu instid0(VALU_DEP_2) | instskip(NEXT) | instid1(VALU_DEP_1)
	v_dual_fmac_f32 v8, v10, v14 :: v_dual_fmac_f32 v53, 0x32a5705f, v23
	v_dual_sub_f32 v21, v21, v6 :: v_dual_add_f32 v38, v38, v53
	s_delay_alu instid0(VALU_DEP_1) | instskip(NEXT) | instid1(VALU_DEP_2)
	v_cmp_ngt_f32_e64 s3, 0xc2ce8ed0, v21
	v_exp_f32_e32 v38, v38
	s_delay_alu instid0(TRANS32_DEP_1) | instskip(SKIP_4) | instid1(VALU_DEP_1)
	v_ldexp_f32 v38, v38, v54
	s_wait_loadcnt 0x7
	v_fmac_f32_e32 v7, v25, v9
	v_cndmask_b32_e64 v9, 0, v34, s0
	s_wait_alu 0xfffd
	v_cndmask_b32_e32 v9, 0x7f800000, v9, vcc_lo
	s_wait_loadcnt 0x6
	v_fmac_f32_e32 v7, v26, v11
	v_cmp_nlt_f32_e32 vcc_lo, 0x42b17218, v17
	s_delay_alu instid0(VALU_DEP_3) | instskip(SKIP_1) | instid1(VALU_DEP_3)
	v_dual_fmac_f32 v8, v9, v16 :: v_dual_mul_f32 v35, 0x3fb8aa3b, v17
	s_wait_loadcnt 0x5
	v_fmac_f32_e32 v7, v27, v10
	s_delay_alu instid0(VALU_DEP_2) | instskip(SKIP_2) | instid1(VALU_DEP_3)
	v_xor_b32_e32 v47, 0x80000000, v35
	v_rndne_f32_e32 v48, v35
	v_cndmask_b32_e64 v10, 0, v36, s2
	v_fmac_f32_e32 v47, 0x3fb8aa3b, v17
	s_delay_alu instid0(VALU_DEP_3) | instskip(SKIP_1) | instid1(VALU_DEP_3)
	v_sub_f32_e32 v35, v35, v48
	v_cvt_i32_f32_e32 v48, v48
	v_fmac_f32_e32 v47, 0x32a5705f, v17
	s_wait_loadcnt 0x4
	v_fmac_f32_e32 v7, v28, v9
	s_delay_alu instid0(VALU_DEP_2) | instskip(NEXT) | instid1(VALU_DEP_1)
	v_add_f32_e32 v35, v35, v47
	v_exp_f32_e32 v35, v35
	s_delay_alu instid0(TRANS32_DEP_1) | instskip(NEXT) | instid1(VALU_DEP_1)
	v_ldexp_f32 v35, v35, v48
	v_cndmask_b32_e64 v11, 0, v35, s1
	s_wait_alu 0xfffd
	s_delay_alu instid0(VALU_DEP_1) | instskip(SKIP_1) | instid1(VALU_DEP_2)
	v_cndmask_b32_e32 v11, 0x7f800000, v11, vcc_lo
	v_cmp_nlt_f32_e32 vcc_lo, 0x42b17218, v19
	v_fmac_f32_e32 v8, v11, v18
	s_wait_alu 0xfffd
	v_cndmask_b32_e32 v10, 0x7f800000, v10, vcc_lo
	v_mul_f32_e32 v37, 0x3fb8aa3b, v21
	s_wait_loadcnt 0x3
	v_fmac_f32_e32 v7, v29, v11
	v_cmp_nlt_f32_e32 vcc_lo, 0x42b17218, v21
	s_wait_alu 0xf1ff
	v_cndmask_b32_e64 v11, 0, v38, s4
	v_fmac_f32_e32 v8, v10, v20
	v_xor_b32_e32 v51, 0x80000000, v37
	v_rndne_f32_e32 v52, v37
	s_wait_loadcnt 0x2
	v_fmac_f32_e32 v7, v30, v10
	s_delay_alu instid0(VALU_DEP_3) | instskip(NEXT) | instid1(VALU_DEP_3)
	v_fmac_f32_e32 v51, 0x3fb8aa3b, v21
	v_sub_f32_e32 v37, v37, v52
	v_cvt_i32_f32_e32 v52, v52
	s_delay_alu instid0(VALU_DEP_3) | instskip(NEXT) | instid1(VALU_DEP_1)
	v_fmac_f32_e32 v51, 0x32a5705f, v21
	v_add_f32_e32 v37, v37, v51
	s_delay_alu instid0(VALU_DEP_1) | instskip(NEXT) | instid1(TRANS32_DEP_1)
	v_exp_f32_e32 v37, v37
	v_ldexp_f32 v37, v37, v52
	s_delay_alu instid0(VALU_DEP_1) | instskip(SKIP_1) | instid1(VALU_DEP_1)
	v_cndmask_b32_e64 v9, 0, v37, s3
	s_wait_alu 0xfffd
	v_cndmask_b32_e32 v9, 0x7f800000, v9, vcc_lo
	v_cmp_nlt_f32_e32 vcc_lo, 0x42b17218, v23
	s_delay_alu instid0(VALU_DEP_2) | instskip(SKIP_4) | instid1(VALU_DEP_1)
	v_fmac_f32_e32 v8, v9, v22
	s_wait_loadcnt 0x1
	s_wait_alu 0xfffd
	v_dual_cndmask_b32 v10, 0x7f800000, v11 :: v_dual_fmac_f32 v7, v2, v9
	s_wait_loadcnt 0x0
	v_dual_fmac_f32 v8, v10, v24 :: v_dual_fmac_f32 v7, v3, v10
	s_cbranch_scc0 .LBB28_14
; %bb.15:
	s_and_b32 s0, s10, 7
	s_wait_alu 0xfffe
	s_cmp_eq_u32 s0, 0
	s_cbranch_scc0 .LBB28_18
	s_branch .LBB28_20
.LBB28_16:
	v_mov_b32_e32 v0, 0x7fc00000
	s_branch .LBB28_21
.LBB28_17:
	v_dual_mov_b32 v7, 0 :: v_dual_mov_b32 v8, 0
	s_mov_b32 s12, 0
	s_and_b32 s0, s10, 7
	s_wait_alu 0xfffe
	s_cmp_eq_u32 s0, 0
	s_cbranch_scc1 .LBB28_20
.LBB28_18:
	v_lshl_or_b32 v0, s12, 7, v0
	v_mov_b32_e32 v1, 0
	s_lshl_b32 s1, s12, 3
	s_wait_alu 0xfffe
	s_add_co_i32 s1, s1, 0
.LBB28_19:                              ; =>This Inner Loop Header: Depth=1
	s_delay_alu instid0(VALU_DEP_1) | instskip(SKIP_2) | instid1(VALU_DEP_2)
	v_lshlrev_b64_e32 v[2:3], 2, v[0:1]
	s_add_co_i32 s0, s0, -1
	v_add_nc_u32_e32 v0, 0x80, v0
	v_add_co_u32 v2, vcc_lo, s6, v2
	s_wait_alu 0xfffd
	s_delay_alu instid0(VALU_DEP_3)
	v_add_co_ci_u32_e64 v3, null, s7, v3, vcc_lo
	global_load_b32 v4, v[2:3], off
	s_wait_alu 0xfffe
	v_mov_b32_e32 v2, s1
	s_add_co_i32 s1, s1, 8
	s_cmp_lg_u32 s0, 0
	ds_load_b64 v[2:3], v2
	s_wait_dscnt 0x0
	v_sub_f32_e32 v2, v2, v6
	s_delay_alu instid0(VALU_DEP_1) | instskip(SKIP_1) | instid1(VALU_DEP_2)
	v_mul_f32_e32 v9, 0x3fb8aa3b, v2
	v_cmp_ngt_f32_e32 vcc_lo, 0xc2ce8ed0, v2
	v_xor_b32_e32 v10, 0x80000000, v9
	v_rndne_f32_e32 v11, v9
	s_delay_alu instid0(VALU_DEP_1) | instskip(NEXT) | instid1(VALU_DEP_1)
	v_dual_fmac_f32 v10, 0x3fb8aa3b, v2 :: v_dual_sub_f32 v9, v9, v11
	v_fmac_f32_e32 v10, 0x32a5705f, v2
	s_delay_alu instid0(VALU_DEP_1) | instskip(SKIP_1) | instid1(VALU_DEP_2)
	v_add_f32_e32 v9, v9, v10
	v_cvt_i32_f32_e32 v10, v11
	v_exp_f32_e32 v9, v9
	s_delay_alu instid0(TRANS32_DEP_1) | instskip(SKIP_1) | instid1(VALU_DEP_1)
	v_ldexp_f32 v9, v9, v10
	s_wait_alu 0xfffd
	v_cndmask_b32_e32 v9, 0, v9, vcc_lo
	v_cmp_nlt_f32_e32 vcc_lo, 0x42b17218, v2
	s_wait_alu 0xfffd
	s_delay_alu instid0(VALU_DEP_2) | instskip(SKIP_1) | instid1(VALU_DEP_1)
	v_cndmask_b32_e32 v2, 0x7f800000, v9, vcc_lo
	s_wait_loadcnt 0x0
	v_dual_fmac_f32 v8, v2, v3 :: v_dual_fmac_f32 v7, v4, v2
	s_cbranch_scc1 .LBB28_19
.LBB28_20:
	s_delay_alu instid0(VALU_DEP_1) | instskip(NEXT) | instid1(VALU_DEP_1)
	v_div_scale_f32 v0, null, v8, v8, v7
	v_rcp_f32_e32 v1, v0
	s_delay_alu instid0(TRANS32_DEP_1) | instskip(NEXT) | instid1(VALU_DEP_1)
	v_fma_f32 v2, -v0, v1, 1.0
	v_fmac_f32_e32 v1, v2, v1
	v_div_scale_f32 v2, vcc_lo, v7, v8, v7
	s_delay_alu instid0(VALU_DEP_1) | instskip(NEXT) | instid1(VALU_DEP_1)
	v_mul_f32_e32 v3, v2, v1
	v_fma_f32 v4, -v0, v3, v2
	s_delay_alu instid0(VALU_DEP_1) | instskip(NEXT) | instid1(VALU_DEP_1)
	v_fmac_f32_e32 v3, v4, v1
	v_fma_f32 v0, -v0, v3, v2
	s_wait_alu 0xfffd
	s_delay_alu instid0(VALU_DEP_1) | instskip(NEXT) | instid1(VALU_DEP_1)
	v_div_fmas_f32 v0, v0, v1, v3
	v_div_fixup_f32 v0, v0, v8, v7
.LBB28_21:
	s_lshl_b32 s0, s11, 7
	s_wait_alu 0xfffe
	s_ashr_i32 s1, s0, 31
	s_wait_alu 0xfffe
	s_lshl_b64 s[0:1], s[0:1], 2
	s_wait_alu 0xfffe
	s_add_nc_u64 s[0:1], s[8:9], s[0:1]
	global_store_b32 v5, v0, s[0:1]
	s_endpgm
	.section	.rodata,"a",@progbits
	.p2align	6, 0x0
	.amdhsa_kernel _ZL26flash_attn_combine_resultsILi128EEvPKfPK15HIP_vector_typeIfLj2EEPfi
		.amdhsa_group_segment_fixed_size 0
		.amdhsa_private_segment_fixed_size 0
		.amdhsa_kernarg_size 288
		.amdhsa_user_sgpr_count 2
		.amdhsa_user_sgpr_dispatch_ptr 0
		.amdhsa_user_sgpr_queue_ptr 0
		.amdhsa_user_sgpr_kernarg_segment_ptr 1
		.amdhsa_user_sgpr_dispatch_id 0
		.amdhsa_user_sgpr_private_segment_size 0
		.amdhsa_wavefront_size32 1
		.amdhsa_uses_dynamic_stack 0
		.amdhsa_enable_private_segment 0
		.amdhsa_system_sgpr_workgroup_id_x 1
		.amdhsa_system_sgpr_workgroup_id_y 1
		.amdhsa_system_sgpr_workgroup_id_z 1
		.amdhsa_system_sgpr_workgroup_info 0
		.amdhsa_system_vgpr_workitem_id 0
		.amdhsa_next_free_vgpr 55
		.amdhsa_next_free_sgpr 16
		.amdhsa_reserve_vcc 1
		.amdhsa_float_round_mode_32 0
		.amdhsa_float_round_mode_16_64 0
		.amdhsa_float_denorm_mode_32 3
		.amdhsa_float_denorm_mode_16_64 3
		.amdhsa_fp16_overflow 0
		.amdhsa_workgroup_processor_mode 1
		.amdhsa_memory_ordered 1
		.amdhsa_forward_progress 1
		.amdhsa_inst_pref_size 21
		.amdhsa_round_robin_scheduling 0
		.amdhsa_exception_fp_ieee_invalid_op 0
		.amdhsa_exception_fp_denorm_src 0
		.amdhsa_exception_fp_ieee_div_zero 0
		.amdhsa_exception_fp_ieee_overflow 0
		.amdhsa_exception_fp_ieee_underflow 0
		.amdhsa_exception_fp_ieee_inexact 0
		.amdhsa_exception_int_div_zero 0
	.end_amdhsa_kernel
	.section	.text._ZL26flash_attn_combine_resultsILi128EEvPKfPK15HIP_vector_typeIfLj2EEPfi,"axG",@progbits,_ZL26flash_attn_combine_resultsILi128EEvPKfPK15HIP_vector_typeIfLj2EEPfi,comdat
.Lfunc_end28:
	.size	_ZL26flash_attn_combine_resultsILi128EEvPKfPK15HIP_vector_typeIfLj2EEPfi, .Lfunc_end28-_ZL26flash_attn_combine_resultsILi128EEvPKfPK15HIP_vector_typeIfLj2EEPfi
                                        ; -- End function
	.set _ZL26flash_attn_combine_resultsILi128EEvPKfPK15HIP_vector_typeIfLj2EEPfi.num_vgpr, 55
	.set _ZL26flash_attn_combine_resultsILi128EEvPKfPK15HIP_vector_typeIfLj2EEPfi.num_agpr, 0
	.set _ZL26flash_attn_combine_resultsILi128EEvPKfPK15HIP_vector_typeIfLj2EEPfi.numbered_sgpr, 16
	.set _ZL26flash_attn_combine_resultsILi128EEvPKfPK15HIP_vector_typeIfLj2EEPfi.num_named_barrier, 0
	.set _ZL26flash_attn_combine_resultsILi128EEvPKfPK15HIP_vector_typeIfLj2EEPfi.private_seg_size, 0
	.set _ZL26flash_attn_combine_resultsILi128EEvPKfPK15HIP_vector_typeIfLj2EEPfi.uses_vcc, 1
	.set _ZL26flash_attn_combine_resultsILi128EEvPKfPK15HIP_vector_typeIfLj2EEPfi.uses_flat_scratch, 0
	.set _ZL26flash_attn_combine_resultsILi128EEvPKfPK15HIP_vector_typeIfLj2EEPfi.has_dyn_sized_stack, 0
	.set _ZL26flash_attn_combine_resultsILi128EEvPKfPK15HIP_vector_typeIfLj2EEPfi.has_recursion, 0
	.set _ZL26flash_attn_combine_resultsILi128EEvPKfPK15HIP_vector_typeIfLj2EEPfi.has_indirect_call, 0
	.section	.AMDGPU.csdata,"",@progbits
; Kernel info:
; codeLenInByte = 2564
; TotalNumSgprs: 18
; NumVgprs: 55
; ScratchSize: 0
; MemoryBound: 0
; FloatMode: 240
; IeeeMode: 1
; LDSByteSize: 0 bytes/workgroup (compile time only)
; SGPRBlocks: 0
; VGPRBlocks: 6
; NumSGPRsForWavesPerEU: 18
; NumVGPRsForWavesPerEU: 55
; Occupancy: 16
; WaveLimiterHint : 0
; COMPUTE_PGM_RSRC2:SCRATCH_EN: 0
; COMPUTE_PGM_RSRC2:USER_SGPR: 2
; COMPUTE_PGM_RSRC2:TRAP_HANDLER: 0
; COMPUTE_PGM_RSRC2:TGID_X_EN: 1
; COMPUTE_PGM_RSRC2:TGID_Y_EN: 1
; COMPUTE_PGM_RSRC2:TGID_Z_EN: 1
; COMPUTE_PGM_RSRC2:TIDIG_COMP_CNT: 0
	.section	.text._ZL18flash_attn_ext_f16ILi256ELi256ELi8ELi2ELb0ELb0EEvPKcS1_S1_S1_S1_PKiPfP15HIP_vector_typeIfLj2EEffffjfiS5_IjLj3EEiiiiiiiiiiiliiliiiiil,"axG",@progbits,_ZL18flash_attn_ext_f16ILi256ELi256ELi8ELi2ELb0ELb0EEvPKcS1_S1_S1_S1_PKiPfP15HIP_vector_typeIfLj2EEffffjfiS5_IjLj3EEiiiiiiiiiiiliiliiiiil,comdat
	.globl	_ZL18flash_attn_ext_f16ILi256ELi256ELi8ELi2ELb0ELb0EEvPKcS1_S1_S1_S1_PKiPfP15HIP_vector_typeIfLj2EEffffjfiS5_IjLj3EEiiiiiiiiiiiliiliiiiil ; -- Begin function _ZL18flash_attn_ext_f16ILi256ELi256ELi8ELi2ELb0ELb0EEvPKcS1_S1_S1_S1_PKiPfP15HIP_vector_typeIfLj2EEffffjfiS5_IjLj3EEiiiiiiiiiiiliiliiiiil
	.p2align	8
	.type	_ZL18flash_attn_ext_f16ILi256ELi256ELi8ELi2ELb0ELb0EEvPKcS1_S1_S1_S1_PKiPfP15HIP_vector_typeIfLj2EEffffjfiS5_IjLj3EEiiiiiiiiiiiliiliiiiil,@function
_ZL18flash_attn_ext_f16ILi256ELi256ELi8ELi2ELb0ELb0EEvPKcS1_S1_S1_S1_PKiPfP15HIP_vector_typeIfLj2EEffffjfiS5_IjLj3EEiiiiiiiiiiiliiliiiiil: ; @_ZL18flash_attn_ext_f16ILi256ELi256ELi8ELi2ELb0ELb0EEvPKcS1_S1_S1_S1_PKiPfP15HIP_vector_typeIfLj2EEffffjfiS5_IjLj3EEiiiiiiiiiiiliiliiiiil
; %bb.0:
	v_mov_b32_e32 v0, 0x6e3
	s_add_nc_u64 s[8:9], s[0:1], 0xd0
	s_getpc_b64 s[0:1]
	s_sext_i32_i16 s1, s1
	s_add_co_u32 s0, s0, _ZL14no_device_codePKciS0_iS0_@rel32@lo+8
	s_add_co_ci_u32 s1, s1, _ZL14no_device_codePKciS0_iS0_@rel32@hi+16
	s_mov_b32 s32, 0
	s_swappc_b64 s[30:31], s[0:1]
	.section	.rodata,"a",@progbits
	.p2align	6, 0x0
	.amdhsa_kernel _ZL18flash_attn_ext_f16ILi256ELi256ELi8ELi2ELb0ELb0EEvPKcS1_S1_S1_S1_PKiPfP15HIP_vector_typeIfLj2EEffffjfiS5_IjLj3EEiiiiiiiiiiiliiliiiiil
		.amdhsa_group_segment_fixed_size 0
		.amdhsa_private_segment_fixed_size 16
		.amdhsa_kernarg_size 464
		.amdhsa_user_sgpr_count 2
		.amdhsa_user_sgpr_dispatch_ptr 0
		.amdhsa_user_sgpr_queue_ptr 0
		.amdhsa_user_sgpr_kernarg_segment_ptr 1
		.amdhsa_user_sgpr_dispatch_id 0
		.amdhsa_user_sgpr_private_segment_size 0
		.amdhsa_wavefront_size32 1
		.amdhsa_uses_dynamic_stack 0
		.amdhsa_enable_private_segment 1
		.amdhsa_system_sgpr_workgroup_id_x 1
		.amdhsa_system_sgpr_workgroup_id_y 0
		.amdhsa_system_sgpr_workgroup_id_z 0
		.amdhsa_system_sgpr_workgroup_info 0
		.amdhsa_system_vgpr_workitem_id 0
		.amdhsa_next_free_vgpr 40
		.amdhsa_next_free_sgpr 34
		.amdhsa_reserve_vcc 1
		.amdhsa_float_round_mode_32 0
		.amdhsa_float_round_mode_16_64 0
		.amdhsa_float_denorm_mode_32 3
		.amdhsa_float_denorm_mode_16_64 3
		.amdhsa_fp16_overflow 0
		.amdhsa_workgroup_processor_mode 1
		.amdhsa_memory_ordered 1
		.amdhsa_forward_progress 1
		.amdhsa_inst_pref_size 1
		.amdhsa_round_robin_scheduling 0
		.amdhsa_exception_fp_ieee_invalid_op 0
		.amdhsa_exception_fp_denorm_src 0
		.amdhsa_exception_fp_ieee_div_zero 0
		.amdhsa_exception_fp_ieee_overflow 0
		.amdhsa_exception_fp_ieee_underflow 0
		.amdhsa_exception_fp_ieee_inexact 0
		.amdhsa_exception_int_div_zero 0
	.end_amdhsa_kernel
	.section	.text._ZL18flash_attn_ext_f16ILi256ELi256ELi8ELi2ELb0ELb0EEvPKcS1_S1_S1_S1_PKiPfP15HIP_vector_typeIfLj2EEffffjfiS5_IjLj3EEiiiiiiiiiiiliiliiiiil,"axG",@progbits,_ZL18flash_attn_ext_f16ILi256ELi256ELi8ELi2ELb0ELb0EEvPKcS1_S1_S1_S1_PKiPfP15HIP_vector_typeIfLj2EEffffjfiS5_IjLj3EEiiiiiiiiiiiliiliiiiil,comdat
.Lfunc_end29:
	.size	_ZL18flash_attn_ext_f16ILi256ELi256ELi8ELi2ELb0ELb0EEvPKcS1_S1_S1_S1_PKiPfP15HIP_vector_typeIfLj2EEffffjfiS5_IjLj3EEiiiiiiiiiiiliiliiiiil, .Lfunc_end29-_ZL18flash_attn_ext_f16ILi256ELi256ELi8ELi2ELb0ELb0EEvPKcS1_S1_S1_S1_PKiPfP15HIP_vector_typeIfLj2EEffffjfiS5_IjLj3EEiiiiiiiiiiiliiliiiiil
                                        ; -- End function
	.set _ZL18flash_attn_ext_f16ILi256ELi256ELi8ELi2ELb0ELb0EEvPKcS1_S1_S1_S1_PKiPfP15HIP_vector_typeIfLj2EEffffjfiS5_IjLj3EEiiiiiiiiiiiliiliiiiil.num_vgpr, max(1, .L_ZL14no_device_codePKciS0_iS0_.num_vgpr)
	.set _ZL18flash_attn_ext_f16ILi256ELi256ELi8ELi2ELb0ELb0EEvPKcS1_S1_S1_S1_PKiPfP15HIP_vector_typeIfLj2EEffffjfiS5_IjLj3EEiiiiiiiiiiiliiliiiiil.num_agpr, max(0, .L_ZL14no_device_codePKciS0_iS0_.num_agpr)
	.set _ZL18flash_attn_ext_f16ILi256ELi256ELi8ELi2ELb0ELb0EEvPKcS1_S1_S1_S1_PKiPfP15HIP_vector_typeIfLj2EEffffjfiS5_IjLj3EEiiiiiiiiiiiliiliiiiil.numbered_sgpr, max(33, .L_ZL14no_device_codePKciS0_iS0_.numbered_sgpr)
	.set _ZL18flash_attn_ext_f16ILi256ELi256ELi8ELi2ELb0ELb0EEvPKcS1_S1_S1_S1_PKiPfP15HIP_vector_typeIfLj2EEffffjfiS5_IjLj3EEiiiiiiiiiiiliiliiiiil.num_named_barrier, max(0, .L_ZL14no_device_codePKciS0_iS0_.num_named_barrier)
	.set _ZL18flash_attn_ext_f16ILi256ELi256ELi8ELi2ELb0ELb0EEvPKcS1_S1_S1_S1_PKiPfP15HIP_vector_typeIfLj2EEffffjfiS5_IjLj3EEiiiiiiiiiiiliiliiiiil.private_seg_size, 0+max(.L_ZL14no_device_codePKciS0_iS0_.private_seg_size)
	.set _ZL18flash_attn_ext_f16ILi256ELi256ELi8ELi2ELb0ELb0EEvPKcS1_S1_S1_S1_PKiPfP15HIP_vector_typeIfLj2EEffffjfiS5_IjLj3EEiiiiiiiiiiiliiliiiiil.uses_vcc, or(1, .L_ZL14no_device_codePKciS0_iS0_.uses_vcc)
	.set _ZL18flash_attn_ext_f16ILi256ELi256ELi8ELi2ELb0ELb0EEvPKcS1_S1_S1_S1_PKiPfP15HIP_vector_typeIfLj2EEffffjfiS5_IjLj3EEiiiiiiiiiiiliiliiiiil.uses_flat_scratch, or(0, .L_ZL14no_device_codePKciS0_iS0_.uses_flat_scratch)
	.set _ZL18flash_attn_ext_f16ILi256ELi256ELi8ELi2ELb0ELb0EEvPKcS1_S1_S1_S1_PKiPfP15HIP_vector_typeIfLj2EEffffjfiS5_IjLj3EEiiiiiiiiiiiliiliiiiil.has_dyn_sized_stack, or(0, .L_ZL14no_device_codePKciS0_iS0_.has_dyn_sized_stack)
	.set _ZL18flash_attn_ext_f16ILi256ELi256ELi8ELi2ELb0ELb0EEvPKcS1_S1_S1_S1_PKiPfP15HIP_vector_typeIfLj2EEffffjfiS5_IjLj3EEiiiiiiiiiiiliiliiiiil.has_recursion, or(0, .L_ZL14no_device_codePKciS0_iS0_.has_recursion)
	.set _ZL18flash_attn_ext_f16ILi256ELi256ELi8ELi2ELb0ELb0EEvPKcS1_S1_S1_S1_PKiPfP15HIP_vector_typeIfLj2EEffffjfiS5_IjLj3EEiiiiiiiiiiiliiliiiiil.has_indirect_call, or(0, .L_ZL14no_device_codePKciS0_iS0_.has_indirect_call)
	.section	.AMDGPU.csdata,"",@progbits
; Kernel info:
; codeLenInByte = 48
; TotalNumSgprs: 36
; NumVgprs: 40
; ScratchSize: 16
; MemoryBound: 0
; FloatMode: 240
; IeeeMode: 1
; LDSByteSize: 0 bytes/workgroup (compile time only)
; SGPRBlocks: 0
; VGPRBlocks: 4
; NumSGPRsForWavesPerEU: 36
; NumVGPRsForWavesPerEU: 40
; Occupancy: 16
; WaveLimiterHint : 1
; COMPUTE_PGM_RSRC2:SCRATCH_EN: 1
; COMPUTE_PGM_RSRC2:USER_SGPR: 2
; COMPUTE_PGM_RSRC2:TRAP_HANDLER: 0
; COMPUTE_PGM_RSRC2:TGID_X_EN: 1
; COMPUTE_PGM_RSRC2:TGID_Y_EN: 0
; COMPUTE_PGM_RSRC2:TGID_Z_EN: 0
; COMPUTE_PGM_RSRC2:TIDIG_COMP_CNT: 0
	.section	.text._ZL18flash_attn_ext_f16ILi256ELi256ELi8ELi2ELb1ELb0EEvPKcS1_S1_S1_S1_PKiPfP15HIP_vector_typeIfLj2EEffffjfiS5_IjLj3EEiiiiiiiiiiiliiliiiiil,"axG",@progbits,_ZL18flash_attn_ext_f16ILi256ELi256ELi8ELi2ELb1ELb0EEvPKcS1_S1_S1_S1_PKiPfP15HIP_vector_typeIfLj2EEffffjfiS5_IjLj3EEiiiiiiiiiiiliiliiiiil,comdat
	.globl	_ZL18flash_attn_ext_f16ILi256ELi256ELi8ELi2ELb1ELb0EEvPKcS1_S1_S1_S1_PKiPfP15HIP_vector_typeIfLj2EEffffjfiS5_IjLj3EEiiiiiiiiiiiliiliiiiil ; -- Begin function _ZL18flash_attn_ext_f16ILi256ELi256ELi8ELi2ELb1ELb0EEvPKcS1_S1_S1_S1_PKiPfP15HIP_vector_typeIfLj2EEffffjfiS5_IjLj3EEiiiiiiiiiiiliiliiiiil
	.p2align	8
	.type	_ZL18flash_attn_ext_f16ILi256ELi256ELi8ELi2ELb1ELb0EEvPKcS1_S1_S1_S1_PKiPfP15HIP_vector_typeIfLj2EEffffjfiS5_IjLj3EEiiiiiiiiiiiliiliiiiil,@function
_ZL18flash_attn_ext_f16ILi256ELi256ELi8ELi2ELb1ELb0EEvPKcS1_S1_S1_S1_PKiPfP15HIP_vector_typeIfLj2EEffffjfiS5_IjLj3EEiiiiiiiiiiiliiliiiiil: ; @_ZL18flash_attn_ext_f16ILi256ELi256ELi8ELi2ELb1ELb0EEvPKcS1_S1_S1_S1_PKiPfP15HIP_vector_typeIfLj2EEffffjfiS5_IjLj3EEiiiiiiiiiiiliiliiiiil
; %bb.0:
	v_mov_b32_e32 v0, 0x6e3
	s_add_nc_u64 s[8:9], s[0:1], 0xd0
	s_getpc_b64 s[0:1]
	s_sext_i32_i16 s1, s1
	s_add_co_u32 s0, s0, _ZL14no_device_codePKciS0_iS0_@rel32@lo+8
	s_add_co_ci_u32 s1, s1, _ZL14no_device_codePKciS0_iS0_@rel32@hi+16
	s_mov_b32 s32, 0
	s_swappc_b64 s[30:31], s[0:1]
	.section	.rodata,"a",@progbits
	.p2align	6, 0x0
	.amdhsa_kernel _ZL18flash_attn_ext_f16ILi256ELi256ELi8ELi2ELb1ELb0EEvPKcS1_S1_S1_S1_PKiPfP15HIP_vector_typeIfLj2EEffffjfiS5_IjLj3EEiiiiiiiiiiiliiliiiiil
		.amdhsa_group_segment_fixed_size 0
		.amdhsa_private_segment_fixed_size 16
		.amdhsa_kernarg_size 464
		.amdhsa_user_sgpr_count 2
		.amdhsa_user_sgpr_dispatch_ptr 0
		.amdhsa_user_sgpr_queue_ptr 0
		.amdhsa_user_sgpr_kernarg_segment_ptr 1
		.amdhsa_user_sgpr_dispatch_id 0
		.amdhsa_user_sgpr_private_segment_size 0
		.amdhsa_wavefront_size32 1
		.amdhsa_uses_dynamic_stack 0
		.amdhsa_enable_private_segment 1
		.amdhsa_system_sgpr_workgroup_id_x 1
		.amdhsa_system_sgpr_workgroup_id_y 0
		.amdhsa_system_sgpr_workgroup_id_z 0
		.amdhsa_system_sgpr_workgroup_info 0
		.amdhsa_system_vgpr_workitem_id 0
		.amdhsa_next_free_vgpr 40
		.amdhsa_next_free_sgpr 34
		.amdhsa_reserve_vcc 1
		.amdhsa_float_round_mode_32 0
		.amdhsa_float_round_mode_16_64 0
		.amdhsa_float_denorm_mode_32 3
		.amdhsa_float_denorm_mode_16_64 3
		.amdhsa_fp16_overflow 0
		.amdhsa_workgroup_processor_mode 1
		.amdhsa_memory_ordered 1
		.amdhsa_forward_progress 1
		.amdhsa_inst_pref_size 1
		.amdhsa_round_robin_scheduling 0
		.amdhsa_exception_fp_ieee_invalid_op 0
		.amdhsa_exception_fp_denorm_src 0
		.amdhsa_exception_fp_ieee_div_zero 0
		.amdhsa_exception_fp_ieee_overflow 0
		.amdhsa_exception_fp_ieee_underflow 0
		.amdhsa_exception_fp_ieee_inexact 0
		.amdhsa_exception_int_div_zero 0
	.end_amdhsa_kernel
	.section	.text._ZL18flash_attn_ext_f16ILi256ELi256ELi8ELi2ELb1ELb0EEvPKcS1_S1_S1_S1_PKiPfP15HIP_vector_typeIfLj2EEffffjfiS5_IjLj3EEiiiiiiiiiiiliiliiiiil,"axG",@progbits,_ZL18flash_attn_ext_f16ILi256ELi256ELi8ELi2ELb1ELb0EEvPKcS1_S1_S1_S1_PKiPfP15HIP_vector_typeIfLj2EEffffjfiS5_IjLj3EEiiiiiiiiiiiliiliiiiil,comdat
.Lfunc_end30:
	.size	_ZL18flash_attn_ext_f16ILi256ELi256ELi8ELi2ELb1ELb0EEvPKcS1_S1_S1_S1_PKiPfP15HIP_vector_typeIfLj2EEffffjfiS5_IjLj3EEiiiiiiiiiiiliiliiiiil, .Lfunc_end30-_ZL18flash_attn_ext_f16ILi256ELi256ELi8ELi2ELb1ELb0EEvPKcS1_S1_S1_S1_PKiPfP15HIP_vector_typeIfLj2EEffffjfiS5_IjLj3EEiiiiiiiiiiiliiliiiiil
                                        ; -- End function
	.set _ZL18flash_attn_ext_f16ILi256ELi256ELi8ELi2ELb1ELb0EEvPKcS1_S1_S1_S1_PKiPfP15HIP_vector_typeIfLj2EEffffjfiS5_IjLj3EEiiiiiiiiiiiliiliiiiil.num_vgpr, max(1, .L_ZL14no_device_codePKciS0_iS0_.num_vgpr)
	.set _ZL18flash_attn_ext_f16ILi256ELi256ELi8ELi2ELb1ELb0EEvPKcS1_S1_S1_S1_PKiPfP15HIP_vector_typeIfLj2EEffffjfiS5_IjLj3EEiiiiiiiiiiiliiliiiiil.num_agpr, max(0, .L_ZL14no_device_codePKciS0_iS0_.num_agpr)
	.set _ZL18flash_attn_ext_f16ILi256ELi256ELi8ELi2ELb1ELb0EEvPKcS1_S1_S1_S1_PKiPfP15HIP_vector_typeIfLj2EEffffjfiS5_IjLj3EEiiiiiiiiiiiliiliiiiil.numbered_sgpr, max(33, .L_ZL14no_device_codePKciS0_iS0_.numbered_sgpr)
	.set _ZL18flash_attn_ext_f16ILi256ELi256ELi8ELi2ELb1ELb0EEvPKcS1_S1_S1_S1_PKiPfP15HIP_vector_typeIfLj2EEffffjfiS5_IjLj3EEiiiiiiiiiiiliiliiiiil.num_named_barrier, max(0, .L_ZL14no_device_codePKciS0_iS0_.num_named_barrier)
	.set _ZL18flash_attn_ext_f16ILi256ELi256ELi8ELi2ELb1ELb0EEvPKcS1_S1_S1_S1_PKiPfP15HIP_vector_typeIfLj2EEffffjfiS5_IjLj3EEiiiiiiiiiiiliiliiiiil.private_seg_size, 0+max(.L_ZL14no_device_codePKciS0_iS0_.private_seg_size)
	.set _ZL18flash_attn_ext_f16ILi256ELi256ELi8ELi2ELb1ELb0EEvPKcS1_S1_S1_S1_PKiPfP15HIP_vector_typeIfLj2EEffffjfiS5_IjLj3EEiiiiiiiiiiiliiliiiiil.uses_vcc, or(1, .L_ZL14no_device_codePKciS0_iS0_.uses_vcc)
	.set _ZL18flash_attn_ext_f16ILi256ELi256ELi8ELi2ELb1ELb0EEvPKcS1_S1_S1_S1_PKiPfP15HIP_vector_typeIfLj2EEffffjfiS5_IjLj3EEiiiiiiiiiiiliiliiiiil.uses_flat_scratch, or(0, .L_ZL14no_device_codePKciS0_iS0_.uses_flat_scratch)
	.set _ZL18flash_attn_ext_f16ILi256ELi256ELi8ELi2ELb1ELb0EEvPKcS1_S1_S1_S1_PKiPfP15HIP_vector_typeIfLj2EEffffjfiS5_IjLj3EEiiiiiiiiiiiliiliiiiil.has_dyn_sized_stack, or(0, .L_ZL14no_device_codePKciS0_iS0_.has_dyn_sized_stack)
	.set _ZL18flash_attn_ext_f16ILi256ELi256ELi8ELi2ELb1ELb0EEvPKcS1_S1_S1_S1_PKiPfP15HIP_vector_typeIfLj2EEffffjfiS5_IjLj3EEiiiiiiiiiiiliiliiiiil.has_recursion, or(0, .L_ZL14no_device_codePKciS0_iS0_.has_recursion)
	.set _ZL18flash_attn_ext_f16ILi256ELi256ELi8ELi2ELb1ELb0EEvPKcS1_S1_S1_S1_PKiPfP15HIP_vector_typeIfLj2EEffffjfiS5_IjLj3EEiiiiiiiiiiiliiliiiiil.has_indirect_call, or(0, .L_ZL14no_device_codePKciS0_iS0_.has_indirect_call)
	.section	.AMDGPU.csdata,"",@progbits
; Kernel info:
; codeLenInByte = 48
; TotalNumSgprs: 36
; NumVgprs: 40
; ScratchSize: 16
; MemoryBound: 0
; FloatMode: 240
; IeeeMode: 1
; LDSByteSize: 0 bytes/workgroup (compile time only)
; SGPRBlocks: 0
; VGPRBlocks: 4
; NumSGPRsForWavesPerEU: 36
; NumVGPRsForWavesPerEU: 40
; Occupancy: 16
; WaveLimiterHint : 1
; COMPUTE_PGM_RSRC2:SCRATCH_EN: 1
; COMPUTE_PGM_RSRC2:USER_SGPR: 2
; COMPUTE_PGM_RSRC2:TRAP_HANDLER: 0
; COMPUTE_PGM_RSRC2:TGID_X_EN: 1
; COMPUTE_PGM_RSRC2:TGID_Y_EN: 0
; COMPUTE_PGM_RSRC2:TGID_Z_EN: 0
; COMPUTE_PGM_RSRC2:TIDIG_COMP_CNT: 0
	.section	.text._ZL33flash_attn_stream_k_fixup_uniformILi256ELi8ELi2EEvPfPK15HIP_vector_typeIfLj2EEiiiiiiS1_IjLj3EES5_S5_,"axG",@progbits,_ZL33flash_attn_stream_k_fixup_uniformILi256ELi8ELi2EEvPfPK15HIP_vector_typeIfLj2EEiiiiiiS1_IjLj3EES5_S5_,comdat
	.globl	_ZL33flash_attn_stream_k_fixup_uniformILi256ELi8ELi2EEvPfPK15HIP_vector_typeIfLj2EEiiiiiiS1_IjLj3EES5_S5_ ; -- Begin function _ZL33flash_attn_stream_k_fixup_uniformILi256ELi8ELi2EEvPfPK15HIP_vector_typeIfLj2EEiiiiiiS1_IjLj3EES5_S5_
	.p2align	8
	.type	_ZL33flash_attn_stream_k_fixup_uniformILi256ELi8ELi2EEvPfPK15HIP_vector_typeIfLj2EEiiiiiiS1_IjLj3EES5_S5_,@function
_ZL33flash_attn_stream_k_fixup_uniformILi256ELi8ELi2EEvPfPK15HIP_vector_typeIfLj2EEiiiiiiS1_IjLj3EES5_S5_: ; @_ZL33flash_attn_stream_k_fixup_uniformILi256ELi8ELi2EEvPfPK15HIP_vector_typeIfLj2EEiiiiiiS1_IjLj3EES5_S5_
; %bb.0:
	s_clause 0x1
	s_load_b256 s[4:11], s[0:1], 0x1c
	s_load_b128 s[12:15], s[0:1], 0x3c
	s_wait_kmcnt 0x0
	s_mul_hi_u32 s2, s7, ttmp9
	s_delay_alu instid0(SALU_CYCLE_1) | instskip(NEXT) | instid1(SALU_CYCLE_1)
	s_add_co_i32 s2, ttmp9, s2
	s_lshr_b32 s2, s2, s8
	s_delay_alu instid0(SALU_CYCLE_1) | instskip(SKIP_2) | instid1(SALU_CYCLE_1)
	s_mul_i32 s3, s2, s9
	s_load_b64 s[8:9], s[0:1], 0x10
	s_sub_co_i32 s7, ttmp9, s3
	s_mul_hi_u32 s3, s7, s10
	s_delay_alu instid0(SALU_CYCLE_1) | instskip(NEXT) | instid1(SALU_CYCLE_1)
	s_add_co_i32 s3, s7, s3
	s_lshr_b32 s3, s3, s11
	s_delay_alu instid0(SALU_CYCLE_1) | instskip(NEXT) | instid1(SALU_CYCLE_1)
	s_mul_i32 s10, s3, s12
	s_sub_co_i32 s7, s7, s10
	s_delay_alu instid0(SALU_CYCLE_1) | instskip(NEXT) | instid1(SALU_CYCLE_1)
	s_mul_hi_u32 s10, s7, s13
	s_add_co_i32 s10, s7, s10
	s_delay_alu instid0(SALU_CYCLE_1) | instskip(NEXT) | instid1(SALU_CYCLE_1)
	s_lshr_b32 s12, s10, s14
	s_mul_i32 s10, s12, s15
	s_lshl_b32 s12, s12, 1
	s_sub_co_i32 s11, s7, s10
	s_and_b32 s7, ttmp7, 0xffff
	s_lshl_b32 s13, s11, 3
	s_lshr_b32 s10, ttmp7, 16
	s_add_co_i32 s13, s13, s7
	s_wait_kmcnt 0x0
	s_cmp_lt_i32 s13, s8
	s_cselect_b32 s13, -1, 0
	s_add_co_i32 s14, s12, s10
	s_delay_alu instid0(SALU_CYCLE_1) | instskip(SKIP_1) | instid1(SALU_CYCLE_1)
	s_cmp_lt_i32 s14, s5
	s_cselect_b32 s14, -1, 0
	s_and_b32 s13, s13, s14
	s_delay_alu instid0(SALU_CYCLE_1)
	s_and_not1_b32 vcc_lo, exec_lo, s13
	s_cbranch_vccnz .LBB31_6
; %bb.1:
	s_mul_i32 s2, s2, s8
	s_mul_i32 s5, s3, s5
	s_add_co_i32 s2, s2, s7
	s_delay_alu instid0(SALU_CYCLE_1) | instskip(NEXT) | instid1(SALU_CYCLE_1)
	s_mul_i32 s2, s2, s9
	s_add_co_i32 s8, s2, s10
	s_load_b128 s[0:3], s[0:1], 0x0
	s_add_co_i32 s5, s8, s5
	s_mul_i32 s8, s9, s11
	s_add_co_i32 s5, s5, s12
	s_lshl_b32 s8, s8, 11
	s_lshl_b32 s5, s5, 8
	s_delay_alu instid0(SALU_CYCLE_1)
	s_add_co_i32 s8, s8, s5
	s_lshl_b32 s5, s7, 1
	v_or_b32_e32 v1, s8, v0
	s_mul_i32 s8, s6, ttmp9
	s_wait_alu 0xfffe
	s_add_co_i32 s9, s8, s6
	s_wait_alu 0xfffe
	s_add_co_i32 s12, s9, -2
	v_ashrrev_i32_e32 v2, 31, v1
	s_delay_alu instid0(VALU_DEP_1) | instskip(SKIP_1) | instid1(VALU_DEP_1)
	v_lshlrev_b64_e32 v[1:2], 2, v[1:2]
	s_wait_kmcnt 0x0
	v_add_co_u32 v1, vcc_lo, s0, v1
	s_delay_alu instid0(VALU_DEP_1)
	v_add_co_ci_u32_e64 v2, null, s1, v2, vcc_lo
	s_add_co_i32 s0, s5, s10
	s_lshl_b32 s1, s9, 4
	global_load_b32 v5, v[1:2], off
	s_wait_alu 0xfffe
	s_add_co_i32 s0, s0, s1
	s_wait_alu 0xfffe
	s_add_co_i32 s0, s0, -16
	s_wait_alu 0xfffe
	s_ashr_i32 s1, s0, 31
	s_wait_alu 0xfffe
	s_lshl_b64 s[0:1], s[0:1], 3
	s_cmp_lt_i32 s12, s8
	s_wait_alu 0xfffe
	s_add_nc_u64 s[0:1], s[2:3], s[0:1]
	s_load_b32 s11, s[0:1], 0x4
	s_cbranch_scc1 .LBB31_4
; %bb.2:
	s_load_b32 s0, s[0:1], 0x0
	s_add_co_i32 s13, ttmp9, 1
	s_lshl_b32 s12, s4, 6
	s_mul_i32 s1, s6, s13
	s_lshl_b32 s6, s7, 9
	s_lshl_b32 s7, s10, 8
	s_wait_alu 0xfffe
	s_lshl_b32 s14, s1, 12
	s_add_co_i32 s6, s7, s6
	s_lshl_b32 s1, s1, 4
	s_add_co_i32 s14, s6, s14
	s_wait_alu 0xfffe
	s_add_co_i32 s1, s10, s1
	v_or_b32_e32 v0, s14, v0
	s_lshl_b32 s4, s4, 4
	s_ashr_i32 s13, s12, 31
	s_wait_alu 0xfffe
	s_add_co_i32 s1, s1, s4
	s_wait_kmcnt 0x0
	v_dual_mov_b32 v6, s11 :: v_dual_add_nc_u32 v3, 0xffffe000, v0
	s_lshl_b64 s[6:7], s[12:13], 2
	s_wait_alu 0xfffe
	s_add_co_i32 s4, s1, s5
	s_add_nc_u64 s[6:7], s[2:3], s[6:7]
	s_add_co_i32 s1, s9, -1
	s_sub_co_i32 s4, s4, 32
.LBB31_3:                               ; =>This Inner Loop Header: Depth=1
	v_ashrrev_i32_e32 v4, 31, v3
	s_ashr_i32 s5, s4, 31
	v_mov_b32_e32 v10, v6
	s_lshl_b64 s[10:11], s[4:5], 3
	s_wait_loadcnt 0x0
	v_mov_b32_e32 v9, v5
	v_lshlrev_b64_e32 v[7:8], 2, v[3:4]
	s_wait_alu 0xfffe
	s_add_nc_u64 s[10:11], s[2:3], s[10:11]
	v_max_num_f32_e64 v4, s0, s0
	s_load_b64 s[10:11], s[10:11], 0x0
	v_add_nc_u32_e32 v3, 0xfffff000, v3
	v_add_co_u32 v7, vcc_lo, s6, v7
	s_wait_alu 0xfffd
	v_add_co_ci_u32_e64 v8, null, s7, v8, vcc_lo
	v_readfirstlane_b32 s5, v4
	global_load_b32 v0, v[7:8], off
	s_wait_kmcnt 0x0
	v_max_num_f32_e64 v4, s10, s10
	s_delay_alu instid0(VALU_DEP_1) | instskip(SKIP_1) | instid1(SALU_CYCLE_3)
	v_readfirstlane_b32 s9, v4
	s_max_num_f32 s5, s5, s9
	s_sub_f32 s0, s0, s5
	s_sub_f32 s9, s10, s5
	s_wait_alu 0xfffe
	s_delay_alu instid0(SALU_CYCLE_1) | instskip(NEXT) | instid1(SALU_CYCLE_1)
	s_mul_f32 s10, s0, 0x3fb8aa3b
	s_mul_f32 s12, s9, 0x3fb8aa3b
	s_wait_alu 0xfffe
	s_delay_alu instid0(SALU_CYCLE_1)
	s_xor_b32 s13, s10, 0x80000000
	s_rndne_f32 s14, s10
	s_fmamk_f32 s13, s0, 0x3fb8aa3b, s13
	s_cmp_nlt_f32 s0, 0xc2ce8ed0
	s_rndne_f32 s15, s12
	s_wait_alu 0xfffe
	s_sub_f32 s10, s10, s14
	s_fmamk_f32 s13, s0, 0x32a5705f, s13
	s_cvt_i32_f32 s14, s14
	s_cselect_b32 vcc_lo, -1, 0
	s_cmp_ngt_f32 s0, 0x42b17218
	s_wait_alu 0xfffe
	s_add_f32 s10, s10, s13
	s_sub_f32 s13, s12, s15
	s_wait_alu 0xfffe
	s_delay_alu instid0(SALU_CYCLE_1) | instskip(SKIP_1) | instid1(TRANS32_DEP_1)
	v_s_exp_f32 s10, s10
	s_wait_alu 0xf1ff
	v_ldexp_f32 v4, s10, s14
	s_cvt_i32_f32 s10, s15
	s_delay_alu instid0(VALU_DEP_1) | instskip(SKIP_3) | instid1(VALU_DEP_1)
	v_cndmask_b32_e32 v4, 0, v4, vcc_lo
	s_cselect_b32 vcc_lo, -1, 0
	s_cmp_ge_f32 s0, 0xc1a00000
	s_wait_alu 0xfffe
	v_cndmask_b32_e32 v4, 0x7f800000, v4, vcc_lo
	s_cselect_b32 vcc_lo, -1, 0
	s_xor_b32 s0, s12, 0x80000000
	s_cmp_nlt_f32 s9, 0xc2ce8ed0
	s_wait_alu 0xfffe
	s_fmamk_f32 s0, s9, 0x3fb8aa3b, s0
	s_wait_alu 0xfffe
	s_delay_alu instid0(SALU_CYCLE_2) | instskip(SKIP_1) | instid1(SALU_CYCLE_2)
	s_fmamk_f32 s0, s9, 0x32a5705f, s0
	s_wait_alu 0xfffe
	s_add_f32 s0, s13, s0
	s_wait_alu 0xfffe
	s_delay_alu instid0(SALU_CYCLE_2) | instskip(SKIP_1) | instid1(TRANS32_DEP_1)
	v_s_exp_f32 s0, s0
	s_wait_alu 0xf1ff
	v_ldexp_f32 v7, s0, s10
	s_cselect_b32 s0, -1, 0
	s_cmp_ngt_f32 s9, 0x42b17218
	s_wait_alu 0xfffe
	s_delay_alu instid0(VALU_DEP_1) | instskip(SKIP_3) | instid1(VALU_DEP_1)
	v_cndmask_b32_e64 v7, 0, v7, s0
	s_cselect_b32 s0, -1, 0
	s_cmp_ge_f32 s9, 0xc1a00000
	s_wait_alu 0xfffe
	v_cndmask_b32_e64 v7, 0x7f800000, v7, s0
	s_cselect_b32 s0, -1, 0
	s_add_co_i32 s1, s1, -1
	s_add_co_i32 s4, s4, -16
	s_wait_alu 0xfffe
	s_cmp_le_i32 s1, s8
	v_cndmask_b32_e64 v7, 0, v7, s0
	s_mov_b32 s0, s5
	s_wait_loadcnt 0x0
	s_delay_alu instid0(VALU_DEP_1) | instskip(NEXT) | instid1(VALU_DEP_1)
	v_dual_mul_f32 v5, v0, v7 :: v_dual_cndmask_b32 v4, 0, v4
	v_dual_mul_f32 v8, s11, v7 :: v_dual_fmac_f32 v5, v9, v4
	s_delay_alu instid0(VALU_DEP_1) | instskip(NEXT) | instid1(VALU_DEP_1)
	v_mov_b32_e32 v6, v8
	v_fmac_f32_e32 v6, v10, v4
	s_cbranch_scc0 .LBB31_3
	s_branch .LBB31_5
.LBB31_4:
	s_wait_kmcnt 0x0
	v_mov_b32_e32 v6, s11
.LBB31_5:
	s_wait_loadcnt 0x0
	s_delay_alu instid0(VALU_DEP_1) | instskip(NEXT) | instid1(VALU_DEP_1)
	v_div_scale_f32 v0, null, v6, v6, v5
	v_rcp_f32_e32 v3, v0
	s_delay_alu instid0(TRANS32_DEP_1) | instskip(NEXT) | instid1(VALU_DEP_1)
	v_fma_f32 v4, -v0, v3, 1.0
	v_fmac_f32_e32 v3, v4, v3
	v_div_scale_f32 v4, vcc_lo, v5, v6, v5
	s_delay_alu instid0(VALU_DEP_1) | instskip(NEXT) | instid1(VALU_DEP_1)
	v_mul_f32_e32 v7, v4, v3
	v_fma_f32 v8, -v0, v7, v4
	s_delay_alu instid0(VALU_DEP_1) | instskip(NEXT) | instid1(VALU_DEP_1)
	v_fmac_f32_e32 v7, v8, v3
	v_fma_f32 v0, -v0, v7, v4
	s_wait_alu 0xfffd
	s_delay_alu instid0(VALU_DEP_1) | instskip(NEXT) | instid1(VALU_DEP_1)
	v_div_fmas_f32 v0, v0, v3, v7
	v_div_fixup_f32 v0, v0, v6, v5
	global_store_b32 v[1:2], v0, off
.LBB31_6:
	s_endpgm
	.section	.rodata,"a",@progbits
	.p2align	6, 0x0
	.amdhsa_kernel _ZL33flash_attn_stream_k_fixup_uniformILi256ELi8ELi2EEvPfPK15HIP_vector_typeIfLj2EEiiiiiiS1_IjLj3EES5_S5_
		.amdhsa_group_segment_fixed_size 0
		.amdhsa_private_segment_fixed_size 0
		.amdhsa_kernarg_size 76
		.amdhsa_user_sgpr_count 2
		.amdhsa_user_sgpr_dispatch_ptr 0
		.amdhsa_user_sgpr_queue_ptr 0
		.amdhsa_user_sgpr_kernarg_segment_ptr 1
		.amdhsa_user_sgpr_dispatch_id 0
		.amdhsa_user_sgpr_private_segment_size 0
		.amdhsa_wavefront_size32 1
		.amdhsa_uses_dynamic_stack 0
		.amdhsa_enable_private_segment 0
		.amdhsa_system_sgpr_workgroup_id_x 1
		.amdhsa_system_sgpr_workgroup_id_y 1
		.amdhsa_system_sgpr_workgroup_id_z 1
		.amdhsa_system_sgpr_workgroup_info 0
		.amdhsa_system_vgpr_workitem_id 0
		.amdhsa_next_free_vgpr 11
		.amdhsa_next_free_sgpr 16
		.amdhsa_reserve_vcc 1
		.amdhsa_float_round_mode_32 0
		.amdhsa_float_round_mode_16_64 0
		.amdhsa_float_denorm_mode_32 3
		.amdhsa_float_denorm_mode_16_64 3
		.amdhsa_fp16_overflow 0
		.amdhsa_workgroup_processor_mode 1
		.amdhsa_memory_ordered 1
		.amdhsa_forward_progress 1
		.amdhsa_inst_pref_size 9
		.amdhsa_round_robin_scheduling 0
		.amdhsa_exception_fp_ieee_invalid_op 0
		.amdhsa_exception_fp_denorm_src 0
		.amdhsa_exception_fp_ieee_div_zero 0
		.amdhsa_exception_fp_ieee_overflow 0
		.amdhsa_exception_fp_ieee_underflow 0
		.amdhsa_exception_fp_ieee_inexact 0
		.amdhsa_exception_int_div_zero 0
	.end_amdhsa_kernel
	.section	.text._ZL33flash_attn_stream_k_fixup_uniformILi256ELi8ELi2EEvPfPK15HIP_vector_typeIfLj2EEiiiiiiS1_IjLj3EES5_S5_,"axG",@progbits,_ZL33flash_attn_stream_k_fixup_uniformILi256ELi8ELi2EEvPfPK15HIP_vector_typeIfLj2EEiiiiiiS1_IjLj3EES5_S5_,comdat
.Lfunc_end31:
	.size	_ZL33flash_attn_stream_k_fixup_uniformILi256ELi8ELi2EEvPfPK15HIP_vector_typeIfLj2EEiiiiiiS1_IjLj3EES5_S5_, .Lfunc_end31-_ZL33flash_attn_stream_k_fixup_uniformILi256ELi8ELi2EEvPfPK15HIP_vector_typeIfLj2EEiiiiiiS1_IjLj3EES5_S5_
                                        ; -- End function
	.set _ZL33flash_attn_stream_k_fixup_uniformILi256ELi8ELi2EEvPfPK15HIP_vector_typeIfLj2EEiiiiiiS1_IjLj3EES5_S5_.num_vgpr, 11
	.set _ZL33flash_attn_stream_k_fixup_uniformILi256ELi8ELi2EEvPfPK15HIP_vector_typeIfLj2EEiiiiiiS1_IjLj3EES5_S5_.num_agpr, 0
	.set _ZL33flash_attn_stream_k_fixup_uniformILi256ELi8ELi2EEvPfPK15HIP_vector_typeIfLj2EEiiiiiiS1_IjLj3EES5_S5_.numbered_sgpr, 16
	.set _ZL33flash_attn_stream_k_fixup_uniformILi256ELi8ELi2EEvPfPK15HIP_vector_typeIfLj2EEiiiiiiS1_IjLj3EES5_S5_.num_named_barrier, 0
	.set _ZL33flash_attn_stream_k_fixup_uniformILi256ELi8ELi2EEvPfPK15HIP_vector_typeIfLj2EEiiiiiiS1_IjLj3EES5_S5_.private_seg_size, 0
	.set _ZL33flash_attn_stream_k_fixup_uniformILi256ELi8ELi2EEvPfPK15HIP_vector_typeIfLj2EEiiiiiiS1_IjLj3EES5_S5_.uses_vcc, 1
	.set _ZL33flash_attn_stream_k_fixup_uniformILi256ELi8ELi2EEvPfPK15HIP_vector_typeIfLj2EEiiiiiiS1_IjLj3EES5_S5_.uses_flat_scratch, 0
	.set _ZL33flash_attn_stream_k_fixup_uniformILi256ELi8ELi2EEvPfPK15HIP_vector_typeIfLj2EEiiiiiiS1_IjLj3EES5_S5_.has_dyn_sized_stack, 0
	.set _ZL33flash_attn_stream_k_fixup_uniformILi256ELi8ELi2EEvPfPK15HIP_vector_typeIfLj2EEiiiiiiS1_IjLj3EES5_S5_.has_recursion, 0
	.set _ZL33flash_attn_stream_k_fixup_uniformILi256ELi8ELi2EEvPfPK15HIP_vector_typeIfLj2EEiiiiiiS1_IjLj3EES5_S5_.has_indirect_call, 0
	.section	.AMDGPU.csdata,"",@progbits
; Kernel info:
; codeLenInByte = 1140
; TotalNumSgprs: 18
; NumVgprs: 11
; ScratchSize: 0
; MemoryBound: 0
; FloatMode: 240
; IeeeMode: 1
; LDSByteSize: 0 bytes/workgroup (compile time only)
; SGPRBlocks: 0
; VGPRBlocks: 1
; NumSGPRsForWavesPerEU: 18
; NumVGPRsForWavesPerEU: 11
; Occupancy: 16
; WaveLimiterHint : 0
; COMPUTE_PGM_RSRC2:SCRATCH_EN: 0
; COMPUTE_PGM_RSRC2:USER_SGPR: 2
; COMPUTE_PGM_RSRC2:TRAP_HANDLER: 0
; COMPUTE_PGM_RSRC2:TGID_X_EN: 1
; COMPUTE_PGM_RSRC2:TGID_Y_EN: 1
; COMPUTE_PGM_RSRC2:TGID_Z_EN: 1
; COMPUTE_PGM_RSRC2:TIDIG_COMP_CNT: 0
	.section	.text._ZL33flash_attn_stream_k_fixup_generalILi256ELi8ELi2EEvPfPK15HIP_vector_typeIfLj2EEiiiiS1_IjLj3EES5_S5_S5_,"axG",@progbits,_ZL33flash_attn_stream_k_fixup_generalILi256ELi8ELi2EEvPfPK15HIP_vector_typeIfLj2EEiiiiS1_IjLj3EES5_S5_S5_,comdat
	.globl	_ZL33flash_attn_stream_k_fixup_generalILi256ELi8ELi2EEvPfPK15HIP_vector_typeIfLj2EEiiiiS1_IjLj3EES5_S5_S5_ ; -- Begin function _ZL33flash_attn_stream_k_fixup_generalILi256ELi8ELi2EEvPfPK15HIP_vector_typeIfLj2EEiiiiS1_IjLj3EES5_S5_S5_
	.p2align	8
	.type	_ZL33flash_attn_stream_k_fixup_generalILi256ELi8ELi2EEvPfPK15HIP_vector_typeIfLj2EEiiiiS1_IjLj3EES5_S5_S5_,@function
_ZL33flash_attn_stream_k_fixup_generalILi256ELi8ELi2EEvPfPK15HIP_vector_typeIfLj2EEiiiiS1_IjLj3EES5_S5_S5_: ; @_ZL33flash_attn_stream_k_fixup_generalILi256ELi8ELi2EEvPfPK15HIP_vector_typeIfLj2EEiiiiS1_IjLj3EES5_S5_S5_
; %bb.0:
	s_clause 0x1
	s_load_b128 s[4:7], s[0:1], 0x10
	s_load_b32 s16, s[0:1], 0x50
	s_mov_b32 s2, ttmp9
	s_ashr_i32 s3, ttmp9, 31
	s_mov_b32 s17, 0
	s_delay_alu instid0(SALU_CYCLE_1) | instskip(SKIP_3) | instid1(SALU_CYCLE_1)
	s_mov_b32 s8, s17
	s_wait_kmcnt 0x0
	s_ashr_i32 s19, s7, 31
	s_mov_b32 s18, s7
	s_mul_u64 s[2:3], s[18:19], s[2:3]
	s_delay_alu instid0(SALU_CYCLE_1) | instskip(NEXT) | instid1(SALU_CYCLE_1)
	s_mov_b32 s9, s3
	s_cmp_lg_u64 s[8:9], 0
	s_cbranch_scc0 .LBB32_21
; %bb.1:
	s_add_nc_u64 s[8:9], s[16:17], 0
	s_mov_b32 s15, s17
	s_xor_b64 s[8:9], s[8:9], 0
	s_mov_b32 s23, s17
	s_cvt_f32_u32 s7, s8
	s_cvt_f32_u32 s10, s9
	s_sub_nc_u64 s[12:13], 0, s[8:9]
	s_delay_alu instid0(SALU_CYCLE_2) | instskip(NEXT) | instid1(SALU_CYCLE_3)
	s_fmamk_f32 s7, s10, 0x4f800000, s7
	v_s_rcp_f32 s7, s7
	s_delay_alu instid0(TRANS32_DEP_1) | instskip(SKIP_1) | instid1(SALU_CYCLE_2)
	s_mul_f32 s7, s7, 0x5f7ffffc
	s_wait_alu 0xfffe
	s_mul_f32 s10, s7, 0x2f800000
	s_delay_alu instid0(SALU_CYCLE_3) | instskip(NEXT) | instid1(SALU_CYCLE_3)
	s_trunc_f32 s10, s10
	s_fmamk_f32 s7, s10, 0xcf800000, s7
	s_cvt_u32_f32 s11, s10
	s_wait_alu 0xfffe
	s_delay_alu instid0(SALU_CYCLE_1) | instskip(NEXT) | instid1(SALU_CYCLE_3)
	s_cvt_u32_f32 s10, s7
	s_mul_u64 s[20:21], s[12:13], s[10:11]
	s_delay_alu instid0(SALU_CYCLE_1)
	s_mul_hi_u32 s25, s10, s21
	s_mul_i32 s24, s10, s21
	s_mul_hi_u32 s14, s10, s20
	s_mul_i32 s22, s11, s20
	s_add_nc_u64 s[14:15], s[14:15], s[24:25]
	s_mul_hi_u32 s7, s11, s20
	s_mul_hi_u32 s26, s11, s21
	s_add_co_u32 s14, s14, s22
	s_wait_alu 0xfffe
	s_add_co_ci_u32 s22, s15, s7
	s_mul_i32 s20, s11, s21
	s_add_co_ci_u32 s21, s26, 0
	s_delay_alu instid0(SALU_CYCLE_1)
	s_add_nc_u64 s[14:15], s[22:23], s[20:21]
	s_mov_b32 s21, s17
	s_add_co_u32 s10, s10, s14
	s_cselect_b32 s7, -1, 0
	s_wait_alu 0xfffe
	s_cmp_lg_u32 s7, 0
	s_add_co_ci_u32 s11, s11, s15
	s_mov_b32 s15, s17
	s_mul_u64 s[12:13], s[12:13], s[10:11]
	s_delay_alu instid0(SALU_CYCLE_1)
	s_mul_hi_u32 s23, s10, s13
	s_mul_i32 s22, s10, s13
	s_mul_hi_u32 s14, s10, s12
	s_mul_i32 s20, s11, s12
	s_add_nc_u64 s[14:15], s[14:15], s[22:23]
	s_mul_hi_u32 s7, s11, s12
	s_mul_hi_u32 s24, s11, s13
	s_mul_i32 s12, s11, s13
	s_add_co_u32 s13, s14, s20
	s_wait_alu 0xfffe
	s_add_co_ci_u32 s20, s15, s7
	s_add_co_ci_u32 s13, s24, 0
	s_mov_b32 s15, s17
	s_add_nc_u64 s[12:13], s[20:21], s[12:13]
	s_delay_alu instid0(SALU_CYCLE_1) | instskip(SKIP_1) | instid1(SALU_CYCLE_1)
	s_add_co_u32 s7, s10, s12
	s_cselect_b32 s10, -1, 0
	s_cmp_lg_u32 s10, 0
	s_add_co_ci_u32 s20, s11, s13
	s_ashr_i32 s10, s3, 31
	s_delay_alu instid0(SALU_CYCLE_1) | instskip(NEXT) | instid1(SALU_CYCLE_1)
	s_mov_b32 s11, s10
	s_add_nc_u64 s[12:13], s[2:3], s[10:11]
	s_delay_alu instid0(SALU_CYCLE_1) | instskip(NEXT) | instid1(SALU_CYCLE_1)
	s_xor_b64 s[12:13], s[12:13], s[10:11]
	s_mul_hi_u32 s23, s12, s20
	s_mul_i32 s22, s12, s20
	s_wait_alu 0xfffe
	s_mul_hi_u32 s14, s12, s7
	s_mul_hi_u32 s24, s13, s7
	s_mul_i32 s7, s13, s7
	s_add_nc_u64 s[14:15], s[14:15], s[22:23]
	s_mul_hi_u32 s3, s13, s20
	s_wait_alu 0xfffe
	s_add_co_u32 s7, s14, s7
	s_mul_i32 s22, s13, s20
	s_add_co_ci_u32 s20, s15, s24
	s_add_co_ci_u32 s23, s3, 0
	s_delay_alu instid0(SALU_CYCLE_1) | instskip(NEXT) | instid1(SALU_CYCLE_1)
	s_add_nc_u64 s[14:15], s[20:21], s[22:23]
	s_mul_u64 s[20:21], s[8:9], s[14:15]
	s_delay_alu instid0(SALU_CYCLE_1)
	s_sub_co_u32 s3, s12, s20
	s_cselect_b32 s7, -1, 0
	s_sub_co_i32 s12, s13, s21
	s_wait_alu 0xfffe
	s_cmp_lg_u32 s7, 0
	s_sub_co_ci_u32 s12, s12, s9
	s_sub_co_u32 s20, s3, s8
	s_cselect_b32 s22, -1, 0
	s_delay_alu instid0(SALU_CYCLE_1) | instskip(SKIP_2) | instid1(SALU_CYCLE_1)
	s_cmp_lg_u32 s22, 0
	s_add_nc_u64 s[22:23], s[14:15], 1
	s_sub_co_ci_u32 s12, s12, 0
	s_cmp_ge_u32 s12, s9
	s_cselect_b32 s24, -1, 0
	s_cmp_ge_u32 s20, s8
	s_cselect_b32 s20, -1, 0
	s_cmp_eq_u32 s12, s9
	s_cselect_b32 s12, s20, s24
	s_add_nc_u64 s[24:25], s[14:15], 2
	s_cmp_lg_u32 s12, 0
	s_cselect_b32 s12, s24, s22
	s_cselect_b32 s20, s25, s23
	s_cmp_lg_u32 s7, 0
	s_sub_co_ci_u32 s7, s13, s21
	s_wait_alu 0xfffe
	s_cmp_ge_u32 s7, s9
	s_cselect_b32 s13, -1, 0
	s_cmp_ge_u32 s3, s8
	s_cselect_b32 s3, -1, 0
	s_cmp_eq_u32 s7, s9
	s_cselect_b32 s3, s3, s13
	s_delay_alu instid0(SALU_CYCLE_1) | instskip(SKIP_4) | instid1(SALU_CYCLE_1)
	s_cmp_lg_u32 s3, 0
	s_mov_b32 s3, s17
	s_cselect_b32 s9, s20, s15
	s_cselect_b32 s8, s12, s14
	s_xor_b64 s[10:11], s[10:11], 0
	s_xor_b64 s[8:9], s[8:9], s[10:11]
	s_delay_alu instid0(SALU_CYCLE_1)
	s_sub_nc_u64 s[20:21], s[8:9], s[10:11]
	s_and_not1_b32 vcc_lo, exec_lo, s3
	s_cbranch_vccnz .LBB32_3
.LBB32_2:
	v_cvt_f32_u32_e32 v1, s16
	s_sub_co_i32 s7, 0, s16
	s_delay_alu instid0(VALU_DEP_1) | instskip(NEXT) | instid1(TRANS32_DEP_1)
	v_rcp_iflag_f32_e32 v1, v1
	v_mul_f32_e32 v1, 0x4f7ffffe, v1
	s_delay_alu instid0(VALU_DEP_1) | instskip(NEXT) | instid1(VALU_DEP_1)
	v_cvt_u32_f32_e32 v1, v1
	v_readfirstlane_b32 s3, v1
	s_wait_alu 0xfffe
	s_mul_i32 s7, s7, s3
	s_wait_alu 0xfffe
	s_mul_hi_u32 s7, s3, s7
	s_wait_alu 0xfffe
	s_add_co_i32 s3, s3, s7
	s_delay_alu instid0(SALU_CYCLE_1) | instskip(NEXT) | instid1(SALU_CYCLE_1)
	s_mul_hi_u32 s3, s2, s3
	s_mul_i32 s7, s3, s16
	s_wait_alu 0xfffe
	s_sub_co_i32 s2, s2, s7
	s_add_co_i32 s7, s3, 1
	s_sub_co_i32 s8, s2, s16
	s_cmp_ge_u32 s2, s16
	s_wait_alu 0xfffe
	s_cselect_b32 s3, s7, s3
	s_cselect_b32 s2, s8, s2
	s_add_co_i32 s7, s3, 1
	s_cmp_ge_u32 s2, s16
	s_wait_alu 0xfffe
	s_cselect_b32 s20, s7, s3
.LBB32_3:
	s_add_co_i32 s2, ttmp9, 1
	s_mov_b32 s8, 0
	s_ashr_i32 s3, s2, 31
	s_delay_alu instid0(SALU_CYCLE_1) | instskip(NEXT) | instid1(SALU_CYCLE_1)
	s_mul_u64 s[2:3], s[18:19], s[2:3]
	s_mov_b32 s9, s3
	s_delay_alu instid0(SALU_CYCLE_1)
	s_cmp_lg_u64 s[8:9], 0
	s_cbranch_scc0 .LBB32_22
; %bb.4:
	s_add_nc_u64 s[10:11], s[16:17], 0
	s_mov_b32 s23, s8
	s_xor_b64 s[10:11], s[10:11], 0
	s_mov_b32 s27, s8
	s_cvt_f32_u32 s7, s10
	s_cvt_f32_u32 s9, s11
	s_sub_nc_u64 s[14:15], 0, s[10:11]
	s_wait_alu 0xfffe
	s_delay_alu instid0(SALU_CYCLE_1) | instskip(SKIP_1) | instid1(SALU_CYCLE_2)
	s_fmamk_f32 s7, s9, 0x4f800000, s7
	s_wait_alu 0xfffe
	v_s_rcp_f32 s7, s7
	s_delay_alu instid0(TRANS32_DEP_1) | instskip(SKIP_1) | instid1(SALU_CYCLE_2)
	s_mul_f32 s7, s7, 0x5f7ffffc
	s_wait_alu 0xfffe
	s_mul_f32 s9, s7, 0x2f800000
	s_delay_alu instid0(SALU_CYCLE_3) | instskip(NEXT) | instid1(SALU_CYCLE_3)
	s_trunc_f32 s9, s9
	s_fmamk_f32 s7, s9, 0xcf800000, s7
	s_cvt_u32_f32 s13, s9
	s_wait_alu 0xfffe
	s_delay_alu instid0(SALU_CYCLE_1) | instskip(NEXT) | instid1(SALU_CYCLE_3)
	s_cvt_u32_f32 s12, s7
	s_mul_u64 s[24:25], s[14:15], s[12:13]
	s_delay_alu instid0(SALU_CYCLE_1)
	s_mul_hi_u32 s29, s12, s25
	s_mul_i32 s28, s12, s25
	s_mul_hi_u32 s22, s12, s24
	s_mul_i32 s9, s13, s24
	s_add_nc_u64 s[22:23], s[22:23], s[28:29]
	s_mul_hi_u32 s7, s13, s24
	s_mul_hi_u32 s21, s13, s25
	s_add_co_u32 s9, s22, s9
	s_wait_alu 0xfffe
	s_add_co_ci_u32 s26, s23, s7
	s_mul_i32 s24, s13, s25
	s_add_co_ci_u32 s25, s21, 0
	s_delay_alu instid0(SALU_CYCLE_1)
	s_add_nc_u64 s[22:23], s[26:27], s[24:25]
	s_mov_b32 s25, s8
	s_add_co_u32 s12, s12, s22
	s_cselect_b32 s7, -1, 0
	s_wait_alu 0xfffe
	s_cmp_lg_u32 s7, 0
	s_add_co_ci_u32 s13, s13, s23
	s_mov_b32 s23, s8
	s_mul_u64 s[14:15], s[14:15], s[12:13]
	s_delay_alu instid0(SALU_CYCLE_1)
	s_mul_hi_u32 s27, s12, s15
	s_mul_i32 s26, s12, s15
	s_mul_hi_u32 s22, s12, s14
	s_mul_i32 s9, s13, s14
	s_add_nc_u64 s[22:23], s[22:23], s[26:27]
	s_mul_hi_u32 s7, s13, s14
	s_mul_hi_u32 s21, s13, s15
	s_add_co_u32 s9, s22, s9
	s_wait_alu 0xfffe
	s_add_co_ci_u32 s24, s23, s7
	s_mul_i32 s14, s13, s15
	s_add_co_ci_u32 s15, s21, 0
	s_mov_b32 s23, s8
	s_add_nc_u64 s[14:15], s[24:25], s[14:15]
	s_delay_alu instid0(SALU_CYCLE_1) | instskip(SKIP_1) | instid1(SALU_CYCLE_1)
	s_add_co_u32 s7, s12, s14
	s_cselect_b32 s9, -1, 0
	s_cmp_lg_u32 s9, 0
	s_add_co_ci_u32 s9, s13, s15
	s_ashr_i32 s12, s3, 31
	s_delay_alu instid0(SALU_CYCLE_1) | instskip(NEXT) | instid1(SALU_CYCLE_1)
	s_mov_b32 s13, s12
	s_add_nc_u64 s[14:15], s[2:3], s[12:13]
	s_delay_alu instid0(SALU_CYCLE_1) | instskip(NEXT) | instid1(SALU_CYCLE_1)
	s_xor_b64 s[14:15], s[14:15], s[12:13]
	s_mul_hi_u32 s27, s14, s9
	s_mul_i32 s26, s14, s9
	s_wait_alu 0xfffe
	s_mul_hi_u32 s22, s14, s7
	s_mul_hi_u32 s21, s15, s7
	s_mul_i32 s7, s15, s7
	s_add_nc_u64 s[22:23], s[22:23], s[26:27]
	s_mul_hi_u32 s3, s15, s9
	s_wait_alu 0xfffe
	s_add_co_u32 s7, s22, s7
	s_add_co_ci_u32 s24, s23, s21
	s_mul_i32 s26, s15, s9
	s_add_co_ci_u32 s27, s3, 0
	s_delay_alu instid0(SALU_CYCLE_1) | instskip(NEXT) | instid1(SALU_CYCLE_1)
	s_add_nc_u64 s[22:23], s[24:25], s[26:27]
	s_mul_u64 s[24:25], s[10:11], s[22:23]
	s_add_nc_u64 s[26:27], s[22:23], 1
	s_sub_co_u32 s3, s14, s24
	s_cselect_b32 s7, -1, 0
	s_sub_co_i32 s9, s15, s25
	s_wait_alu 0xfffe
	s_cmp_lg_u32 s7, 0
	s_add_nc_u64 s[28:29], s[22:23], 2
	s_sub_co_ci_u32 s9, s9, s11
	s_sub_co_u32 s14, s3, s10
	s_cselect_b32 s21, -1, 0
	s_delay_alu instid0(SALU_CYCLE_1) | instskip(SKIP_1) | instid1(SALU_CYCLE_1)
	s_cmp_lg_u32 s21, 0
	s_sub_co_ci_u32 s9, s9, 0
	s_cmp_ge_u32 s9, s11
	s_cselect_b32 s21, -1, 0
	s_cmp_ge_u32 s14, s10
	s_cselect_b32 s14, -1, 0
	s_cmp_eq_u32 s9, s11
	s_cselect_b32 s9, s14, s21
	s_delay_alu instid0(SALU_CYCLE_1)
	s_cmp_lg_u32 s9, 0
	s_cselect_b32 s9, s28, s26
	s_cselect_b32 s14, s29, s27
	s_cmp_lg_u32 s7, 0
	s_sub_co_ci_u32 s7, s15, s25
	s_wait_alu 0xfffe
	s_cmp_ge_u32 s7, s11
	s_cselect_b32 s15, -1, 0
	s_cmp_ge_u32 s3, s10
	s_cselect_b32 s3, -1, 0
	s_cmp_eq_u32 s7, s11
	s_cselect_b32 s3, s3, s15
	s_delay_alu instid0(SALU_CYCLE_1) | instskip(SKIP_3) | instid1(SALU_CYCLE_1)
	s_cmp_lg_u32 s3, 0
	s_cselect_b32 s11, s14, s23
	s_cselect_b32 s10, s9, s22
	s_xor_b64 s[12:13], s[12:13], 0
	s_xor_b64 s[10:11], s[10:11], s[12:13]
	s_delay_alu instid0(SALU_CYCLE_1)
	s_sub_nc_u64 s[10:11], s[10:11], s[12:13]
	s_load_b96 s[12:14], s[0:1], 0x44
	s_and_not1_b32 vcc_lo, exec_lo, s8
	s_cbranch_vccnz .LBB32_6
.LBB32_5:
	v_cvt_f32_u32_e32 v1, s16
	s_sub_co_i32 s7, 0, s16
	s_delay_alu instid0(VALU_DEP_1) | instskip(NEXT) | instid1(TRANS32_DEP_1)
	v_rcp_iflag_f32_e32 v1, v1
	v_mul_f32_e32 v1, 0x4f7ffffe, v1
	s_delay_alu instid0(VALU_DEP_1) | instskip(NEXT) | instid1(VALU_DEP_1)
	v_cvt_u32_f32_e32 v1, v1
	v_readfirstlane_b32 s3, v1
	s_wait_alu 0xfffe
	s_mul_i32 s7, s7, s3
	s_wait_alu 0xfffe
	s_mul_hi_u32 s7, s3, s7
	s_wait_alu 0xfffe
	s_add_co_i32 s3, s3, s7
	s_delay_alu instid0(SALU_CYCLE_1) | instskip(NEXT) | instid1(SALU_CYCLE_1)
	s_mul_hi_u32 s3, s2, s3
	s_mul_i32 s7, s3, s16
	s_wait_alu 0xfffe
	s_sub_co_i32 s2, s2, s7
	s_add_co_i32 s7, s3, 1
	s_sub_co_i32 s8, s2, s16
	s_cmp_ge_u32 s2, s16
	s_wait_alu 0xfffe
	s_cselect_b32 s3, s7, s3
	s_cselect_b32 s2, s8, s2
	s_add_co_i32 s7, s3, 1
	s_cmp_ge_u32 s2, s16
	s_wait_alu 0xfffe
	s_cselect_b32 s10, s7, s3
.LBB32_6:
	s_mov_b32 s21, 0
	s_wait_kmcnt 0x0
	s_mov_b32 s22, s12
	s_mov_b32 s23, s21
	s_cmp_eq_u32 s20, s10
	s_mul_u64 s[2:3], s[20:21], s[22:23]
	s_cselect_b32 s7, -1, 0
	s_add_co_i32 s2, s3, s20
	s_mov_b32 s11, s21
	s_lshr_b32 s12, s2, s13
	s_mul_u64 s[2:3], s[10:11], s[22:23]
	s_mul_i32 s2, s12, s14
	s_delay_alu instid0(SALU_CYCLE_1) | instskip(SKIP_2) | instid1(SALU_CYCLE_1)
	s_cmp_eq_u32 s2, s20
	s_cselect_b32 s2, -1, 0
	s_add_co_i32 s3, s3, s10
	s_lshr_b32 s3, s3, s13
	s_delay_alu instid0(SALU_CYCLE_1)
	s_cmp_eq_u32 s12, s3
	s_mul_i32 s3, s3, s14
	s_cselect_b32 s8, -1, 0
	s_cmp_lg_u32 s3, s10
	s_cselect_b32 s3, -1, 0
	s_wait_alu 0xfffe
	s_or_b32 s2, s7, s2
	s_and_b32 s3, s8, s3
	s_delay_alu instid0(SALU_CYCLE_1) | instskip(NEXT) | instid1(SALU_CYCLE_1)
	s_or_b32 s2, s2, s3
	s_and_b32 vcc_lo, exec_lo, s2
	s_cbranch_vccnz .LBB32_24
; %bb.7:
	s_load_b256 s[24:31], s[0:1], 0x20
	s_mov_b32 s3, s21
	s_wait_kmcnt 0x0
	s_mov_b32 s2, s24
	s_delay_alu instid0(SALU_CYCLE_1) | instskip(NEXT) | instid1(SALU_CYCLE_1)
	s_mul_u64 s[2:3], s[20:21], s[2:3]
	s_add_co_i32 s2, s3, s20
	s_delay_alu instid0(SALU_CYCLE_1) | instskip(SKIP_2) | instid1(SALU_CYCLE_1)
	s_lshr_b32 s7, s2, s25
	s_load_b32 s2, s[0:1], 0x40
	s_mul_i32 s3, s7, s26
	s_sub_co_i32 s3, s20, s3
	s_delay_alu instid0(SALU_CYCLE_1) | instskip(NEXT) | instid1(SALU_CYCLE_1)
	s_mul_hi_u32 s8, s3, s27
	s_add_co_i32 s8, s3, s8
	s_delay_alu instid0(SALU_CYCLE_1) | instskip(NEXT) | instid1(SALU_CYCLE_1)
	s_lshr_b32 s8, s8, s28
	s_mul_i32 s9, s8, s29
	s_delay_alu instid0(SALU_CYCLE_1) | instskip(NEXT) | instid1(SALU_CYCLE_1)
	s_sub_co_i32 s9, s3, s9
	s_mul_hi_u32 s3, s9, s30
	s_delay_alu instid0(SALU_CYCLE_1) | instskip(NEXT) | instid1(SALU_CYCLE_1)
	s_add_co_i32 s3, s9, s3
	s_lshr_b32 s24, s3, s31
	s_mov_b32 s3, s21
	s_wait_kmcnt 0x0
	s_mul_i32 s2, s24, s2
	s_lshl_b32 s21, s24, 1
	s_sub_co_i32 s2, s9, s2
	s_delay_alu instid0(SALU_CYCLE_1) | instskip(SKIP_2) | instid1(SALU_CYCLE_1)
	s_mul_u64 s[10:11], s[2:3], s[22:23]
	s_lshr_b32 s3, ttmp7, 16
	s_add_co_i32 s2, s2, s11
	s_lshr_b32 s15, s2, s13
	s_and_b32 s2, ttmp7, 0xffff
	s_lshl_b32 s9, s15, 3
	s_delay_alu instid0(SALU_CYCLE_1) | instskip(NEXT) | instid1(SALU_CYCLE_1)
	s_add_co_i32 s9, s9, s2
	s_cmp_lt_i32 s9, s4
	s_cselect_b32 s9, -1, 0
	s_add_co_i32 s10, s21, s3
	s_delay_alu instid0(SALU_CYCLE_1) | instskip(SKIP_1) | instid1(SALU_CYCLE_1)
	s_cmp_lt_i32 s10, s6
	s_cselect_b32 s10, -1, 0
	s_and_b32 s9, s9, s10
	s_delay_alu instid0(SALU_CYCLE_1)
	s_and_not1_b32 vcc_lo, exec_lo, s9
	s_cbranch_vccnz .LBB32_24
; %bb.8:
	s_mul_i32 s4, s7, s4
	s_mul_i32 s6, s8, s6
	s_add_co_i32 s4, s4, s2
	s_load_b128 s[8:11], s[0:1], 0x0
	s_mul_i32 s4, s4, s5
	s_mul_i32 s1, s5, s15
	s_add_co_i32 s4, s4, s3
	s_lshl_b32 s1, s1, 11
	s_add_co_i32 s0, s4, s6
	s_lshl_b32 s15, s2, 1
	s_add_co_i32 s0, s0, s21
	s_add_co_i32 s15, s15, s3
	s_lshl_b32 s0, s0, 8
	v_cvt_f32_u32_e32 v4, s16
	s_add_co_i32 s1, s1, s0
	s_add_co_i32 s34, ttmp9, -1
	v_or_b32_e32 v1, s1, v0
	s_add_nc_u64 s[0:1], s[16:17], 0
	v_rcp_iflag_f32_e32 v4, v4
	s_wait_alu 0xfffe
	s_xor_b64 s[6:7], s[0:1], 0
	s_lshl_b32 s0, ttmp9, 4
	v_ashrrev_i32_e32 v2, 31, v1
	s_wait_alu 0xfffe
	s_cvt_f32_u32 s1, s6
	s_cvt_f32_u32 s2, s7
	s_add_co_i32 s0, s15, s0
	v_lshl_or_b32 v0, s15, 8, v0
	v_lshlrev_b64_e32 v[1:2], 2, v[1:2]
	s_wait_alu 0xfffe
	s_fmamk_f32 s2, s2, 0x4f800000, s1
	s_ashr_i32 s1, s0, 31
	s_sub_nc_u64 s[30:31], 0, s[6:7]
	s_wait_alu 0xfffe
	s_lshl_b64 s[0:1], s[0:1], 3
	v_s_rcp_f32 s2, s2
	s_wait_kmcnt 0x0
	v_add_co_u32 v1, vcc_lo, s8, v1
	s_delay_alu instid0(VALU_DEP_1)
	v_add_co_ci_u32_e64 v2, null, s9, v2, vcc_lo
	s_wait_alu 0xfffe
	s_add_nc_u64 s[0:1], s[10:11], s[0:1]
	s_mov_b32 s8, 0
	s_load_b64 s[26:27], s[0:1], 0x0
	global_load_b32 v3, v[1:2], off
	s_mul_f32 s2, s2, 0x5f7ffffc
	v_mul_f32_e32 v4, 0x4f7ffffe, v4
	s_lshl_b32 s0, s16, 6
	s_wait_alu 0xfffe
	s_mul_f32 s1, s2, 0x2f800000
	s_wait_alu 0xfffe
	s_delay_alu instid0(SALU_CYCLE_2)
	s_trunc_f32 s3, s1
	s_mov_b32 s1, s8
	s_wait_alu 0xfffe
	s_lshl_b64 s[0:1], s[0:1], 2
	s_fmamk_f32 s2, s3, 0xcf800000, s2
	s_cvt_u32_f32 s29, s3
	s_wait_alu 0xfffe
	s_add_nc_u64 s[24:25], s[10:11], s[0:1]
	s_cvt_u32_f32 s28, s2
	s_wait_kmcnt 0x0
	v_mov_b32_e32 v5, s27
	v_cvt_u32_f32_e32 v4, v4
.LBB32_9:                               ; =>This Inner Loop Header: Depth=1
	s_wait_alu 0xfffe
	s_ashr_i32 s35, s34, 31
	s_mov_b32 s2, -1
	s_wait_alu 0xfffe
	s_mul_u64 s[0:1], s[34:35], s[18:19]
                                        ; implicit-def: $sgpr38_sgpr39
	s_wait_alu 0xfffe
	s_mov_b32 s9, s1
	s_wait_alu 0xfffe
	s_cmp_lg_u64 s[8:9], 0
	s_cbranch_scc0 .LBB32_11
; %bb.10:                               ;   in Loop: Header=BB32_9 Depth=1
	s_mul_u64 s[2:3], s[30:31], s[28:29]
	s_mov_b32 s37, s8
	s_wait_alu 0xfffe
	s_mul_hi_u32 s5, s28, s3
	s_mul_i32 s4, s28, s3
	s_mul_hi_u32 s36, s28, s2
	s_mul_hi_u32 s9, s29, s2
	s_wait_alu 0xfffe
	s_add_nc_u64 s[4:5], s[36:37], s[4:5]
	s_mul_i32 s2, s29, s2
	s_mul_hi_u32 s17, s29, s3
	s_wait_alu 0xfffe
	s_add_co_u32 s2, s4, s2
	s_add_co_ci_u32 s2, s5, s9
	s_add_co_ci_u32 s5, s17, 0
	s_mul_i32 s4, s29, s3
	s_mov_b32 s3, s8
	s_mov_b32 s39, s8
	s_wait_alu 0xfffe
	s_add_nc_u64 s[2:3], s[2:3], s[4:5]
	s_wait_alu 0xfffe
	s_add_co_u32 s2, s28, s2
	s_cselect_b32 s4, -1, 0
	s_wait_alu 0xfffe
	s_cmp_lg_u32 s4, 0
	s_add_co_ci_u32 s3, s29, s3
	s_wait_alu 0xfffe
	s_mul_u64 s[4:5], s[30:31], s[2:3]
	s_wait_alu 0xfffe
	s_mul_hi_u32 s37, s2, s5
	s_mul_i32 s36, s2, s5
	s_mul_hi_u32 s38, s2, s4
	s_mul_hi_u32 s9, s3, s4
	s_mul_i32 s4, s3, s4
	s_wait_alu 0xfffe
	s_add_nc_u64 s[36:37], s[38:39], s[36:37]
	s_mul_hi_u32 s17, s3, s5
	s_wait_alu 0xfffe
	s_add_co_u32 s4, s36, s4
	s_add_co_ci_u32 s4, s37, s9
	s_add_co_ci_u32 s37, s17, 0
	s_mul_i32 s36, s3, s5
	s_mov_b32 s5, s8
	s_wait_alu 0xfffe
	s_add_nc_u64 s[4:5], s[4:5], s[36:37]
	s_mov_b32 s37, s8
	s_wait_alu 0xfffe
	s_add_co_u32 s9, s2, s4
	s_cselect_b32 s2, -1, 0
	s_wait_alu 0xfffe
	s_cmp_lg_u32 s2, 0
	s_add_co_ci_u32 s17, s3, s5
	s_ashr_i32 s2, s1, 31
	s_wait_alu 0xfffe
	s_mov_b32 s3, s2
	s_wait_alu 0xfffe
	s_add_nc_u64 s[4:5], s[0:1], s[2:3]
	s_wait_alu 0xfffe
	s_xor_b64 s[4:5], s[4:5], s[2:3]
	s_wait_alu 0xfffe
	s_mul_hi_u32 s39, s4, s17
	s_mul_i32 s38, s4, s17
	s_mul_hi_u32 s36, s4, s9
	s_mul_i32 s21, s5, s9
	s_wait_alu 0xfffe
	s_add_nc_u64 s[36:37], s[36:37], s[38:39]
	s_mul_hi_u32 s9, s5, s9
	s_mul_hi_u32 s1, s5, s17
	s_wait_alu 0xfffe
	s_add_co_u32 s21, s36, s21
	s_add_co_ci_u32 s36, s37, s9
	s_add_co_ci_u32 s39, s1, 0
	s_mul_i32 s38, s5, s17
	s_mov_b32 s37, s8
	s_wait_alu 0xfffe
	s_add_nc_u64 s[36:37], s[36:37], s[38:39]
	s_wait_alu 0xfffe
	s_mul_u64 s[38:39], s[6:7], s[36:37]
	s_add_nc_u64 s[40:41], s[36:37], 1
	s_sub_co_u32 s1, s4, s38
	s_cselect_b32 s4, -1, 0
	s_sub_co_i32 s9, s5, s39
	s_wait_alu 0xfffe
	s_cmp_lg_u32 s4, 0
	s_add_nc_u64 s[42:43], s[36:37], 2
	s_sub_co_ci_u32 s9, s9, s7
	s_sub_co_u32 s17, s1, s6
	s_cselect_b32 s21, -1, 0
	s_delay_alu instid0(SALU_CYCLE_1)
	s_cmp_lg_u32 s21, 0
	s_wait_alu 0xfffe
	s_sub_co_ci_u32 s9, s9, 0
	s_wait_alu 0xfffe
	s_cmp_ge_u32 s9, s7
	s_cselect_b32 s21, -1, 0
	s_cmp_ge_u32 s17, s6
	s_cselect_b32 s17, -1, 0
	s_cmp_eq_u32 s9, s7
	s_wait_alu 0xfffe
	s_cselect_b32 s9, s17, s21
	s_wait_alu 0xfffe
	s_cmp_lg_u32 s9, 0
	s_cselect_b32 s9, s42, s40
	s_cselect_b32 s17, s43, s41
	s_cmp_lg_u32 s4, 0
	s_sub_co_ci_u32 s4, s5, s39
	s_wait_alu 0xfffe
	s_cmp_ge_u32 s4, s7
	s_cselect_b32 s5, -1, 0
	s_cmp_ge_u32 s1, s6
	s_cselect_b32 s1, -1, 0
	s_cmp_eq_u32 s4, s7
	s_wait_alu 0xfffe
	s_cselect_b32 s1, s1, s5
	s_wait_alu 0xfffe
	s_cmp_lg_u32 s1, 0
	s_cselect_b32 s5, s17, s37
	s_cselect_b32 s4, s9, s36
	s_xor_b64 s[2:3], s[2:3], 0
	s_wait_alu 0xfffe
	s_xor_b64 s[4:5], s[4:5], s[2:3]
	s_wait_alu 0xfffe
	s_sub_nc_u64 s[38:39], s[4:5], s[2:3]
	s_mov_b32 s2, 0
.LBB32_11:                              ;   in Loop: Header=BB32_9 Depth=1
	s_wait_alu 0xfffe
	s_and_not1_b32 vcc_lo, exec_lo, s2
	s_wait_alu 0xfffe
	s_cbranch_vccnz .LBB32_13
; %bb.12:                               ;   in Loop: Header=BB32_9 Depth=1
	v_readfirstlane_b32 s1, v4
	s_sub_co_i32 s2, 0, s16
	s_wait_alu 0xfffe
	s_mul_i32 s2, s2, s1
	s_wait_alu 0xfffe
	s_mul_hi_u32 s2, s1, s2
	s_wait_alu 0xfffe
	s_add_co_i32 s1, s1, s2
	s_wait_alu 0xfffe
	s_mul_hi_u32 s1, s0, s1
	s_wait_alu 0xfffe
	s_mul_i32 s2, s1, s16
	s_wait_alu 0xfffe
	s_sub_co_i32 s0, s0, s2
	s_add_co_i32 s2, s1, 1
	s_wait_alu 0xfffe
	s_sub_co_i32 s3, s0, s16
	s_cmp_ge_u32 s0, s16
	s_cselect_b32 s1, s2, s1
	s_wait_alu 0xfffe
	s_cselect_b32 s0, s3, s0
	s_add_co_i32 s2, s1, 1
	s_wait_alu 0xfffe
	s_cmp_ge_u32 s0, s16
	s_cselect_b32 s38, s2, s1
.LBB32_13:                              ;   in Loop: Header=BB32_9 Depth=1
	v_readfirstlane_b32 s9, v0
	s_cmp_lg_u32 s20, s38
	s_mov_b32 s0, -1
                                        ; implicit-def: $sgpr21
                                        ; implicit-def: $vgpr6
                                        ; implicit-def: $vgpr7
                                        ; implicit-def: $sgpr17
                                        ; implicit-def: $sgpr27
	s_cbranch_scc1 .LBB32_16
; %bb.14:                               ;   in Loop: Header=BB32_9 Depth=1
	s_wait_alu 0xfffe
	s_and_not1_b32 vcc_lo, exec_lo, s0
	s_wait_alu 0xfffe
	s_cbranch_vccz .LBB32_19
.LBB32_15:                              ;   in Loop: Header=BB32_9 Depth=1
	s_and_not1_b32 vcc_lo, exec_lo, s21
	s_wait_alu 0xfffe
	s_cbranch_vccnz .LBB32_20
	s_branch .LBB32_23
.LBB32_16:                              ;   in Loop: Header=BB32_9 Depth=1
	s_add_co_i32 s0, s34, s16
	s_mov_b32 s1, s8
	s_wait_alu 0xfffe
	s_lshl_b32 s0, s0, 4
	v_max_num_f32_e64 v6, s26, s26
	s_wait_alu 0xfffe
	s_add_co_i32 s0, s0, s15
	s_mov_b32 s39, s8
	s_wait_alu 0xfffe
	s_lshl_b64 s[0:1], s[0:1], 3
	s_mul_u64 s[40:41], s[38:39], s[22:23]
	s_wait_alu 0xfffe
	s_add_nc_u64 s[0:1], s[10:11], s[0:1]
	s_mov_b32 s27, s20
	s_load_b64 s[36:37], s[0:1], 0x0
	v_readfirstlane_b32 s0, v6
	s_wait_kmcnt 0x0
	v_max_num_f32_e64 v7, s36, s36
	s_delay_alu instid0(VALU_DEP_1) | instskip(SKIP_2) | instid1(SALU_CYCLE_2)
	v_readfirstlane_b32 s1, v7
	s_max_num_f32 s9, s0, s1
	s_wait_alu 0xfffe
	s_sub_f32 s33, s26, s9
	s_sub_f32 s35, s36, s9
	s_wait_alu 0xfffe
	s_delay_alu instid0(SALU_CYCLE_1)
	s_cmp_nlt_f32 s33, 0xc2ce8ed0
	s_cselect_b32 s0, -1, 0
	s_cmp_ngt_f32 s33, 0x42b17218
	s_cselect_b32 s1, -1, 0
	s_cmp_ge_f32 s33, 0xc1a00000
	s_cselect_b32 s2, -1, 0
	s_cmp_nlt_f32 s35, 0xc2ce8ed0
	s_cselect_b32 s3, -1, 0
	s_cmp_ngt_f32 s35, 0x42b17218
	s_cselect_b32 s4, -1, 0
	s_cmp_ge_f32 s35, 0xc1a00000
	s_cselect_b32 s5, -1, 0
	s_add_co_i32 s17, s41, s38
	s_wait_alu 0xfffe
	s_lshr_b32 s17, s17, s13
	s_wait_alu 0xfffe
	s_mul_i32 s21, s17, s14
	s_delay_alu instid0(SALU_CYCLE_1)
	s_cmp_eq_u32 s21, s38
	s_cselect_b32 s21, -1, 0
	s_cmp_lt_u32 s17, s12
	s_cselect_b32 s17, -1, 0
	s_wait_alu 0xfffe
	s_or_b32 s17, s17, s21
	s_mov_b32 s21, -1
	s_wait_alu 0xfffe
	s_and_b32 vcc_lo, exec_lo, s17
	s_mov_b32 s17, s34
	s_wait_alu 0xfffe
	s_cbranch_vccnz .LBB32_18
; %bb.17:                               ;   in Loop: Header=BB32_9 Depth=1
	s_add_co_i32 s17, s34, -1
	s_mov_b32 s21, 0
	s_mov_b32 s27, s38
.LBB32_18:                              ;   in Loop: Header=BB32_9 Depth=1
	v_lshl_add_u32 v6, s34, 12, v0
	s_mul_f32 s36, s35, 0x3fb8aa3b
	s_mul_f32 s38, s33, 0x3fb8aa3b
	s_wait_alu 0xfffe
	s_delay_alu instid0(SALU_CYCLE_1)
	s_xor_b32 s39, s36, 0x80000000
	v_ashrrev_i32_e32 v7, 31, v6
	s_rndne_f32 s40, s36
	s_fmamk_f32 s39, s35, 0x3fb8aa3b, s39
	s_xor_b32 s41, s38, 0x80000000
	s_rndne_f32 s42, s38
	v_lshlrev_b64_e32 v[6:7], 2, v[6:7]
	s_sub_f32 s36, s36, s40
	s_fmamk_f32 s35, s35, 0x32a5705f, s39
	s_fmamk_f32 s39, s33, 0x3fb8aa3b, s41
	s_sub_f32 s38, s38, s42
	s_delay_alu instid0(VALU_DEP_1)
	v_add_co_u32 v6, vcc_lo, s24, v6
	s_wait_alu 0xfffd
	v_add_co_ci_u32_e64 v7, null, s25, v7, vcc_lo
	s_wait_alu 0xfffe
	s_add_f32 s35, s36, s35
	s_fmamk_f32 s33, s33, 0x32a5705f, s39
	s_cvt_i32_f32 s36, s40
	global_load_b32 v6, v[6:7], off
	s_wait_alu 0xfffe
	v_s_exp_f32 s35, s35
	s_add_f32 s33, s38, s33
	s_wait_alu 0xfffe
	s_delay_alu instid0(SALU_CYCLE_2) | instskip(NEXT) | instid1(TRANS32_DEP_2)
	v_s_exp_f32 s33, s33
	v_ldexp_f32 v7, s35, s36
	s_cvt_i32_f32 s35, s42
	s_wait_alu 0xf1fe
	s_delay_alu instid0(TRANS32_DEP_1) | instid1(SALU_CYCLE_2)
	v_ldexp_f32 v8, s33, s35
	s_delay_alu instid0(VALU_DEP_2) | instskip(NEXT) | instid1(VALU_DEP_2)
	v_cndmask_b32_e64 v7, 0, v7, s3
	v_cndmask_b32_e64 v8, 0, v8, s0
	s_delay_alu instid0(VALU_DEP_2) | instskip(NEXT) | instid1(VALU_DEP_2)
	v_cndmask_b32_e64 v7, 0x7f800000, v7, s4
	v_cndmask_b32_e64 v8, 0x7f800000, v8, s1
	;; [unrolled: 3-line block ×3, first 2 shown]
	s_wait_loadcnt 0x0
	s_delay_alu instid0(VALU_DEP_2) | instskip(SKIP_1) | instid1(VALU_DEP_1)
	v_mul_f32_e32 v6, v6, v7
	v_mul_f32_e32 v7, s37, v7
	v_fmac_f32_e32 v7, v5, v8
	s_delay_alu instid0(VALU_DEP_3)
	v_fmac_f32_e32 v6, v3, v8
	s_cbranch_execnz .LBB32_15
.LBB32_19:                              ;   in Loop: Header=BB32_9 Depth=1
	s_wait_loadcnt 0x0
	v_dual_mov_b32 v7, v5 :: v_dual_mov_b32 v6, v3
	s_add_co_i32 s17, s34, -1
	s_mov_b32 s27, s20
	s_mov_b32 s9, s26
	s_cbranch_execz .LBB32_23
.LBB32_20:                              ;   in Loop: Header=BB32_9 Depth=1
	v_mov_b32_e32 v5, v7
	s_wait_loadcnt 0x0
	v_mov_b32_e32 v3, v6
	s_wait_alu 0xfffe
	s_mov_b32 s20, s27
	s_mov_b32 s34, s17
	s_mov_b32 s26, s9
	s_branch .LBB32_9
.LBB32_21:
                                        ; implicit-def: $sgpr20_sgpr21
	s_branch .LBB32_2
.LBB32_22:
                                        ; implicit-def: $sgpr10_sgpr11
	s_load_b96 s[12:14], s[0:1], 0x44
	s_branch .LBB32_5
.LBB32_23:
	v_div_scale_f32 v0, null, v7, v7, v6
	s_wait_loadcnt 0x0
	s_delay_alu instid0(VALU_DEP_1) | instskip(NEXT) | instid1(TRANS32_DEP_1)
	v_rcp_f32_e32 v3, v0
	v_fma_f32 v4, -v0, v3, 1.0
	s_delay_alu instid0(VALU_DEP_1) | instskip(SKIP_1) | instid1(VALU_DEP_1)
	v_fmac_f32_e32 v3, v4, v3
	v_div_scale_f32 v4, vcc_lo, v6, v7, v6
	v_mul_f32_e32 v5, v4, v3
	s_delay_alu instid0(VALU_DEP_1) | instskip(NEXT) | instid1(VALU_DEP_1)
	v_fma_f32 v8, -v0, v5, v4
	v_fmac_f32_e32 v5, v8, v3
	s_delay_alu instid0(VALU_DEP_1) | instskip(SKIP_1) | instid1(VALU_DEP_1)
	v_fma_f32 v0, -v0, v5, v4
	s_wait_alu 0xfffd
	v_div_fmas_f32 v0, v0, v3, v5
	s_delay_alu instid0(VALU_DEP_1)
	v_div_fixup_f32 v0, v0, v7, v6
	global_store_b32 v[1:2], v0, off
.LBB32_24:
	s_endpgm
	.section	.rodata,"a",@progbits
	.p2align	6, 0x0
	.amdhsa_kernel _ZL33flash_attn_stream_k_fixup_generalILi256ELi8ELi2EEvPfPK15HIP_vector_typeIfLj2EEiiiiS1_IjLj3EES5_S5_S5_
		.amdhsa_group_segment_fixed_size 0
		.amdhsa_private_segment_fixed_size 0
		.amdhsa_kernarg_size 336
		.amdhsa_user_sgpr_count 2
		.amdhsa_user_sgpr_dispatch_ptr 0
		.amdhsa_user_sgpr_queue_ptr 0
		.amdhsa_user_sgpr_kernarg_segment_ptr 1
		.amdhsa_user_sgpr_dispatch_id 0
		.amdhsa_user_sgpr_private_segment_size 0
		.amdhsa_wavefront_size32 1
		.amdhsa_uses_dynamic_stack 0
		.amdhsa_enable_private_segment 0
		.amdhsa_system_sgpr_workgroup_id_x 1
		.amdhsa_system_sgpr_workgroup_id_y 1
		.amdhsa_system_sgpr_workgroup_id_z 1
		.amdhsa_system_sgpr_workgroup_info 0
		.amdhsa_system_vgpr_workitem_id 0
		.amdhsa_next_free_vgpr 9
		.amdhsa_next_free_sgpr 44
		.amdhsa_reserve_vcc 1
		.amdhsa_float_round_mode_32 0
		.amdhsa_float_round_mode_16_64 0
		.amdhsa_float_denorm_mode_32 3
		.amdhsa_float_denorm_mode_16_64 3
		.amdhsa_fp16_overflow 0
		.amdhsa_workgroup_processor_mode 1
		.amdhsa_memory_ordered 1
		.amdhsa_forward_progress 1
		.amdhsa_inst_pref_size 28
		.amdhsa_round_robin_scheduling 0
		.amdhsa_exception_fp_ieee_invalid_op 0
		.amdhsa_exception_fp_denorm_src 0
		.amdhsa_exception_fp_ieee_div_zero 0
		.amdhsa_exception_fp_ieee_overflow 0
		.amdhsa_exception_fp_ieee_underflow 0
		.amdhsa_exception_fp_ieee_inexact 0
		.amdhsa_exception_int_div_zero 0
	.end_amdhsa_kernel
	.section	.text._ZL33flash_attn_stream_k_fixup_generalILi256ELi8ELi2EEvPfPK15HIP_vector_typeIfLj2EEiiiiS1_IjLj3EES5_S5_S5_,"axG",@progbits,_ZL33flash_attn_stream_k_fixup_generalILi256ELi8ELi2EEvPfPK15HIP_vector_typeIfLj2EEiiiiS1_IjLj3EES5_S5_S5_,comdat
.Lfunc_end32:
	.size	_ZL33flash_attn_stream_k_fixup_generalILi256ELi8ELi2EEvPfPK15HIP_vector_typeIfLj2EEiiiiS1_IjLj3EES5_S5_S5_, .Lfunc_end32-_ZL33flash_attn_stream_k_fixup_generalILi256ELi8ELi2EEvPfPK15HIP_vector_typeIfLj2EEiiiiS1_IjLj3EES5_S5_S5_
                                        ; -- End function
	.set _ZL33flash_attn_stream_k_fixup_generalILi256ELi8ELi2EEvPfPK15HIP_vector_typeIfLj2EEiiiiS1_IjLj3EES5_S5_S5_.num_vgpr, 9
	.set _ZL33flash_attn_stream_k_fixup_generalILi256ELi8ELi2EEvPfPK15HIP_vector_typeIfLj2EEiiiiS1_IjLj3EES5_S5_S5_.num_agpr, 0
	.set _ZL33flash_attn_stream_k_fixup_generalILi256ELi8ELi2EEvPfPK15HIP_vector_typeIfLj2EEiiiiS1_IjLj3EES5_S5_S5_.numbered_sgpr, 44
	.set _ZL33flash_attn_stream_k_fixup_generalILi256ELi8ELi2EEvPfPK15HIP_vector_typeIfLj2EEiiiiS1_IjLj3EES5_S5_S5_.num_named_barrier, 0
	.set _ZL33flash_attn_stream_k_fixup_generalILi256ELi8ELi2EEvPfPK15HIP_vector_typeIfLj2EEiiiiS1_IjLj3EES5_S5_S5_.private_seg_size, 0
	.set _ZL33flash_attn_stream_k_fixup_generalILi256ELi8ELi2EEvPfPK15HIP_vector_typeIfLj2EEiiiiS1_IjLj3EES5_S5_S5_.uses_vcc, 1
	.set _ZL33flash_attn_stream_k_fixup_generalILi256ELi8ELi2EEvPfPK15HIP_vector_typeIfLj2EEiiiiS1_IjLj3EES5_S5_S5_.uses_flat_scratch, 0
	.set _ZL33flash_attn_stream_k_fixup_generalILi256ELi8ELi2EEvPfPK15HIP_vector_typeIfLj2EEiiiiS1_IjLj3EES5_S5_S5_.has_dyn_sized_stack, 0
	.set _ZL33flash_attn_stream_k_fixup_generalILi256ELi8ELi2EEvPfPK15HIP_vector_typeIfLj2EEiiiiS1_IjLj3EES5_S5_S5_.has_recursion, 0
	.set _ZL33flash_attn_stream_k_fixup_generalILi256ELi8ELi2EEvPfPK15HIP_vector_typeIfLj2EEiiiiS1_IjLj3EES5_S5_S5_.has_indirect_call, 0
	.section	.AMDGPU.csdata,"",@progbits
; Kernel info:
; codeLenInByte = 3548
; TotalNumSgprs: 46
; NumVgprs: 9
; ScratchSize: 0
; MemoryBound: 0
; FloatMode: 240
; IeeeMode: 1
; LDSByteSize: 0 bytes/workgroup (compile time only)
; SGPRBlocks: 0
; VGPRBlocks: 1
; NumSGPRsForWavesPerEU: 46
; NumVGPRsForWavesPerEU: 9
; Occupancy: 16
; WaveLimiterHint : 0
; COMPUTE_PGM_RSRC2:SCRATCH_EN: 0
; COMPUTE_PGM_RSRC2:USER_SGPR: 2
; COMPUTE_PGM_RSRC2:TRAP_HANDLER: 0
; COMPUTE_PGM_RSRC2:TGID_X_EN: 1
; COMPUTE_PGM_RSRC2:TGID_Y_EN: 1
; COMPUTE_PGM_RSRC2:TGID_Z_EN: 1
; COMPUTE_PGM_RSRC2:TIDIG_COMP_CNT: 0
	.section	.text._ZL26flash_attn_combine_resultsILi256EEvPKfPK15HIP_vector_typeIfLj2EEPfi,"axG",@progbits,_ZL26flash_attn_combine_resultsILi256EEvPKfPK15HIP_vector_typeIfLj2EEPfi,comdat
	.globl	_ZL26flash_attn_combine_resultsILi256EEvPKfPK15HIP_vector_typeIfLj2EEPfi ; -- Begin function _ZL26flash_attn_combine_resultsILi256EEvPKfPK15HIP_vector_typeIfLj2EEPfi
	.p2align	8
	.type	_ZL26flash_attn_combine_resultsILi256EEvPKfPK15HIP_vector_typeIfLj2EEPfi,@function
_ZL26flash_attn_combine_resultsILi256EEvPKfPK15HIP_vector_typeIfLj2EEPfi: ; @_ZL26flash_attn_combine_resultsILi256EEvPKfPK15HIP_vector_typeIfLj2EEPfi
; %bb.0:
	s_clause 0x2
	s_load_b64 s[2:3], s[0:1], 0x20
	s_load_b96 s[8:10], s[0:1], 0x10
	s_load_b128 s[4:7], s[0:1], 0x0
	s_lshr_b32 s0, ttmp7, 16
	v_lshlrev_b32_e32 v5, 2, v0
	s_mov_b32 s12, exec_lo
	s_wait_kmcnt 0x0
	s_mul_i32 s0, s2, s0
	s_and_b32 s2, ttmp7, 0xffff
	s_add_co_i32 s0, s0, ttmp9
	s_lshl_b32 s1, s10, 1
	s_mul_i32 s11, s0, s3
	s_delay_alu instid0(SALU_CYCLE_1) | instskip(NEXT) | instid1(SALU_CYCLE_1)
	s_add_co_i32 s11, s11, s2
	s_mul_i32 s2, s11, s10
	v_cmpx_gt_i32_e64 s1, v0
	s_cbranch_execz .LBB33_3
; %bb.1:
	s_ashr_i32 s3, s2, 31
	v_dual_mov_b32 v4, v0 :: v_dual_add_nc_u32 v3, 0, v5
	s_lshl_b64 s[14:15], s[2:3], 3
	s_mov_b32 s3, 0
	s_add_nc_u64 s[6:7], s[6:7], s[14:15]
	s_delay_alu instid0(SALU_CYCLE_1)
	v_add_co_u32 v1, s0, s6, v5
	s_wait_alu 0xf1ff
	v_add_co_ci_u32_e64 v2, null, s7, 0, s0
.LBB33_2:                               ; =>This Inner Loop Header: Depth=1
	global_load_b32 v6, v[1:2], off
	v_add_nc_u32_e32 v4, 0x100, v4
	v_add_co_u32 v1, vcc_lo, 0x400, v1
	s_wait_alu 0xfffd
	v_add_co_ci_u32_e64 v2, null, 0, v2, vcc_lo
	s_delay_alu instid0(VALU_DEP_3)
	v_cmp_le_i32_e64 s0, s1, v4
	s_or_b32 s3, s0, s3
	s_wait_loadcnt 0x0
	ds_store_b32 v3, v6
	v_add_nc_u32_e32 v3, 0x400, v3
	s_and_not1_b32 exec_lo, exec_lo, s3
	s_cbranch_execnz .LBB33_2
.LBB33_3:
	s_or_b32 exec_lo, exec_lo, s12
	v_mov_b32_e32 v1, 0
	s_wait_dscnt 0x0
	s_barrier_signal -1
	s_barrier_wait -1
	global_inv scope:SCOPE_SE
	ds_load_b32 v6, v1
	s_cmp_lt_i32 s10, 2
	s_cbranch_scc1 .LBB33_11
; %bb.4:
	s_add_co_i32 s1, s10, -2
	s_add_co_i32 s0, s10, -1
	s_wait_alu 0xfffe
	s_cmp_lt_u32 s1, 7
	s_cbranch_scc1 .LBB33_8
; %bb.5:
	s_mov_b32 s3, 0
	s_add_co_i32 s1, 0, 8
	s_and_b32 s6, s0, -8
.LBB33_6:                               ; =>This Inner Loop Header: Depth=1
	s_wait_alu 0xfffe
	v_mov_b32_e32 v9, s1
	s_mov_b32 s7, s3
	s_add_co_i32 s3, s3, 8
	s_add_co_i32 s1, s1, 64
	s_cmp_eq_u32 s6, s3
	ds_load_2addr_b32 v[1:2], v9 offset1:2
	ds_load_2addr_b32 v[3:4], v9 offset0:4 offset1:6
	ds_load_2addr_b32 v[7:8], v9 offset0:8 offset1:10
	;; [unrolled: 1-line block ×3, first 2 shown]
	s_wait_dscnt 0x3
	v_max3_num_f32 v1, v6, v1, v2
	s_wait_dscnt 0x2
	s_delay_alu instid0(VALU_DEP_1) | instskip(SKIP_1) | instid1(VALU_DEP_1)
	v_max3_num_f32 v1, v1, v3, v4
	s_wait_dscnt 0x1
	v_max3_num_f32 v1, v1, v7, v8
	s_wait_dscnt 0x0
	s_delay_alu instid0(VALU_DEP_1)
	v_max3_num_f32 v6, v1, v9, v10
	s_cbranch_scc0 .LBB33_6
; %bb.7:
	s_wait_alu 0xfffe
	s_add_co_i32 s1, s7, 9
	s_and_b32 s0, s0, 7
	s_wait_alu 0xfffe
	s_cmp_eq_u32 s0, 0
	s_cbranch_scc0 .LBB33_9
	s_branch .LBB33_11
.LBB33_8:
	s_mov_b32 s1, 1
	s_and_b32 s0, s0, 7
	s_wait_alu 0xfffe
	s_cmp_eq_u32 s0, 0
	s_cbranch_scc1 .LBB33_11
.LBB33_9:
	s_lshl_b32 s1, s1, 3
	s_wait_alu 0xfffe
	s_add_co_i32 s1, s1, 0
.LBB33_10:                              ; =>This Inner Loop Header: Depth=1
	s_wait_dscnt 0x0
	s_wait_alu 0xfffe
	s_delay_alu instid0(VALU_DEP_1)
	v_dual_mov_b32 v1, s1 :: v_dual_max_num_f32 v2, v6, v6
	s_add_co_i32 s0, s0, -1
	s_add_co_i32 s1, s1, 8
	s_wait_alu 0xfffe
	s_cmp_lg_u32 s0, 0
	ds_load_b32 v1, v1
	s_wait_dscnt 0x0
	v_max_num_f32_e32 v1, v1, v1
	s_delay_alu instid0(VALU_DEP_1)
	v_max_num_f32_e32 v6, v2, v1
	s_cbranch_scc1 .LBB33_10
.LBB33_11:
	s_cmp_lt_i32 s10, 1
	s_cbranch_scc1 .LBB33_16
; %bb.12:
	s_lshl_b32 s0, s2, 8
	s_wait_alu 0xfffe
	s_ashr_i32 s1, s0, 31
	s_wait_alu 0xfffe
	s_lshl_b64 s[0:1], s[0:1], 2
	s_cmp_lt_u32 s10, 8
	s_wait_alu 0xfffe
	s_add_nc_u64 s[6:7], s[4:5], s[0:1]
	s_cbranch_scc1 .LBB33_17
; %bb.13:
	v_or_b32_e32 v1, 0x700, v0
	v_dual_mov_b32 v4, 0 :: v_dual_mov_b32 v7, 0
	v_mov_b32_e32 v8, 0
	s_and_b32 s12, s10, 0x7ffffff8
	s_mov_b32 s13, 0
	s_mov_b32 s14, 0
.LBB33_14:                              ; =>This Inner Loop Header: Depth=1
	v_dual_mov_b32 v2, v4 :: v_dual_add_nc_u32 v3, 0xfffff900, v1
	v_mov_b32_e32 v21, s14
	s_add_co_i32 s13, s13, 8
	s_add_co_i32 s14, s14, 64
	s_delay_alu instid0(VALU_DEP_2) | instskip(SKIP_3) | instid1(VALU_DEP_2)
	v_lshlrev_b64_e32 v[9:10], 2, v[3:4]
	v_add_nc_u32_e32 v3, 0xfffffa00, v1
	v_lshlrev_b64_e32 v[11:12], 2, v[1:2]
	s_cmp_eq_u32 s12, s13
	v_lshlrev_b64_e32 v[13:14], 2, v[3:4]
	s_wait_alu 0xfffe
	v_add_co_u32 v9, vcc_lo, s6, v9
	s_wait_alu 0xfffd
	v_add_co_ci_u32_e64 v10, null, s7, v10, vcc_lo
	v_add_nc_u32_e32 v3, 0xfffffb00, v1
	v_add_co_u32 v13, vcc_lo, s6, v13
	global_load_b32 v25, v[9:10], off
	s_wait_alu 0xfffd
	v_add_co_ci_u32_e64 v14, null, s7, v14, vcc_lo
	v_lshlrev_b64_e32 v[15:16], 2, v[3:4]
	v_add_nc_u32_e32 v3, 0xfffffc00, v1
	global_load_b32 v26, v[13:14], off
	v_add_co_u32 v13, vcc_lo, s6, v15
	s_wait_alu 0xfffd
	v_add_co_ci_u32_e64 v14, null, s7, v16, vcc_lo
	v_lshlrev_b64_e32 v[9:10], 2, v[3:4]
	v_add_nc_u32_e32 v3, 0xfffffd00, v1
	global_load_b32 v27, v[13:14], off
	v_add_co_u32 v9, vcc_lo, s6, v9
	v_lshlrev_b64_e32 v[15:16], 2, v[3:4]
	v_add_nc_u32_e32 v3, 0xfffffe00, v1
	s_wait_alu 0xfffd
	v_add_co_ci_u32_e64 v10, null, s7, v10, vcc_lo
	global_load_b32 v28, v[9:10], off
	v_lshlrev_b64_e32 v[13:14], 2, v[3:4]
	v_add_nc_u32_e32 v3, 0xffffff00, v1
	v_add_co_u32 v9, vcc_lo, s6, v15
	s_wait_alu 0xfffd
	v_add_co_ci_u32_e64 v10, null, s7, v16, vcc_lo
	s_delay_alu instid0(VALU_DEP_4)
	v_add_co_u32 v13, vcc_lo, s6, v13
	v_lshlrev_b64_e32 v[2:3], 2, v[3:4]
	s_wait_alu 0xfffd
	v_add_co_ci_u32_e64 v14, null, s7, v14, vcc_lo
	s_clause 0x1
	global_load_b32 v29, v[9:10], off
	global_load_b32 v30, v[13:14], off
	v_add_co_u32 v2, vcc_lo, s6, v2
	s_wait_alu 0xfffd
	v_add_co_ci_u32_e64 v3, null, s7, v3, vcc_lo
	v_add_co_u32 v9, vcc_lo, s6, v11
	s_wait_alu 0xfffd
	v_add_co_ci_u32_e64 v10, null, s7, v12, vcc_lo
	s_clause 0x1
	global_load_b32 v2, v[2:3], off
	global_load_b32 v3, v[9:10], off
	ds_load_2addr_b64 v[9:12], v21 offset1:1
	ds_load_2addr_b64 v[13:16], v21 offset0:2 offset1:3
	ds_load_2addr_b64 v[17:20], v21 offset0:4 offset1:5
	;; [unrolled: 1-line block ×3, first 2 shown]
	v_add_nc_u32_e32 v1, 0x800, v1
	s_wait_dscnt 0x1
	v_sub_f32_e32 v19, v19, v6
	v_sub_f32_e32 v11, v11, v6
	s_wait_dscnt 0x0
	v_sub_f32_e32 v23, v23, v6
	s_delay_alu instid0(VALU_DEP_3) | instskip(NEXT) | instid1(VALU_DEP_3)
	v_dual_sub_f32 v13, v13, v6 :: v_dual_mul_f32 v36, 0x3fb8aa3b, v19
	v_mul_f32_e32 v32, 0x3fb8aa3b, v11
	s_delay_alu instid0(VALU_DEP_2) | instskip(SKIP_1) | instid1(VALU_DEP_4)
	v_dual_mul_f32 v38, 0x3fb8aa3b, v23 :: v_dual_mul_f32 v33, 0x3fb8aa3b, v13
	v_cmp_ngt_f32_e32 vcc_lo, 0xc2ce8ed0, v13
	v_xor_b32_e32 v49, 0x80000000, v36
	s_delay_alu instid0(VALU_DEP_4) | instskip(SKIP_4) | instid1(VALU_DEP_4)
	v_xor_b32_e32 v41, 0x80000000, v32
	v_rndne_f32_e32 v42, v32
	v_xor_b32_e32 v43, 0x80000000, v33
	v_rndne_f32_e32 v44, v33
	v_rndne_f32_e32 v50, v36
	v_dual_fmac_f32 v41, 0x3fb8aa3b, v11 :: v_dual_sub_f32 v32, v32, v42
	s_delay_alu instid0(VALU_DEP_4) | instskip(NEXT) | instid1(VALU_DEP_4)
	v_fmac_f32_e32 v43, 0x3fb8aa3b, v13
	v_sub_f32_e32 v33, v33, v44
	v_cvt_i32_f32_e32 v42, v42
	s_delay_alu instid0(VALU_DEP_4) | instskip(SKIP_3) | instid1(VALU_DEP_4)
	v_fmac_f32_e32 v41, 0x32a5705f, v11
	v_sub_f32_e32 v15, v15, v6
	v_fmac_f32_e32 v43, 0x32a5705f, v13
	v_cvt_i32_f32_e32 v44, v44
	v_dual_fmac_f32 v49, 0x3fb8aa3b, v19 :: v_dual_add_f32 v32, v32, v41
	s_delay_alu instid0(VALU_DEP_4) | instskip(NEXT) | instid1(VALU_DEP_4)
	v_dual_sub_f32 v9, v9, v6 :: v_dual_mul_f32 v34, 0x3fb8aa3b, v15
	v_add_f32_e32 v33, v33, v43
	v_cmp_ngt_f32_e64 s0, 0xc2ce8ed0, v15
	s_delay_alu instid0(VALU_DEP_4) | instskip(NEXT) | instid1(VALU_DEP_3)
	v_exp_f32_e32 v32, v32
	v_mul_f32_e32 v31, 0x3fb8aa3b, v9
	v_xor_b32_e32 v45, 0x80000000, v34
	v_rndne_f32_e32 v46, v34
	v_exp_f32_e32 v33, v33
	v_cmp_ngt_f32_e64 s5, 0xc2ce8ed0, v9
	v_xor_b32_e32 v39, 0x80000000, v31
	v_rndne_f32_e32 v40, v31
	v_dual_fmac_f32 v45, 0x3fb8aa3b, v15 :: v_dual_sub_f32 v34, v34, v46
	s_delay_alu instid0(TRANS32_DEP_2) | instskip(NEXT) | instid1(VALU_DEP_4)
	v_ldexp_f32 v32, v32, v42
	v_fmac_f32_e32 v39, 0x3fb8aa3b, v9
	s_delay_alu instid0(VALU_DEP_4)
	v_sub_f32_e32 v31, v31, v40
	v_cvt_i32_f32_e32 v40, v40
	v_fmac_f32_e32 v45, 0x32a5705f, v15
	v_sub_f32_e32 v17, v17, v6
	v_fmac_f32_e32 v39, 0x32a5705f, v9
	v_ldexp_f32 v33, v33, v44
	v_cvt_i32_f32_e32 v46, v46
	v_add_f32_e32 v34, v34, v45
	s_delay_alu instid0(VALU_DEP_4) | instskip(SKIP_2) | instid1(VALU_DEP_4)
	v_dual_sub_f32 v36, v36, v50 :: v_dual_add_f32 v31, v31, v39
	v_fmac_f32_e32 v49, 0x32a5705f, v19
	v_xor_b32_e32 v53, 0x80000000, v38
	v_exp_f32_e32 v34, v34
	v_cvt_i32_f32_e32 v50, v50
	v_exp_f32_e32 v31, v31
	v_add_f32_e32 v36, v36, v49
	v_cmp_ngt_f32_e64 s1, 0xc2ce8ed0, v17
	v_rndne_f32_e32 v54, v38
	v_cmp_ngt_f32_e64 s2, 0xc2ce8ed0, v19
	s_delay_alu instid0(VALU_DEP_4) | instskip(NEXT) | instid1(TRANS32_DEP_3)
	v_exp_f32_e32 v36, v36
	v_ldexp_f32 v34, v34, v46
	s_delay_alu instid0(VALU_DEP_3) | instskip(NEXT) | instid1(TRANS32_DEP_2)
	v_sub_f32_e32 v38, v38, v54
	v_ldexp_f32 v31, v31, v40
	v_cvt_i32_f32_e32 v54, v54
	s_wait_alu 0xf1ff
	s_delay_alu instid0(VALU_DEP_2) | instskip(SKIP_1) | instid1(TRANS32_DEP_1)
	v_cndmask_b32_e64 v31, 0, v31, s5
	v_cmp_ngt_f32_e64 s5, 0xc2ce8ed0, v11
	v_ldexp_f32 v36, v36, v50
	s_wait_alu 0xf1ff
	s_delay_alu instid0(VALU_DEP_2) | instskip(SKIP_2) | instid1(VALU_DEP_1)
	v_cndmask_b32_e64 v32, 0, v32, s5
	v_cmp_nlt_f32_e64 s5, 0x42b17218, v9
	s_wait_alu 0xf1ff
	v_cndmask_b32_e64 v9, 0x7f800000, v31, s5
	s_wait_alu 0xfffd
	v_cndmask_b32_e32 v31, 0, v33, vcc_lo
	v_cmp_nlt_f32_e32 vcc_lo, 0x42b17218, v11
	s_wait_alu 0xfffd
	v_dual_fmac_f32 v8, v9, v10 :: v_dual_cndmask_b32 v11, 0x7f800000, v32
	v_cmp_nlt_f32_e32 vcc_lo, 0x42b17218, v13
	s_delay_alu instid0(VALU_DEP_2)
	v_fmac_f32_e32 v8, v11, v12
	s_wait_alu 0xfffd
	v_cndmask_b32_e32 v10, 0x7f800000, v31, vcc_lo
	v_cmp_nlt_f32_e32 vcc_lo, 0x42b17218, v15
	v_fmac_f32_e32 v53, 0x3fb8aa3b, v23
	v_cmp_ngt_f32_e64 s4, 0xc2ce8ed0, v23
	s_delay_alu instid0(VALU_DEP_2) | instskip(NEXT) | instid1(VALU_DEP_1)
	v_dual_fmac_f32 v8, v10, v14 :: v_dual_fmac_f32 v53, 0x32a5705f, v23
	v_dual_sub_f32 v21, v21, v6 :: v_dual_add_f32 v38, v38, v53
	s_delay_alu instid0(VALU_DEP_1) | instskip(NEXT) | instid1(VALU_DEP_2)
	v_cmp_ngt_f32_e64 s3, 0xc2ce8ed0, v21
	v_exp_f32_e32 v38, v38
	s_delay_alu instid0(TRANS32_DEP_1) | instskip(SKIP_4) | instid1(VALU_DEP_1)
	v_ldexp_f32 v38, v38, v54
	s_wait_loadcnt 0x7
	v_fmac_f32_e32 v7, v25, v9
	v_cndmask_b32_e64 v9, 0, v34, s0
	s_wait_alu 0xfffd
	v_cndmask_b32_e32 v9, 0x7f800000, v9, vcc_lo
	s_wait_loadcnt 0x6
	v_fmac_f32_e32 v7, v26, v11
	v_cmp_nlt_f32_e32 vcc_lo, 0x42b17218, v17
	s_delay_alu instid0(VALU_DEP_3) | instskip(SKIP_1) | instid1(VALU_DEP_3)
	v_dual_fmac_f32 v8, v9, v16 :: v_dual_mul_f32 v35, 0x3fb8aa3b, v17
	s_wait_loadcnt 0x5
	v_fmac_f32_e32 v7, v27, v10
	s_delay_alu instid0(VALU_DEP_2) | instskip(SKIP_2) | instid1(VALU_DEP_3)
	v_xor_b32_e32 v47, 0x80000000, v35
	v_rndne_f32_e32 v48, v35
	v_cndmask_b32_e64 v10, 0, v36, s2
	v_fmac_f32_e32 v47, 0x3fb8aa3b, v17
	s_delay_alu instid0(VALU_DEP_3) | instskip(SKIP_1) | instid1(VALU_DEP_3)
	v_sub_f32_e32 v35, v35, v48
	v_cvt_i32_f32_e32 v48, v48
	v_fmac_f32_e32 v47, 0x32a5705f, v17
	s_wait_loadcnt 0x4
	v_fmac_f32_e32 v7, v28, v9
	s_delay_alu instid0(VALU_DEP_2) | instskip(NEXT) | instid1(VALU_DEP_1)
	v_add_f32_e32 v35, v35, v47
	v_exp_f32_e32 v35, v35
	s_delay_alu instid0(TRANS32_DEP_1) | instskip(NEXT) | instid1(VALU_DEP_1)
	v_ldexp_f32 v35, v35, v48
	v_cndmask_b32_e64 v11, 0, v35, s1
	s_wait_alu 0xfffd
	s_delay_alu instid0(VALU_DEP_1) | instskip(SKIP_1) | instid1(VALU_DEP_2)
	v_cndmask_b32_e32 v11, 0x7f800000, v11, vcc_lo
	v_cmp_nlt_f32_e32 vcc_lo, 0x42b17218, v19
	v_fmac_f32_e32 v8, v11, v18
	s_wait_alu 0xfffd
	v_cndmask_b32_e32 v10, 0x7f800000, v10, vcc_lo
	v_mul_f32_e32 v37, 0x3fb8aa3b, v21
	s_wait_loadcnt 0x3
	v_fmac_f32_e32 v7, v29, v11
	v_cmp_nlt_f32_e32 vcc_lo, 0x42b17218, v21
	s_wait_alu 0xf1ff
	v_cndmask_b32_e64 v11, 0, v38, s4
	v_fmac_f32_e32 v8, v10, v20
	v_xor_b32_e32 v51, 0x80000000, v37
	v_rndne_f32_e32 v52, v37
	s_wait_loadcnt 0x2
	v_fmac_f32_e32 v7, v30, v10
	s_delay_alu instid0(VALU_DEP_3) | instskip(NEXT) | instid1(VALU_DEP_3)
	v_fmac_f32_e32 v51, 0x3fb8aa3b, v21
	v_sub_f32_e32 v37, v37, v52
	v_cvt_i32_f32_e32 v52, v52
	s_delay_alu instid0(VALU_DEP_3) | instskip(NEXT) | instid1(VALU_DEP_1)
	v_fmac_f32_e32 v51, 0x32a5705f, v21
	v_add_f32_e32 v37, v37, v51
	s_delay_alu instid0(VALU_DEP_1) | instskip(NEXT) | instid1(TRANS32_DEP_1)
	v_exp_f32_e32 v37, v37
	v_ldexp_f32 v37, v37, v52
	s_delay_alu instid0(VALU_DEP_1) | instskip(SKIP_1) | instid1(VALU_DEP_1)
	v_cndmask_b32_e64 v9, 0, v37, s3
	s_wait_alu 0xfffd
	v_cndmask_b32_e32 v9, 0x7f800000, v9, vcc_lo
	v_cmp_nlt_f32_e32 vcc_lo, 0x42b17218, v23
	s_delay_alu instid0(VALU_DEP_2) | instskip(SKIP_4) | instid1(VALU_DEP_1)
	v_fmac_f32_e32 v8, v9, v22
	s_wait_loadcnt 0x1
	s_wait_alu 0xfffd
	v_dual_cndmask_b32 v10, 0x7f800000, v11 :: v_dual_fmac_f32 v7, v2, v9
	s_wait_loadcnt 0x0
	v_dual_fmac_f32 v8, v10, v24 :: v_dual_fmac_f32 v7, v3, v10
	s_cbranch_scc0 .LBB33_14
; %bb.15:
	s_and_b32 s0, s10, 7
	s_wait_alu 0xfffe
	s_cmp_eq_u32 s0, 0
	s_cbranch_scc0 .LBB33_18
	s_branch .LBB33_20
.LBB33_16:
	v_mov_b32_e32 v0, 0x7fc00000
	s_branch .LBB33_21
.LBB33_17:
	v_dual_mov_b32 v7, 0 :: v_dual_mov_b32 v8, 0
	s_mov_b32 s12, 0
	s_and_b32 s0, s10, 7
	s_wait_alu 0xfffe
	s_cmp_eq_u32 s0, 0
	s_cbranch_scc1 .LBB33_20
.LBB33_18:
	v_lshl_or_b32 v0, s12, 8, v0
	v_mov_b32_e32 v1, 0
	s_lshl_b32 s1, s12, 3
	s_wait_alu 0xfffe
	s_add_co_i32 s1, s1, 0
.LBB33_19:                              ; =>This Inner Loop Header: Depth=1
	s_delay_alu instid0(VALU_DEP_1) | instskip(SKIP_2) | instid1(VALU_DEP_2)
	v_lshlrev_b64_e32 v[2:3], 2, v[0:1]
	s_add_co_i32 s0, s0, -1
	v_add_nc_u32_e32 v0, 0x100, v0
	v_add_co_u32 v2, vcc_lo, s6, v2
	s_wait_alu 0xfffd
	s_delay_alu instid0(VALU_DEP_3)
	v_add_co_ci_u32_e64 v3, null, s7, v3, vcc_lo
	global_load_b32 v4, v[2:3], off
	s_wait_alu 0xfffe
	v_mov_b32_e32 v2, s1
	s_add_co_i32 s1, s1, 8
	s_cmp_lg_u32 s0, 0
	ds_load_b64 v[2:3], v2
	s_wait_dscnt 0x0
	v_sub_f32_e32 v2, v2, v6
	s_delay_alu instid0(VALU_DEP_1) | instskip(SKIP_1) | instid1(VALU_DEP_2)
	v_mul_f32_e32 v9, 0x3fb8aa3b, v2
	v_cmp_ngt_f32_e32 vcc_lo, 0xc2ce8ed0, v2
	v_xor_b32_e32 v10, 0x80000000, v9
	v_rndne_f32_e32 v11, v9
	s_delay_alu instid0(VALU_DEP_1) | instskip(NEXT) | instid1(VALU_DEP_1)
	v_dual_fmac_f32 v10, 0x3fb8aa3b, v2 :: v_dual_sub_f32 v9, v9, v11
	v_fmac_f32_e32 v10, 0x32a5705f, v2
	s_delay_alu instid0(VALU_DEP_1) | instskip(SKIP_1) | instid1(VALU_DEP_2)
	v_add_f32_e32 v9, v9, v10
	v_cvt_i32_f32_e32 v10, v11
	v_exp_f32_e32 v9, v9
	s_delay_alu instid0(TRANS32_DEP_1) | instskip(SKIP_1) | instid1(VALU_DEP_1)
	v_ldexp_f32 v9, v9, v10
	s_wait_alu 0xfffd
	v_cndmask_b32_e32 v9, 0, v9, vcc_lo
	v_cmp_nlt_f32_e32 vcc_lo, 0x42b17218, v2
	s_wait_alu 0xfffd
	s_delay_alu instid0(VALU_DEP_2) | instskip(SKIP_1) | instid1(VALU_DEP_1)
	v_cndmask_b32_e32 v2, 0x7f800000, v9, vcc_lo
	s_wait_loadcnt 0x0
	v_dual_fmac_f32 v8, v2, v3 :: v_dual_fmac_f32 v7, v4, v2
	s_cbranch_scc1 .LBB33_19
.LBB33_20:
	s_delay_alu instid0(VALU_DEP_1) | instskip(NEXT) | instid1(VALU_DEP_1)
	v_div_scale_f32 v0, null, v8, v8, v7
	v_rcp_f32_e32 v1, v0
	s_delay_alu instid0(TRANS32_DEP_1) | instskip(NEXT) | instid1(VALU_DEP_1)
	v_fma_f32 v2, -v0, v1, 1.0
	v_fmac_f32_e32 v1, v2, v1
	v_div_scale_f32 v2, vcc_lo, v7, v8, v7
	s_delay_alu instid0(VALU_DEP_1) | instskip(NEXT) | instid1(VALU_DEP_1)
	v_mul_f32_e32 v3, v2, v1
	v_fma_f32 v4, -v0, v3, v2
	s_delay_alu instid0(VALU_DEP_1) | instskip(NEXT) | instid1(VALU_DEP_1)
	v_fmac_f32_e32 v3, v4, v1
	v_fma_f32 v0, -v0, v3, v2
	s_wait_alu 0xfffd
	s_delay_alu instid0(VALU_DEP_1) | instskip(NEXT) | instid1(VALU_DEP_1)
	v_div_fmas_f32 v0, v0, v1, v3
	v_div_fixup_f32 v0, v0, v8, v7
.LBB33_21:
	s_lshl_b32 s0, s11, 8
	s_wait_alu 0xfffe
	s_ashr_i32 s1, s0, 31
	s_wait_alu 0xfffe
	s_lshl_b64 s[0:1], s[0:1], 2
	s_wait_alu 0xfffe
	s_add_nc_u64 s[0:1], s[8:9], s[0:1]
	global_store_b32 v5, v0, s[0:1]
	s_endpgm
	.section	.rodata,"a",@progbits
	.p2align	6, 0x0
	.amdhsa_kernel _ZL26flash_attn_combine_resultsILi256EEvPKfPK15HIP_vector_typeIfLj2EEPfi
		.amdhsa_group_segment_fixed_size 0
		.amdhsa_private_segment_fixed_size 0
		.amdhsa_kernarg_size 288
		.amdhsa_user_sgpr_count 2
		.amdhsa_user_sgpr_dispatch_ptr 0
		.amdhsa_user_sgpr_queue_ptr 0
		.amdhsa_user_sgpr_kernarg_segment_ptr 1
		.amdhsa_user_sgpr_dispatch_id 0
		.amdhsa_user_sgpr_private_segment_size 0
		.amdhsa_wavefront_size32 1
		.amdhsa_uses_dynamic_stack 0
		.amdhsa_enable_private_segment 0
		.amdhsa_system_sgpr_workgroup_id_x 1
		.amdhsa_system_sgpr_workgroup_id_y 1
		.amdhsa_system_sgpr_workgroup_id_z 1
		.amdhsa_system_sgpr_workgroup_info 0
		.amdhsa_system_vgpr_workitem_id 0
		.amdhsa_next_free_vgpr 55
		.amdhsa_next_free_sgpr 16
		.amdhsa_reserve_vcc 1
		.amdhsa_float_round_mode_32 0
		.amdhsa_float_round_mode_16_64 0
		.amdhsa_float_denorm_mode_32 3
		.amdhsa_float_denorm_mode_16_64 3
		.amdhsa_fp16_overflow 0
		.amdhsa_workgroup_processor_mode 1
		.amdhsa_memory_ordered 1
		.amdhsa_forward_progress 1
		.amdhsa_inst_pref_size 21
		.amdhsa_round_robin_scheduling 0
		.amdhsa_exception_fp_ieee_invalid_op 0
		.amdhsa_exception_fp_denorm_src 0
		.amdhsa_exception_fp_ieee_div_zero 0
		.amdhsa_exception_fp_ieee_overflow 0
		.amdhsa_exception_fp_ieee_underflow 0
		.amdhsa_exception_fp_ieee_inexact 0
		.amdhsa_exception_int_div_zero 0
	.end_amdhsa_kernel
	.section	.text._ZL26flash_attn_combine_resultsILi256EEvPKfPK15HIP_vector_typeIfLj2EEPfi,"axG",@progbits,_ZL26flash_attn_combine_resultsILi256EEvPKfPK15HIP_vector_typeIfLj2EEPfi,comdat
.Lfunc_end33:
	.size	_ZL26flash_attn_combine_resultsILi256EEvPKfPK15HIP_vector_typeIfLj2EEPfi, .Lfunc_end33-_ZL26flash_attn_combine_resultsILi256EEvPKfPK15HIP_vector_typeIfLj2EEPfi
                                        ; -- End function
	.set _ZL26flash_attn_combine_resultsILi256EEvPKfPK15HIP_vector_typeIfLj2EEPfi.num_vgpr, 55
	.set _ZL26flash_attn_combine_resultsILi256EEvPKfPK15HIP_vector_typeIfLj2EEPfi.num_agpr, 0
	.set _ZL26flash_attn_combine_resultsILi256EEvPKfPK15HIP_vector_typeIfLj2EEPfi.numbered_sgpr, 16
	.set _ZL26flash_attn_combine_resultsILi256EEvPKfPK15HIP_vector_typeIfLj2EEPfi.num_named_barrier, 0
	.set _ZL26flash_attn_combine_resultsILi256EEvPKfPK15HIP_vector_typeIfLj2EEPfi.private_seg_size, 0
	.set _ZL26flash_attn_combine_resultsILi256EEvPKfPK15HIP_vector_typeIfLj2EEPfi.uses_vcc, 1
	.set _ZL26flash_attn_combine_resultsILi256EEvPKfPK15HIP_vector_typeIfLj2EEPfi.uses_flat_scratch, 0
	.set _ZL26flash_attn_combine_resultsILi256EEvPKfPK15HIP_vector_typeIfLj2EEPfi.has_dyn_sized_stack, 0
	.set _ZL26flash_attn_combine_resultsILi256EEvPKfPK15HIP_vector_typeIfLj2EEPfi.has_recursion, 0
	.set _ZL26flash_attn_combine_resultsILi256EEvPKfPK15HIP_vector_typeIfLj2EEPfi.has_indirect_call, 0
	.section	.AMDGPU.csdata,"",@progbits
; Kernel info:
; codeLenInByte = 2564
; TotalNumSgprs: 18
; NumVgprs: 55
; ScratchSize: 0
; MemoryBound: 0
; FloatMode: 240
; IeeeMode: 1
; LDSByteSize: 0 bytes/workgroup (compile time only)
; SGPRBlocks: 0
; VGPRBlocks: 6
; NumSGPRsForWavesPerEU: 18
; NumVGPRsForWavesPerEU: 55
; Occupancy: 16
; WaveLimiterHint : 0
; COMPUTE_PGM_RSRC2:SCRATCH_EN: 0
; COMPUTE_PGM_RSRC2:USER_SGPR: 2
; COMPUTE_PGM_RSRC2:TRAP_HANDLER: 0
; COMPUTE_PGM_RSRC2:TGID_X_EN: 1
; COMPUTE_PGM_RSRC2:TGID_Y_EN: 1
; COMPUTE_PGM_RSRC2:TGID_Z_EN: 1
; COMPUTE_PGM_RSRC2:TIDIG_COMP_CNT: 0
	.text
	.p2alignl 7, 3214868480
	.fill 96, 4, 3214868480
	.section	.AMDGPU.gpr_maximums,"",@progbits
	.set amdgpu.max_num_vgpr, 40
	.set amdgpu.max_num_agpr, 0
	.set amdgpu.max_num_sgpr, 34
	.text
	.type	.str.3,@object                  ; @.str.3
	.section	.rodata.str1.1,"aMS",@progbits,1
.str.3:
	.asciz	"/root/src/amdgpu-assembly/repos/ggml-org__llama.cpp/ggml/src/ggml-cuda/template-instances/../fattn-mma-f16.cuh"
	.size	.str.3, 111

	.type	__FUNCTION__._ZL18flash_attn_ext_f16ILi64ELi64ELi8ELi2ELb1ELb0EEvPKcS1_S1_S1_S1_PKiPfP15HIP_vector_typeIfLj2EEffffjfiS5_IjLj3EEiiiiiiiiiiiliiliiiiil,@object ; @__FUNCTION__._ZL18flash_attn_ext_f16ILi64ELi64ELi8ELi2ELb1ELb0EEvPKcS1_S1_S1_S1_PKiPfP15HIP_vector_typeIfLj2EEffffjfiS5_IjLj3EEiiiiiiiiiiiliiliiiiil
__FUNCTION__._ZL18flash_attn_ext_f16ILi64ELi64ELi8ELi2ELb1ELb0EEvPKcS1_S1_S1_S1_PKiPfP15HIP_vector_typeIfLj2EEffffjfiS5_IjLj3EEiiiiiiiiiiiliiliiiiil:
	.asciz	"flash_attn_ext_f16"
	.size	__FUNCTION__._ZL18flash_attn_ext_f16ILi64ELi64ELi8ELi2ELb1ELb0EEvPKcS1_S1_S1_S1_PKiPfP15HIP_vector_typeIfLj2EEffffjfiS5_IjLj3EEiiiiiiiiiiiliiliiiiil, 19

	.type	.str.5,@object                  ; @.str.5
.str.5:
	.asciz	"%s:%d: ERROR: HIP kernel %s has no device code compatible with HIP arch %d.\n"
	.size	.str.5, 77

	.type	__hip_cuid_b101bdb809d359e1,@object ; @__hip_cuid_b101bdb809d359e1
	.section	.bss,"aw",@nobits
	.globl	__hip_cuid_b101bdb809d359e1
__hip_cuid_b101bdb809d359e1:
	.byte	0                               ; 0x0
	.size	__hip_cuid_b101bdb809d359e1, 1

	.ident	"AMD clang version 22.0.0git (https://github.com/RadeonOpenCompute/llvm-project roc-7.2.4 26084 f58b06dce1f9c15707c5f808fd002e18c2accf7e)"
	.section	".note.GNU-stack","",@progbits
	.addrsig
	.addrsig_sym __hip_cuid_b101bdb809d359e1
	.amdgpu_metadata
---
amdhsa.kernels:
  - .args:
      - .address_space:  global
        .offset:         0
        .size:           8
        .value_kind:     global_buffer
      - .address_space:  global
        .offset:         8
        .size:           8
        .value_kind:     global_buffer
      - .address_space:  global
        .offset:         16
        .size:           8
        .value_kind:     global_buffer
      - .address_space:  global
        .offset:         24
        .size:           8
        .value_kind:     global_buffer
      - .address_space:  global
        .offset:         32
        .size:           8
        .value_kind:     global_buffer
      - .address_space:  global
        .offset:         40
        .size:           8
        .value_kind:     global_buffer
      - .address_space:  global
        .offset:         48
        .size:           8
        .value_kind:     global_buffer
      - .address_space:  global
        .offset:         56
        .size:           8
        .value_kind:     global_buffer
      - .offset:         64
        .size:           4
        .value_kind:     by_value
      - .offset:         68
        .size:           4
        .value_kind:     by_value
      - .offset:         72
        .size:           4
        .value_kind:     by_value
      - .offset:         76
        .size:           4
        .value_kind:     by_value
      - .offset:         80
        .size:           4
        .value_kind:     by_value
      - .offset:         84
        .size:           4
        .value_kind:     by_value
      - .offset:         88
        .size:           4
        .value_kind:     by_value
      - .offset:         92
        .size:           12
        .value_kind:     by_value
      - .offset:         104
        .size:           4
        .value_kind:     by_value
      - .offset:         108
        .size:           4
        .value_kind:     by_value
      - .offset:         112
        .size:           4
        .value_kind:     by_value
      - .offset:         116
        .size:           4
        .value_kind:     by_value
      - .offset:         120
        .size:           4
        .value_kind:     by_value
      - .offset:         124
        .size:           4
        .value_kind:     by_value
      - .offset:         128
        .size:           4
        .value_kind:     by_value
      - .offset:         132
        .size:           4
        .value_kind:     by_value
      - .offset:         136
        .size:           4
        .value_kind:     by_value
      - .offset:         140
        .size:           4
        .value_kind:     by_value
      - .offset:         144
        .size:           4
        .value_kind:     by_value
      - .offset:         152
        .size:           8
        .value_kind:     by_value
      - .offset:         160
        .size:           4
        .value_kind:     by_value
      - .offset:         164
        .size:           4
        .value_kind:     by_value
      - .offset:         168
        .size:           8
        .value_kind:     by_value
      - .offset:         176
        .size:           4
        .value_kind:     by_value
      - .offset:         180
        .size:           4
        .value_kind:     by_value
      - .offset:         184
        .size:           4
        .value_kind:     by_value
      - .offset:         188
        .size:           4
        .value_kind:     by_value
      - .offset:         192
        .size:           4
        .value_kind:     by_value
      - .offset:         200
        .size:           8
        .value_kind:     by_value
      - .offset:         208
        .size:           4
        .value_kind:     hidden_block_count_x
      - .offset:         212
        .size:           4
        .value_kind:     hidden_block_count_y
      - .offset:         216
        .size:           4
        .value_kind:     hidden_block_count_z
      - .offset:         220
        .size:           2
        .value_kind:     hidden_group_size_x
      - .offset:         222
        .size:           2
        .value_kind:     hidden_group_size_y
      - .offset:         224
        .size:           2
        .value_kind:     hidden_group_size_z
      - .offset:         226
        .size:           2
        .value_kind:     hidden_remainder_x
      - .offset:         228
        .size:           2
        .value_kind:     hidden_remainder_y
      - .offset:         230
        .size:           2
        .value_kind:     hidden_remainder_z
      - .offset:         248
        .size:           8
        .value_kind:     hidden_global_offset_x
      - .offset:         256
        .size:           8
        .value_kind:     hidden_global_offset_y
      - .offset:         264
        .size:           8
        .value_kind:     hidden_global_offset_z
      - .offset:         272
        .size:           2
        .value_kind:     hidden_grid_dims
      - .offset:         328
        .size:           4
        .value_kind:     hidden_dynamic_lds_size
    .group_segment_fixed_size: 0
    .kernarg_segment_align: 8
    .kernarg_segment_size: 464
    .language:       OpenCL C
    .language_version:
      - 2
      - 0
    .max_flat_workgroup_size: 128
    .name:           _ZL18flash_attn_ext_f16ILi64ELi64ELi8ELi2ELb0ELb0EEvPKcS1_S1_S1_S1_PKiPfP15HIP_vector_typeIfLj2EEffffjfiS5_IjLj3EEiiiiiiiiiiiliiliiiiil
    .private_segment_fixed_size: 0
    .sgpr_count:     107
    .sgpr_spill_count: 10
    .symbol:         _ZL18flash_attn_ext_f16ILi64ELi64ELi8ELi2ELb0ELb0EEvPKcS1_S1_S1_S1_PKiPfP15HIP_vector_typeIfLj2EEffffjfiS5_IjLj3EEiiiiiiiiiiiliiliiiiil.kd
    .uniform_work_group_size: 1
    .uses_dynamic_stack: false
    .vgpr_count:     208
    .vgpr_spill_count: 0
    .wavefront_size: 32
    .workgroup_processor_mode: 1
  - .args:
      - .address_space:  global
        .offset:         0
        .size:           8
        .value_kind:     global_buffer
      - .address_space:  global
        .offset:         8
        .size:           8
        .value_kind:     global_buffer
      - .address_space:  global
        .offset:         16
        .size:           8
        .value_kind:     global_buffer
      - .address_space:  global
        .offset:         24
        .size:           8
        .value_kind:     global_buffer
      - .address_space:  global
        .offset:         32
        .size:           8
        .value_kind:     global_buffer
      - .address_space:  global
        .offset:         40
        .size:           8
        .value_kind:     global_buffer
      - .address_space:  global
        .offset:         48
        .size:           8
        .value_kind:     global_buffer
      - .address_space:  global
        .offset:         56
        .size:           8
        .value_kind:     global_buffer
      - .offset:         64
        .size:           4
        .value_kind:     by_value
      - .offset:         68
        .size:           4
        .value_kind:     by_value
      - .offset:         72
        .size:           4
        .value_kind:     by_value
      - .offset:         76
        .size:           4
        .value_kind:     by_value
      - .offset:         80
        .size:           4
        .value_kind:     by_value
      - .offset:         84
        .size:           4
        .value_kind:     by_value
      - .offset:         88
        .size:           4
        .value_kind:     by_value
      - .offset:         92
        .size:           12
        .value_kind:     by_value
      - .offset:         104
        .size:           4
        .value_kind:     by_value
      - .offset:         108
        .size:           4
        .value_kind:     by_value
      - .offset:         112
        .size:           4
        .value_kind:     by_value
      - .offset:         116
        .size:           4
        .value_kind:     by_value
      - .offset:         120
        .size:           4
        .value_kind:     by_value
      - .offset:         124
        .size:           4
        .value_kind:     by_value
      - .offset:         128
        .size:           4
        .value_kind:     by_value
      - .offset:         132
        .size:           4
        .value_kind:     by_value
      - .offset:         136
        .size:           4
        .value_kind:     by_value
      - .offset:         140
        .size:           4
        .value_kind:     by_value
      - .offset:         144
        .size:           4
        .value_kind:     by_value
      - .offset:         152
        .size:           8
        .value_kind:     by_value
      - .offset:         160
        .size:           4
        .value_kind:     by_value
      - .offset:         164
        .size:           4
        .value_kind:     by_value
      - .offset:         168
        .size:           8
        .value_kind:     by_value
      - .offset:         176
        .size:           4
        .value_kind:     by_value
      - .offset:         180
        .size:           4
        .value_kind:     by_value
      - .offset:         184
        .size:           4
        .value_kind:     by_value
      - .offset:         188
        .size:           4
        .value_kind:     by_value
      - .offset:         192
        .size:           4
        .value_kind:     by_value
      - .offset:         200
        .size:           8
        .value_kind:     by_value
      - .offset:         208
        .size:           4
        .value_kind:     hidden_block_count_x
      - .offset:         212
        .size:           4
        .value_kind:     hidden_block_count_y
      - .offset:         216
        .size:           4
        .value_kind:     hidden_block_count_z
      - .offset:         220
        .size:           2
        .value_kind:     hidden_group_size_x
      - .offset:         222
        .size:           2
        .value_kind:     hidden_group_size_y
      - .offset:         224
        .size:           2
        .value_kind:     hidden_group_size_z
      - .offset:         226
        .size:           2
        .value_kind:     hidden_remainder_x
      - .offset:         228
        .size:           2
        .value_kind:     hidden_remainder_y
      - .offset:         230
        .size:           2
        .value_kind:     hidden_remainder_z
      - .offset:         248
        .size:           8
        .value_kind:     hidden_global_offset_x
      - .offset:         256
        .size:           8
        .value_kind:     hidden_global_offset_y
      - .offset:         264
        .size:           8
        .value_kind:     hidden_global_offset_z
      - .offset:         272
        .size:           2
        .value_kind:     hidden_grid_dims
      - .offset:         288
        .size:           8
        .value_kind:     hidden_hostcall_buffer
    .group_segment_fixed_size: 0
    .kernarg_segment_align: 8
    .kernarg_segment_size: 464
    .language:       OpenCL C
    .language_version:
      - 2
      - 0
    .max_flat_workgroup_size: 128
    .name:           _ZL18flash_attn_ext_f16ILi64ELi64ELi8ELi2ELb1ELb0EEvPKcS1_S1_S1_S1_PKiPfP15HIP_vector_typeIfLj2EEffffjfiS5_IjLj3EEiiiiiiiiiiiliiliiiiil
    .private_segment_fixed_size: 16
    .sgpr_count:     36
    .sgpr_spill_count: 0
    .symbol:         _ZL18flash_attn_ext_f16ILi64ELi64ELi8ELi2ELb1ELb0EEvPKcS1_S1_S1_S1_PKiPfP15HIP_vector_typeIfLj2EEffffjfiS5_IjLj3EEiiiiiiiiiiiliiliiiiil.kd
    .uniform_work_group_size: 1
    .uses_dynamic_stack: false
    .vgpr_count:     40
    .vgpr_spill_count: 0
    .wavefront_size: 32
    .workgroup_processor_mode: 1
  - .args:
      - .actual_access:  read_only
        .address_space:  global
        .offset:         0
        .size:           8
        .value_kind:     global_buffer
      - .actual_access:  write_only
        .address_space:  global
        .offset:         8
        .size:           8
        .value_kind:     global_buffer
      - .offset:         16
        .size:           4
        .value_kind:     by_value
      - .offset:         20
        .size:           4
        .value_kind:     by_value
      - .offset:         24
        .size:           4
        .value_kind:     by_value
      - .offset:         32
        .size:           4
        .value_kind:     hidden_block_count_x
      - .offset:         36
        .size:           4
        .value_kind:     hidden_block_count_y
      - .offset:         40
        .size:           4
        .value_kind:     hidden_block_count_z
      - .offset:         44
        .size:           2
        .value_kind:     hidden_group_size_x
      - .offset:         46
        .size:           2
        .value_kind:     hidden_group_size_y
      - .offset:         48
        .size:           2
        .value_kind:     hidden_group_size_z
      - .offset:         50
        .size:           2
        .value_kind:     hidden_remainder_x
      - .offset:         52
        .size:           2
        .value_kind:     hidden_remainder_y
      - .offset:         54
        .size:           2
        .value_kind:     hidden_remainder_z
      - .offset:         72
        .size:           8
        .value_kind:     hidden_global_offset_x
      - .offset:         80
        .size:           8
        .value_kind:     hidden_global_offset_y
      - .offset:         88
        .size:           8
        .value_kind:     hidden_global_offset_z
      - .offset:         96
        .size:           2
        .value_kind:     hidden_grid_dims
    .group_segment_fixed_size: 128
    .kernarg_segment_align: 8
    .kernarg_segment_size: 288
    .language:       OpenCL C
    .language_version:
      - 2
      - 0
    .max_flat_workgroup_size: 128
    .name:           _ZL25flash_attn_mask_to_KV_maxILi8EEvPK7__half2Piiii
    .private_segment_fixed_size: 0
    .sgpr_count:     27
    .sgpr_spill_count: 0
    .symbol:         _ZL25flash_attn_mask_to_KV_maxILi8EEvPK7__half2Piiii.kd
    .uniform_work_group_size: 1
    .uses_dynamic_stack: false
    .vgpr_count:     9
    .vgpr_spill_count: 0
    .wavefront_size: 32
    .workgroup_processor_mode: 1
  - .args:
      - .address_space:  global
        .offset:         0
        .size:           8
        .value_kind:     global_buffer
      - .address_space:  global
        .offset:         8
        .size:           8
        .value_kind:     global_buffer
      - .offset:         16
        .size:           4
        .value_kind:     by_value
      - .offset:         20
        .size:           4
        .value_kind:     by_value
      - .offset:         24
        .size:           4
        .value_kind:     by_value
      - .offset:         28
        .size:           4
        .value_kind:     by_value
      - .offset:         32
        .size:           4
        .value_kind:     by_value
      - .offset:         36
        .size:           4
        .value_kind:     by_value
      - .offset:         40
        .size:           12
        .value_kind:     by_value
      - .offset:         52
        .size:           12
        .value_kind:     by_value
      - .offset:         64
        .size:           12
        .value_kind:     by_value
    .group_segment_fixed_size: 0
    .kernarg_segment_align: 8
    .kernarg_segment_size: 76
    .language:       OpenCL C
    .language_version:
      - 2
      - 0
    .max_flat_workgroup_size: 64
    .name:           _ZL33flash_attn_stream_k_fixup_uniformILi64ELi8ELi2EEvPfPK15HIP_vector_typeIfLj2EEiiiiiiS1_IjLj3EES5_S5_
    .private_segment_fixed_size: 0
    .sgpr_count:     18
    .sgpr_spill_count: 0
    .symbol:         _ZL33flash_attn_stream_k_fixup_uniformILi64ELi8ELi2EEvPfPK15HIP_vector_typeIfLj2EEiiiiiiS1_IjLj3EES5_S5_.kd
    .uniform_work_group_size: 1
    .uses_dynamic_stack: false
    .vgpr_count:     11
    .vgpr_spill_count: 0
    .wavefront_size: 32
    .workgroup_processor_mode: 1
  - .args:
      - .address_space:  global
        .offset:         0
        .size:           8
        .value_kind:     global_buffer
      - .address_space:  global
        .offset:         8
        .size:           8
        .value_kind:     global_buffer
      - .offset:         16
        .size:           4
        .value_kind:     by_value
      - .offset:         20
        .size:           4
        .value_kind:     by_value
      - .offset:         24
        .size:           4
        .value_kind:     by_value
      - .offset:         28
        .size:           4
        .value_kind:     by_value
      - .offset:         32
        .size:           12
        .value_kind:     by_value
      - .offset:         44
        .size:           12
        .value_kind:     by_value
      - .offset:         56
        .size:           12
        .value_kind:     by_value
      - .offset:         68
        .size:           12
        .value_kind:     by_value
      - .offset:         80
        .size:           4
        .value_kind:     hidden_block_count_x
      - .offset:         84
        .size:           4
        .value_kind:     hidden_block_count_y
      - .offset:         88
        .size:           4
        .value_kind:     hidden_block_count_z
      - .offset:         92
        .size:           2
        .value_kind:     hidden_group_size_x
      - .offset:         94
        .size:           2
        .value_kind:     hidden_group_size_y
      - .offset:         96
        .size:           2
        .value_kind:     hidden_group_size_z
      - .offset:         98
        .size:           2
        .value_kind:     hidden_remainder_x
      - .offset:         100
        .size:           2
        .value_kind:     hidden_remainder_y
      - .offset:         102
        .size:           2
        .value_kind:     hidden_remainder_z
      - .offset:         120
        .size:           8
        .value_kind:     hidden_global_offset_x
      - .offset:         128
        .size:           8
        .value_kind:     hidden_global_offset_y
      - .offset:         136
        .size:           8
        .value_kind:     hidden_global_offset_z
      - .offset:         144
        .size:           2
        .value_kind:     hidden_grid_dims
    .group_segment_fixed_size: 0
    .kernarg_segment_align: 8
    .kernarg_segment_size: 336
    .language:       OpenCL C
    .language_version:
      - 2
      - 0
    .max_flat_workgroup_size: 64
    .name:           _ZL33flash_attn_stream_k_fixup_generalILi64ELi8ELi2EEvPfPK15HIP_vector_typeIfLj2EEiiiiS1_IjLj3EES5_S5_S5_
    .private_segment_fixed_size: 0
    .sgpr_count:     46
    .sgpr_spill_count: 0
    .symbol:         _ZL33flash_attn_stream_k_fixup_generalILi64ELi8ELi2EEvPfPK15HIP_vector_typeIfLj2EEiiiiS1_IjLj3EES5_S5_S5_.kd
    .uniform_work_group_size: 1
    .uses_dynamic_stack: false
    .vgpr_count:     9
    .vgpr_spill_count: 0
    .wavefront_size: 32
    .workgroup_processor_mode: 1
  - .args:
      - .address_space:  global
        .offset:         0
        .size:           8
        .value_kind:     global_buffer
      - .address_space:  global
        .offset:         8
        .size:           8
        .value_kind:     global_buffer
      - .address_space:  global
        .offset:         16
        .size:           8
        .value_kind:     global_buffer
      - .offset:         24
        .size:           4
        .value_kind:     by_value
      - .offset:         32
        .size:           4
        .value_kind:     hidden_block_count_x
      - .offset:         36
        .size:           4
        .value_kind:     hidden_block_count_y
      - .offset:         40
        .size:           4
        .value_kind:     hidden_block_count_z
      - .offset:         44
        .size:           2
        .value_kind:     hidden_group_size_x
      - .offset:         46
        .size:           2
        .value_kind:     hidden_group_size_y
      - .offset:         48
        .size:           2
        .value_kind:     hidden_group_size_z
      - .offset:         50
        .size:           2
        .value_kind:     hidden_remainder_x
      - .offset:         52
        .size:           2
        .value_kind:     hidden_remainder_y
      - .offset:         54
        .size:           2
        .value_kind:     hidden_remainder_z
      - .offset:         72
        .size:           8
        .value_kind:     hidden_global_offset_x
      - .offset:         80
        .size:           8
        .value_kind:     hidden_global_offset_y
      - .offset:         88
        .size:           8
        .value_kind:     hidden_global_offset_z
      - .offset:         96
        .size:           2
        .value_kind:     hidden_grid_dims
      - .offset:         152
        .size:           4
        .value_kind:     hidden_dynamic_lds_size
    .group_segment_fixed_size: 0
    .kernarg_segment_align: 8
    .kernarg_segment_size: 288
    .language:       OpenCL C
    .language_version:
      - 2
      - 0
    .max_flat_workgroup_size: 64
    .name:           _ZL26flash_attn_combine_resultsILi64EEvPKfPK15HIP_vector_typeIfLj2EEPfi
    .private_segment_fixed_size: 0
    .sgpr_count:     18
    .sgpr_spill_count: 0
    .symbol:         _ZL26flash_attn_combine_resultsILi64EEvPKfPK15HIP_vector_typeIfLj2EEPfi.kd
    .uniform_work_group_size: 1
    .uses_dynamic_stack: false
    .vgpr_count:     55
    .vgpr_spill_count: 0
    .wavefront_size: 32
    .workgroup_processor_mode: 1
  - .args:
      - .address_space:  global
        .offset:         0
        .size:           8
        .value_kind:     global_buffer
      - .address_space:  global
        .offset:         8
        .size:           8
        .value_kind:     global_buffer
      - .address_space:  global
        .offset:         16
        .size:           8
        .value_kind:     global_buffer
      - .address_space:  global
        .offset:         24
        .size:           8
        .value_kind:     global_buffer
      - .address_space:  global
        .offset:         32
        .size:           8
        .value_kind:     global_buffer
      - .address_space:  global
        .offset:         40
        .size:           8
        .value_kind:     global_buffer
      - .address_space:  global
        .offset:         48
        .size:           8
        .value_kind:     global_buffer
      - .address_space:  global
        .offset:         56
        .size:           8
        .value_kind:     global_buffer
      - .offset:         64
        .size:           4
        .value_kind:     by_value
      - .offset:         68
        .size:           4
        .value_kind:     by_value
      - .offset:         72
        .size:           4
        .value_kind:     by_value
      - .offset:         76
        .size:           4
        .value_kind:     by_value
      - .offset:         80
        .size:           4
        .value_kind:     by_value
      - .offset:         84
        .size:           4
        .value_kind:     by_value
      - .offset:         88
        .size:           4
        .value_kind:     by_value
      - .offset:         92
        .size:           12
        .value_kind:     by_value
      - .offset:         104
        .size:           4
        .value_kind:     by_value
      - .offset:         108
        .size:           4
        .value_kind:     by_value
      - .offset:         112
        .size:           4
        .value_kind:     by_value
      - .offset:         116
        .size:           4
        .value_kind:     by_value
      - .offset:         120
        .size:           4
        .value_kind:     by_value
      - .offset:         124
        .size:           4
        .value_kind:     by_value
      - .offset:         128
        .size:           4
        .value_kind:     by_value
      - .offset:         132
        .size:           4
        .value_kind:     by_value
      - .offset:         136
        .size:           4
        .value_kind:     by_value
      - .offset:         140
        .size:           4
        .value_kind:     by_value
      - .offset:         144
        .size:           4
        .value_kind:     by_value
      - .offset:         152
        .size:           8
        .value_kind:     by_value
      - .offset:         160
        .size:           4
        .value_kind:     by_value
      - .offset:         164
        .size:           4
        .value_kind:     by_value
      - .offset:         168
        .size:           8
        .value_kind:     by_value
      - .offset:         176
        .size:           4
        .value_kind:     by_value
      - .offset:         180
        .size:           4
        .value_kind:     by_value
      - .offset:         184
        .size:           4
        .value_kind:     by_value
      - .offset:         188
        .size:           4
        .value_kind:     by_value
      - .offset:         192
        .size:           4
        .value_kind:     by_value
      - .offset:         200
        .size:           8
        .value_kind:     by_value
      - .offset:         208
        .size:           4
        .value_kind:     hidden_block_count_x
      - .offset:         212
        .size:           4
        .value_kind:     hidden_block_count_y
      - .offset:         216
        .size:           4
        .value_kind:     hidden_block_count_z
      - .offset:         220
        .size:           2
        .value_kind:     hidden_group_size_x
      - .offset:         222
        .size:           2
        .value_kind:     hidden_group_size_y
      - .offset:         224
        .size:           2
        .value_kind:     hidden_group_size_z
      - .offset:         226
        .size:           2
        .value_kind:     hidden_remainder_x
      - .offset:         228
        .size:           2
        .value_kind:     hidden_remainder_y
      - .offset:         230
        .size:           2
        .value_kind:     hidden_remainder_z
      - .offset:         248
        .size:           8
        .value_kind:     hidden_global_offset_x
      - .offset:         256
        .size:           8
        .value_kind:     hidden_global_offset_y
      - .offset:         264
        .size:           8
        .value_kind:     hidden_global_offset_z
      - .offset:         272
        .size:           2
        .value_kind:     hidden_grid_dims
      - .offset:         328
        .size:           4
        .value_kind:     hidden_dynamic_lds_size
    .group_segment_fixed_size: 0
    .kernarg_segment_align: 8
    .kernarg_segment_size: 464
    .language:       OpenCL C
    .language_version:
      - 2
      - 0
    .max_flat_workgroup_size: 64
    .name:           _ZL18flash_attn_ext_f16ILi80ELi80ELi8ELi2ELb0ELb0EEvPKcS1_S1_S1_S1_PKiPfP15HIP_vector_typeIfLj2EEffffjfiS5_IjLj3EEiiiiiiiiiiiliiliiiiil
    .private_segment_fixed_size: 12
    .sgpr_count:     107
    .sgpr_spill_count: 16
    .symbol:         _ZL18flash_attn_ext_f16ILi80ELi80ELi8ELi2ELb0ELb0EEvPKcS1_S1_S1_S1_PKiPfP15HIP_vector_typeIfLj2EEffffjfiS5_IjLj3EEiiiiiiiiiiiliiliiiiil.kd
    .uniform_work_group_size: 1
    .uses_dynamic_stack: false
    .vgpr_count:     256
    .vgpr_spill_count: 2
    .wavefront_size: 32
    .workgroup_processor_mode: 1
  - .args:
      - .address_space:  global
        .offset:         0
        .size:           8
        .value_kind:     global_buffer
      - .address_space:  global
        .offset:         8
        .size:           8
        .value_kind:     global_buffer
      - .address_space:  global
        .offset:         16
        .size:           8
        .value_kind:     global_buffer
      - .address_space:  global
        .offset:         24
        .size:           8
        .value_kind:     global_buffer
      - .address_space:  global
        .offset:         32
        .size:           8
        .value_kind:     global_buffer
      - .address_space:  global
        .offset:         40
        .size:           8
        .value_kind:     global_buffer
      - .address_space:  global
        .offset:         48
        .size:           8
        .value_kind:     global_buffer
      - .address_space:  global
        .offset:         56
        .size:           8
        .value_kind:     global_buffer
      - .offset:         64
        .size:           4
        .value_kind:     by_value
      - .offset:         68
        .size:           4
        .value_kind:     by_value
      - .offset:         72
        .size:           4
        .value_kind:     by_value
      - .offset:         76
        .size:           4
        .value_kind:     by_value
      - .offset:         80
        .size:           4
        .value_kind:     by_value
      - .offset:         84
        .size:           4
        .value_kind:     by_value
      - .offset:         88
        .size:           4
        .value_kind:     by_value
      - .offset:         92
        .size:           12
        .value_kind:     by_value
      - .offset:         104
        .size:           4
        .value_kind:     by_value
      - .offset:         108
        .size:           4
        .value_kind:     by_value
      - .offset:         112
        .size:           4
        .value_kind:     by_value
      - .offset:         116
        .size:           4
        .value_kind:     by_value
      - .offset:         120
        .size:           4
        .value_kind:     by_value
      - .offset:         124
        .size:           4
        .value_kind:     by_value
      - .offset:         128
        .size:           4
        .value_kind:     by_value
      - .offset:         132
        .size:           4
        .value_kind:     by_value
      - .offset:         136
        .size:           4
        .value_kind:     by_value
      - .offset:         140
        .size:           4
        .value_kind:     by_value
      - .offset:         144
        .size:           4
        .value_kind:     by_value
      - .offset:         152
        .size:           8
        .value_kind:     by_value
      - .offset:         160
        .size:           4
        .value_kind:     by_value
      - .offset:         164
        .size:           4
        .value_kind:     by_value
      - .offset:         168
        .size:           8
        .value_kind:     by_value
      - .offset:         176
        .size:           4
        .value_kind:     by_value
      - .offset:         180
        .size:           4
        .value_kind:     by_value
      - .offset:         184
        .size:           4
        .value_kind:     by_value
      - .offset:         188
        .size:           4
        .value_kind:     by_value
      - .offset:         192
        .size:           4
        .value_kind:     by_value
      - .offset:         200
        .size:           8
        .value_kind:     by_value
      - .offset:         208
        .size:           4
        .value_kind:     hidden_block_count_x
      - .offset:         212
        .size:           4
        .value_kind:     hidden_block_count_y
      - .offset:         216
        .size:           4
        .value_kind:     hidden_block_count_z
      - .offset:         220
        .size:           2
        .value_kind:     hidden_group_size_x
      - .offset:         222
        .size:           2
        .value_kind:     hidden_group_size_y
      - .offset:         224
        .size:           2
        .value_kind:     hidden_group_size_z
      - .offset:         226
        .size:           2
        .value_kind:     hidden_remainder_x
      - .offset:         228
        .size:           2
        .value_kind:     hidden_remainder_y
      - .offset:         230
        .size:           2
        .value_kind:     hidden_remainder_z
      - .offset:         248
        .size:           8
        .value_kind:     hidden_global_offset_x
      - .offset:         256
        .size:           8
        .value_kind:     hidden_global_offset_y
      - .offset:         264
        .size:           8
        .value_kind:     hidden_global_offset_z
      - .offset:         272
        .size:           2
        .value_kind:     hidden_grid_dims
      - .offset:         288
        .size:           8
        .value_kind:     hidden_hostcall_buffer
    .group_segment_fixed_size: 0
    .kernarg_segment_align: 8
    .kernarg_segment_size: 464
    .language:       OpenCL C
    .language_version:
      - 2
      - 0
    .max_flat_workgroup_size: 64
    .name:           _ZL18flash_attn_ext_f16ILi80ELi80ELi8ELi2ELb1ELb0EEvPKcS1_S1_S1_S1_PKiPfP15HIP_vector_typeIfLj2EEffffjfiS5_IjLj3EEiiiiiiiiiiiliiliiiiil
    .private_segment_fixed_size: 16
    .sgpr_count:     36
    .sgpr_spill_count: 0
    .symbol:         _ZL18flash_attn_ext_f16ILi80ELi80ELi8ELi2ELb1ELb0EEvPKcS1_S1_S1_S1_PKiPfP15HIP_vector_typeIfLj2EEffffjfiS5_IjLj3EEiiiiiiiiiiiliiliiiiil.kd
    .uniform_work_group_size: 1
    .uses_dynamic_stack: false
    .vgpr_count:     40
    .vgpr_spill_count: 0
    .wavefront_size: 32
    .workgroup_processor_mode: 1
  - .args:
      - .address_space:  global
        .offset:         0
        .size:           8
        .value_kind:     global_buffer
      - .address_space:  global
        .offset:         8
        .size:           8
        .value_kind:     global_buffer
      - .offset:         16
        .size:           4
        .value_kind:     by_value
      - .offset:         20
        .size:           4
        .value_kind:     by_value
      - .offset:         24
        .size:           4
        .value_kind:     by_value
      - .offset:         28
        .size:           4
        .value_kind:     by_value
      - .offset:         32
        .size:           4
        .value_kind:     by_value
      - .offset:         36
        .size:           4
        .value_kind:     by_value
      - .offset:         40
        .size:           12
        .value_kind:     by_value
      - .offset:         52
        .size:           12
        .value_kind:     by_value
      - .offset:         64
        .size:           12
        .value_kind:     by_value
    .group_segment_fixed_size: 0
    .kernarg_segment_align: 8
    .kernarg_segment_size: 76
    .language:       OpenCL C
    .language_version:
      - 2
      - 0
    .max_flat_workgroup_size: 80
    .name:           _ZL33flash_attn_stream_k_fixup_uniformILi80ELi8ELi2EEvPfPK15HIP_vector_typeIfLj2EEiiiiiiS1_IjLj3EES5_S5_
    .private_segment_fixed_size: 0
    .sgpr_count:     18
    .sgpr_spill_count: 0
    .symbol:         _ZL33flash_attn_stream_k_fixup_uniformILi80ELi8ELi2EEvPfPK15HIP_vector_typeIfLj2EEiiiiiiS1_IjLj3EES5_S5_.kd
    .uniform_work_group_size: 1
    .uses_dynamic_stack: false
    .vgpr_count:     11
    .vgpr_spill_count: 0
    .wavefront_size: 32
    .workgroup_processor_mode: 1
  - .args:
      - .address_space:  global
        .offset:         0
        .size:           8
        .value_kind:     global_buffer
      - .address_space:  global
        .offset:         8
        .size:           8
        .value_kind:     global_buffer
      - .offset:         16
        .size:           4
        .value_kind:     by_value
      - .offset:         20
        .size:           4
        .value_kind:     by_value
      - .offset:         24
        .size:           4
        .value_kind:     by_value
      - .offset:         28
        .size:           4
        .value_kind:     by_value
      - .offset:         32
        .size:           12
        .value_kind:     by_value
      - .offset:         44
        .size:           12
        .value_kind:     by_value
      - .offset:         56
        .size:           12
        .value_kind:     by_value
      - .offset:         68
        .size:           12
        .value_kind:     by_value
      - .offset:         80
        .size:           4
        .value_kind:     hidden_block_count_x
      - .offset:         84
        .size:           4
        .value_kind:     hidden_block_count_y
      - .offset:         88
        .size:           4
        .value_kind:     hidden_block_count_z
      - .offset:         92
        .size:           2
        .value_kind:     hidden_group_size_x
      - .offset:         94
        .size:           2
        .value_kind:     hidden_group_size_y
      - .offset:         96
        .size:           2
        .value_kind:     hidden_group_size_z
      - .offset:         98
        .size:           2
        .value_kind:     hidden_remainder_x
      - .offset:         100
        .size:           2
        .value_kind:     hidden_remainder_y
      - .offset:         102
        .size:           2
        .value_kind:     hidden_remainder_z
      - .offset:         120
        .size:           8
        .value_kind:     hidden_global_offset_x
      - .offset:         128
        .size:           8
        .value_kind:     hidden_global_offset_y
      - .offset:         136
        .size:           8
        .value_kind:     hidden_global_offset_z
      - .offset:         144
        .size:           2
        .value_kind:     hidden_grid_dims
    .group_segment_fixed_size: 0
    .kernarg_segment_align: 8
    .kernarg_segment_size: 336
    .language:       OpenCL C
    .language_version:
      - 2
      - 0
    .max_flat_workgroup_size: 80
    .name:           _ZL33flash_attn_stream_k_fixup_generalILi80ELi8ELi2EEvPfPK15HIP_vector_typeIfLj2EEiiiiS1_IjLj3EES5_S5_S5_
    .private_segment_fixed_size: 0
    .sgpr_count:     46
    .sgpr_spill_count: 0
    .symbol:         _ZL33flash_attn_stream_k_fixup_generalILi80ELi8ELi2EEvPfPK15HIP_vector_typeIfLj2EEiiiiS1_IjLj3EES5_S5_S5_.kd
    .uniform_work_group_size: 1
    .uses_dynamic_stack: false
    .vgpr_count:     9
    .vgpr_spill_count: 0
    .wavefront_size: 32
    .workgroup_processor_mode: 1
  - .args:
      - .address_space:  global
        .offset:         0
        .size:           8
        .value_kind:     global_buffer
      - .address_space:  global
        .offset:         8
        .size:           8
        .value_kind:     global_buffer
      - .address_space:  global
        .offset:         16
        .size:           8
        .value_kind:     global_buffer
      - .offset:         24
        .size:           4
        .value_kind:     by_value
      - .offset:         32
        .size:           4
        .value_kind:     hidden_block_count_x
      - .offset:         36
        .size:           4
        .value_kind:     hidden_block_count_y
      - .offset:         40
        .size:           4
        .value_kind:     hidden_block_count_z
      - .offset:         44
        .size:           2
        .value_kind:     hidden_group_size_x
      - .offset:         46
        .size:           2
        .value_kind:     hidden_group_size_y
      - .offset:         48
        .size:           2
        .value_kind:     hidden_group_size_z
      - .offset:         50
        .size:           2
        .value_kind:     hidden_remainder_x
      - .offset:         52
        .size:           2
        .value_kind:     hidden_remainder_y
      - .offset:         54
        .size:           2
        .value_kind:     hidden_remainder_z
      - .offset:         72
        .size:           8
        .value_kind:     hidden_global_offset_x
      - .offset:         80
        .size:           8
        .value_kind:     hidden_global_offset_y
      - .offset:         88
        .size:           8
        .value_kind:     hidden_global_offset_z
      - .offset:         96
        .size:           2
        .value_kind:     hidden_grid_dims
      - .offset:         152
        .size:           4
        .value_kind:     hidden_dynamic_lds_size
    .group_segment_fixed_size: 0
    .kernarg_segment_align: 8
    .kernarg_segment_size: 288
    .language:       OpenCL C
    .language_version:
      - 2
      - 0
    .max_flat_workgroup_size: 80
    .name:           _ZL26flash_attn_combine_resultsILi80EEvPKfPK15HIP_vector_typeIfLj2EEPfi
    .private_segment_fixed_size: 0
    .sgpr_count:     21
    .sgpr_spill_count: 0
    .symbol:         _ZL26flash_attn_combine_resultsILi80EEvPKfPK15HIP_vector_typeIfLj2EEPfi.kd
    .uniform_work_group_size: 1
    .uses_dynamic_stack: false
    .vgpr_count:     55
    .vgpr_spill_count: 0
    .wavefront_size: 32
    .workgroup_processor_mode: 1
  - .args:
      - .address_space:  global
        .offset:         0
        .size:           8
        .value_kind:     global_buffer
      - .address_space:  global
        .offset:         8
        .size:           8
        .value_kind:     global_buffer
      - .address_space:  global
        .offset:         16
        .size:           8
        .value_kind:     global_buffer
      - .address_space:  global
        .offset:         24
        .size:           8
        .value_kind:     global_buffer
      - .address_space:  global
        .offset:         32
        .size:           8
        .value_kind:     global_buffer
      - .address_space:  global
        .offset:         40
        .size:           8
        .value_kind:     global_buffer
      - .address_space:  global
        .offset:         48
        .size:           8
        .value_kind:     global_buffer
      - .address_space:  global
        .offset:         56
        .size:           8
        .value_kind:     global_buffer
      - .offset:         64
        .size:           4
        .value_kind:     by_value
      - .offset:         68
        .size:           4
        .value_kind:     by_value
      - .offset:         72
        .size:           4
        .value_kind:     by_value
      - .offset:         76
        .size:           4
        .value_kind:     by_value
      - .offset:         80
        .size:           4
        .value_kind:     by_value
      - .offset:         84
        .size:           4
        .value_kind:     by_value
      - .offset:         88
        .size:           4
        .value_kind:     by_value
      - .offset:         92
        .size:           12
        .value_kind:     by_value
      - .offset:         104
        .size:           4
        .value_kind:     by_value
      - .offset:         108
        .size:           4
        .value_kind:     by_value
      - .offset:         112
        .size:           4
        .value_kind:     by_value
      - .offset:         116
        .size:           4
        .value_kind:     by_value
      - .offset:         120
        .size:           4
        .value_kind:     by_value
      - .offset:         124
        .size:           4
        .value_kind:     by_value
      - .offset:         128
        .size:           4
        .value_kind:     by_value
      - .offset:         132
        .size:           4
        .value_kind:     by_value
      - .offset:         136
        .size:           4
        .value_kind:     by_value
      - .offset:         140
        .size:           4
        .value_kind:     by_value
      - .offset:         144
        .size:           4
        .value_kind:     by_value
      - .offset:         152
        .size:           8
        .value_kind:     by_value
      - .offset:         160
        .size:           4
        .value_kind:     by_value
      - .offset:         164
        .size:           4
        .value_kind:     by_value
      - .offset:         168
        .size:           8
        .value_kind:     by_value
      - .offset:         176
        .size:           4
        .value_kind:     by_value
      - .offset:         180
        .size:           4
        .value_kind:     by_value
      - .offset:         184
        .size:           4
        .value_kind:     by_value
      - .offset:         188
        .size:           4
        .value_kind:     by_value
      - .offset:         192
        .size:           4
        .value_kind:     by_value
      - .offset:         200
        .size:           8
        .value_kind:     by_value
      - .offset:         208
        .size:           4
        .value_kind:     hidden_block_count_x
      - .offset:         212
        .size:           4
        .value_kind:     hidden_block_count_y
      - .offset:         216
        .size:           4
        .value_kind:     hidden_block_count_z
      - .offset:         220
        .size:           2
        .value_kind:     hidden_group_size_x
      - .offset:         222
        .size:           2
        .value_kind:     hidden_group_size_y
      - .offset:         224
        .size:           2
        .value_kind:     hidden_group_size_z
      - .offset:         226
        .size:           2
        .value_kind:     hidden_remainder_x
      - .offset:         228
        .size:           2
        .value_kind:     hidden_remainder_y
      - .offset:         230
        .size:           2
        .value_kind:     hidden_remainder_z
      - .offset:         248
        .size:           8
        .value_kind:     hidden_global_offset_x
      - .offset:         256
        .size:           8
        .value_kind:     hidden_global_offset_y
      - .offset:         264
        .size:           8
        .value_kind:     hidden_global_offset_z
      - .offset:         272
        .size:           2
        .value_kind:     hidden_grid_dims
      - .offset:         328
        .size:           4
        .value_kind:     hidden_dynamic_lds_size
    .group_segment_fixed_size: 0
    .kernarg_segment_align: 8
    .kernarg_segment_size: 464
    .language:       OpenCL C
    .language_version:
      - 2
      - 0
    .max_flat_workgroup_size: 64
    .name:           _ZL18flash_attn_ext_f16ILi96ELi96ELi8ELi2ELb0ELb0EEvPKcS1_S1_S1_S1_PKiPfP15HIP_vector_typeIfLj2EEffffjfiS5_IjLj3EEiiiiiiiiiiiliiliiiiil
    .private_segment_fixed_size: 192
    .sgpr_count:     107
    .sgpr_spill_count: 11
    .symbol:         _ZL18flash_attn_ext_f16ILi96ELi96ELi8ELi2ELb0ELb0EEvPKcS1_S1_S1_S1_PKiPfP15HIP_vector_typeIfLj2EEffffjfiS5_IjLj3EEiiiiiiiiiiiliiliiiiil.kd
    .uniform_work_group_size: 1
    .uses_dynamic_stack: false
    .vgpr_count:     256
    .vgpr_spill_count: 47
    .wavefront_size: 32
    .workgroup_processor_mode: 1
  - .args:
      - .address_space:  global
        .offset:         0
        .size:           8
        .value_kind:     global_buffer
      - .address_space:  global
        .offset:         8
        .size:           8
        .value_kind:     global_buffer
      - .address_space:  global
        .offset:         16
        .size:           8
        .value_kind:     global_buffer
      - .address_space:  global
        .offset:         24
        .size:           8
        .value_kind:     global_buffer
      - .address_space:  global
        .offset:         32
        .size:           8
        .value_kind:     global_buffer
      - .address_space:  global
        .offset:         40
        .size:           8
        .value_kind:     global_buffer
      - .address_space:  global
        .offset:         48
        .size:           8
        .value_kind:     global_buffer
      - .address_space:  global
        .offset:         56
        .size:           8
        .value_kind:     global_buffer
      - .offset:         64
        .size:           4
        .value_kind:     by_value
      - .offset:         68
        .size:           4
        .value_kind:     by_value
      - .offset:         72
        .size:           4
        .value_kind:     by_value
      - .offset:         76
        .size:           4
        .value_kind:     by_value
      - .offset:         80
        .size:           4
        .value_kind:     by_value
      - .offset:         84
        .size:           4
        .value_kind:     by_value
      - .offset:         88
        .size:           4
        .value_kind:     by_value
      - .offset:         92
        .size:           12
        .value_kind:     by_value
      - .offset:         104
        .size:           4
        .value_kind:     by_value
      - .offset:         108
        .size:           4
        .value_kind:     by_value
      - .offset:         112
        .size:           4
        .value_kind:     by_value
      - .offset:         116
        .size:           4
        .value_kind:     by_value
      - .offset:         120
        .size:           4
        .value_kind:     by_value
      - .offset:         124
        .size:           4
        .value_kind:     by_value
      - .offset:         128
        .size:           4
        .value_kind:     by_value
      - .offset:         132
        .size:           4
        .value_kind:     by_value
      - .offset:         136
        .size:           4
        .value_kind:     by_value
      - .offset:         140
        .size:           4
        .value_kind:     by_value
      - .offset:         144
        .size:           4
        .value_kind:     by_value
      - .offset:         152
        .size:           8
        .value_kind:     by_value
      - .offset:         160
        .size:           4
        .value_kind:     by_value
      - .offset:         164
        .size:           4
        .value_kind:     by_value
      - .offset:         168
        .size:           8
        .value_kind:     by_value
      - .offset:         176
        .size:           4
        .value_kind:     by_value
      - .offset:         180
        .size:           4
        .value_kind:     by_value
      - .offset:         184
        .size:           4
        .value_kind:     by_value
      - .offset:         188
        .size:           4
        .value_kind:     by_value
      - .offset:         192
        .size:           4
        .value_kind:     by_value
      - .offset:         200
        .size:           8
        .value_kind:     by_value
      - .offset:         208
        .size:           4
        .value_kind:     hidden_block_count_x
      - .offset:         212
        .size:           4
        .value_kind:     hidden_block_count_y
      - .offset:         216
        .size:           4
        .value_kind:     hidden_block_count_z
      - .offset:         220
        .size:           2
        .value_kind:     hidden_group_size_x
      - .offset:         222
        .size:           2
        .value_kind:     hidden_group_size_y
      - .offset:         224
        .size:           2
        .value_kind:     hidden_group_size_z
      - .offset:         226
        .size:           2
        .value_kind:     hidden_remainder_x
      - .offset:         228
        .size:           2
        .value_kind:     hidden_remainder_y
      - .offset:         230
        .size:           2
        .value_kind:     hidden_remainder_z
      - .offset:         248
        .size:           8
        .value_kind:     hidden_global_offset_x
      - .offset:         256
        .size:           8
        .value_kind:     hidden_global_offset_y
      - .offset:         264
        .size:           8
        .value_kind:     hidden_global_offset_z
      - .offset:         272
        .size:           2
        .value_kind:     hidden_grid_dims
      - .offset:         288
        .size:           8
        .value_kind:     hidden_hostcall_buffer
    .group_segment_fixed_size: 0
    .kernarg_segment_align: 8
    .kernarg_segment_size: 464
    .language:       OpenCL C
    .language_version:
      - 2
      - 0
    .max_flat_workgroup_size: 64
    .name:           _ZL18flash_attn_ext_f16ILi96ELi96ELi8ELi2ELb1ELb0EEvPKcS1_S1_S1_S1_PKiPfP15HIP_vector_typeIfLj2EEffffjfiS5_IjLj3EEiiiiiiiiiiiliiliiiiil
    .private_segment_fixed_size: 16
    .sgpr_count:     36
    .sgpr_spill_count: 0
    .symbol:         _ZL18flash_attn_ext_f16ILi96ELi96ELi8ELi2ELb1ELb0EEvPKcS1_S1_S1_S1_PKiPfP15HIP_vector_typeIfLj2EEffffjfiS5_IjLj3EEiiiiiiiiiiiliiliiiiil.kd
    .uniform_work_group_size: 1
    .uses_dynamic_stack: false
    .vgpr_count:     40
    .vgpr_spill_count: 0
    .wavefront_size: 32
    .workgroup_processor_mode: 1
  - .args:
      - .address_space:  global
        .offset:         0
        .size:           8
        .value_kind:     global_buffer
      - .address_space:  global
        .offset:         8
        .size:           8
        .value_kind:     global_buffer
      - .offset:         16
        .size:           4
        .value_kind:     by_value
      - .offset:         20
        .size:           4
        .value_kind:     by_value
      - .offset:         24
        .size:           4
        .value_kind:     by_value
      - .offset:         28
        .size:           4
        .value_kind:     by_value
      - .offset:         32
        .size:           4
        .value_kind:     by_value
      - .offset:         36
        .size:           4
        .value_kind:     by_value
      - .offset:         40
        .size:           12
        .value_kind:     by_value
      - .offset:         52
        .size:           12
        .value_kind:     by_value
      - .offset:         64
        .size:           12
        .value_kind:     by_value
    .group_segment_fixed_size: 0
    .kernarg_segment_align: 8
    .kernarg_segment_size: 76
    .language:       OpenCL C
    .language_version:
      - 2
      - 0
    .max_flat_workgroup_size: 96
    .name:           _ZL33flash_attn_stream_k_fixup_uniformILi96ELi8ELi2EEvPfPK15HIP_vector_typeIfLj2EEiiiiiiS1_IjLj3EES5_S5_
    .private_segment_fixed_size: 0
    .sgpr_count:     18
    .sgpr_spill_count: 0
    .symbol:         _ZL33flash_attn_stream_k_fixup_uniformILi96ELi8ELi2EEvPfPK15HIP_vector_typeIfLj2EEiiiiiiS1_IjLj3EES5_S5_.kd
    .uniform_work_group_size: 1
    .uses_dynamic_stack: false
    .vgpr_count:     11
    .vgpr_spill_count: 0
    .wavefront_size: 32
    .workgroup_processor_mode: 1
  - .args:
      - .address_space:  global
        .offset:         0
        .size:           8
        .value_kind:     global_buffer
      - .address_space:  global
        .offset:         8
        .size:           8
        .value_kind:     global_buffer
      - .offset:         16
        .size:           4
        .value_kind:     by_value
      - .offset:         20
        .size:           4
        .value_kind:     by_value
      - .offset:         24
        .size:           4
        .value_kind:     by_value
      - .offset:         28
        .size:           4
        .value_kind:     by_value
      - .offset:         32
        .size:           12
        .value_kind:     by_value
      - .offset:         44
        .size:           12
        .value_kind:     by_value
      - .offset:         56
        .size:           12
        .value_kind:     by_value
      - .offset:         68
        .size:           12
        .value_kind:     by_value
      - .offset:         80
        .size:           4
        .value_kind:     hidden_block_count_x
      - .offset:         84
        .size:           4
        .value_kind:     hidden_block_count_y
      - .offset:         88
        .size:           4
        .value_kind:     hidden_block_count_z
      - .offset:         92
        .size:           2
        .value_kind:     hidden_group_size_x
      - .offset:         94
        .size:           2
        .value_kind:     hidden_group_size_y
      - .offset:         96
        .size:           2
        .value_kind:     hidden_group_size_z
      - .offset:         98
        .size:           2
        .value_kind:     hidden_remainder_x
      - .offset:         100
        .size:           2
        .value_kind:     hidden_remainder_y
      - .offset:         102
        .size:           2
        .value_kind:     hidden_remainder_z
      - .offset:         120
        .size:           8
        .value_kind:     hidden_global_offset_x
      - .offset:         128
        .size:           8
        .value_kind:     hidden_global_offset_y
      - .offset:         136
        .size:           8
        .value_kind:     hidden_global_offset_z
      - .offset:         144
        .size:           2
        .value_kind:     hidden_grid_dims
    .group_segment_fixed_size: 0
    .kernarg_segment_align: 8
    .kernarg_segment_size: 336
    .language:       OpenCL C
    .language_version:
      - 2
      - 0
    .max_flat_workgroup_size: 96
    .name:           _ZL33flash_attn_stream_k_fixup_generalILi96ELi8ELi2EEvPfPK15HIP_vector_typeIfLj2EEiiiiS1_IjLj3EES5_S5_S5_
    .private_segment_fixed_size: 0
    .sgpr_count:     46
    .sgpr_spill_count: 0
    .symbol:         _ZL33flash_attn_stream_k_fixup_generalILi96ELi8ELi2EEvPfPK15HIP_vector_typeIfLj2EEiiiiS1_IjLj3EES5_S5_S5_.kd
    .uniform_work_group_size: 1
    .uses_dynamic_stack: false
    .vgpr_count:     9
    .vgpr_spill_count: 0
    .wavefront_size: 32
    .workgroup_processor_mode: 1
  - .args:
      - .address_space:  global
        .offset:         0
        .size:           8
        .value_kind:     global_buffer
      - .address_space:  global
        .offset:         8
        .size:           8
        .value_kind:     global_buffer
      - .address_space:  global
        .offset:         16
        .size:           8
        .value_kind:     global_buffer
      - .offset:         24
        .size:           4
        .value_kind:     by_value
      - .offset:         32
        .size:           4
        .value_kind:     hidden_block_count_x
      - .offset:         36
        .size:           4
        .value_kind:     hidden_block_count_y
      - .offset:         40
        .size:           4
        .value_kind:     hidden_block_count_z
      - .offset:         44
        .size:           2
        .value_kind:     hidden_group_size_x
      - .offset:         46
        .size:           2
        .value_kind:     hidden_group_size_y
      - .offset:         48
        .size:           2
        .value_kind:     hidden_group_size_z
      - .offset:         50
        .size:           2
        .value_kind:     hidden_remainder_x
      - .offset:         52
        .size:           2
        .value_kind:     hidden_remainder_y
      - .offset:         54
        .size:           2
        .value_kind:     hidden_remainder_z
      - .offset:         72
        .size:           8
        .value_kind:     hidden_global_offset_x
      - .offset:         80
        .size:           8
        .value_kind:     hidden_global_offset_y
      - .offset:         88
        .size:           8
        .value_kind:     hidden_global_offset_z
      - .offset:         96
        .size:           2
        .value_kind:     hidden_grid_dims
      - .offset:         152
        .size:           4
        .value_kind:     hidden_dynamic_lds_size
    .group_segment_fixed_size: 0
    .kernarg_segment_align: 8
    .kernarg_segment_size: 288
    .language:       OpenCL C
    .language_version:
      - 2
      - 0
    .max_flat_workgroup_size: 96
    .name:           _ZL26flash_attn_combine_resultsILi96EEvPKfPK15HIP_vector_typeIfLj2EEPfi
    .private_segment_fixed_size: 0
    .sgpr_count:     22
    .sgpr_spill_count: 0
    .symbol:         _ZL26flash_attn_combine_resultsILi96EEvPKfPK15HIP_vector_typeIfLj2EEPfi.kd
    .uniform_work_group_size: 1
    .uses_dynamic_stack: false
    .vgpr_count:     57
    .vgpr_spill_count: 0
    .wavefront_size: 32
    .workgroup_processor_mode: 1
  - .args:
      - .address_space:  global
        .offset:         0
        .size:           8
        .value_kind:     global_buffer
      - .address_space:  global
        .offset:         8
        .size:           8
        .value_kind:     global_buffer
      - .address_space:  global
        .offset:         16
        .size:           8
        .value_kind:     global_buffer
      - .address_space:  global
        .offset:         24
        .size:           8
        .value_kind:     global_buffer
      - .address_space:  global
        .offset:         32
        .size:           8
        .value_kind:     global_buffer
      - .address_space:  global
        .offset:         40
        .size:           8
        .value_kind:     global_buffer
      - .address_space:  global
        .offset:         48
        .size:           8
        .value_kind:     global_buffer
      - .address_space:  global
        .offset:         56
        .size:           8
        .value_kind:     global_buffer
      - .offset:         64
        .size:           4
        .value_kind:     by_value
      - .offset:         68
        .size:           4
        .value_kind:     by_value
      - .offset:         72
        .size:           4
        .value_kind:     by_value
      - .offset:         76
        .size:           4
        .value_kind:     by_value
      - .offset:         80
        .size:           4
        .value_kind:     by_value
      - .offset:         84
        .size:           4
        .value_kind:     by_value
      - .offset:         88
        .size:           4
        .value_kind:     by_value
      - .offset:         92
        .size:           12
        .value_kind:     by_value
      - .offset:         104
        .size:           4
        .value_kind:     by_value
      - .offset:         108
        .size:           4
        .value_kind:     by_value
      - .offset:         112
        .size:           4
        .value_kind:     by_value
      - .offset:         116
        .size:           4
        .value_kind:     by_value
      - .offset:         120
        .size:           4
        .value_kind:     by_value
      - .offset:         124
        .size:           4
        .value_kind:     by_value
      - .offset:         128
        .size:           4
        .value_kind:     by_value
      - .offset:         132
        .size:           4
        .value_kind:     by_value
      - .offset:         136
        .size:           4
        .value_kind:     by_value
      - .offset:         140
        .size:           4
        .value_kind:     by_value
      - .offset:         144
        .size:           4
        .value_kind:     by_value
      - .offset:         152
        .size:           8
        .value_kind:     by_value
      - .offset:         160
        .size:           4
        .value_kind:     by_value
      - .offset:         164
        .size:           4
        .value_kind:     by_value
      - .offset:         168
        .size:           8
        .value_kind:     by_value
      - .offset:         176
        .size:           4
        .value_kind:     by_value
      - .offset:         180
        .size:           4
        .value_kind:     by_value
      - .offset:         184
        .size:           4
        .value_kind:     by_value
      - .offset:         188
        .size:           4
        .value_kind:     by_value
      - .offset:         192
        .size:           4
        .value_kind:     by_value
      - .offset:         200
        .size:           8
        .value_kind:     by_value
      - .offset:         208
        .size:           4
        .value_kind:     hidden_block_count_x
      - .offset:         212
        .size:           4
        .value_kind:     hidden_block_count_y
      - .offset:         216
        .size:           4
        .value_kind:     hidden_block_count_z
      - .offset:         220
        .size:           2
        .value_kind:     hidden_group_size_x
      - .offset:         222
        .size:           2
        .value_kind:     hidden_group_size_y
      - .offset:         224
        .size:           2
        .value_kind:     hidden_group_size_z
      - .offset:         226
        .size:           2
        .value_kind:     hidden_remainder_x
      - .offset:         228
        .size:           2
        .value_kind:     hidden_remainder_y
      - .offset:         230
        .size:           2
        .value_kind:     hidden_remainder_z
      - .offset:         248
        .size:           8
        .value_kind:     hidden_global_offset_x
      - .offset:         256
        .size:           8
        .value_kind:     hidden_global_offset_y
      - .offset:         264
        .size:           8
        .value_kind:     hidden_global_offset_z
      - .offset:         272
        .size:           2
        .value_kind:     hidden_grid_dims
      - .offset:         328
        .size:           4
        .value_kind:     hidden_dynamic_lds_size
    .group_segment_fixed_size: 0
    .kernarg_segment_align: 8
    .kernarg_segment_size: 464
    .language:       OpenCL C
    .language_version:
      - 2
      - 0
    .max_flat_workgroup_size: 64
    .name:           _ZL18flash_attn_ext_f16ILi112ELi112ELi8ELi2ELb0ELb0EEvPKcS1_S1_S1_S1_PKiPfP15HIP_vector_typeIfLj2EEffffjfiS5_IjLj3EEiiiiiiiiiiiliiliiiiil
    .private_segment_fixed_size: 332
    .sgpr_count:     107
    .sgpr_spill_count: 11
    .symbol:         _ZL18flash_attn_ext_f16ILi112ELi112ELi8ELi2ELb0ELb0EEvPKcS1_S1_S1_S1_PKiPfP15HIP_vector_typeIfLj2EEffffjfiS5_IjLj3EEiiiiiiiiiiiliiliiiiil.kd
    .uniform_work_group_size: 1
    .uses_dynamic_stack: false
    .vgpr_count:     256
    .vgpr_spill_count: 82
    .wavefront_size: 32
    .workgroup_processor_mode: 1
  - .args:
      - .address_space:  global
        .offset:         0
        .size:           8
        .value_kind:     global_buffer
      - .address_space:  global
        .offset:         8
        .size:           8
        .value_kind:     global_buffer
      - .address_space:  global
        .offset:         16
        .size:           8
        .value_kind:     global_buffer
      - .address_space:  global
        .offset:         24
        .size:           8
        .value_kind:     global_buffer
      - .address_space:  global
        .offset:         32
        .size:           8
        .value_kind:     global_buffer
      - .address_space:  global
        .offset:         40
        .size:           8
        .value_kind:     global_buffer
      - .address_space:  global
        .offset:         48
        .size:           8
        .value_kind:     global_buffer
      - .address_space:  global
        .offset:         56
        .size:           8
        .value_kind:     global_buffer
      - .offset:         64
        .size:           4
        .value_kind:     by_value
      - .offset:         68
        .size:           4
        .value_kind:     by_value
      - .offset:         72
        .size:           4
        .value_kind:     by_value
      - .offset:         76
        .size:           4
        .value_kind:     by_value
      - .offset:         80
        .size:           4
        .value_kind:     by_value
      - .offset:         84
        .size:           4
        .value_kind:     by_value
      - .offset:         88
        .size:           4
        .value_kind:     by_value
      - .offset:         92
        .size:           12
        .value_kind:     by_value
      - .offset:         104
        .size:           4
        .value_kind:     by_value
      - .offset:         108
        .size:           4
        .value_kind:     by_value
      - .offset:         112
        .size:           4
        .value_kind:     by_value
      - .offset:         116
        .size:           4
        .value_kind:     by_value
      - .offset:         120
        .size:           4
        .value_kind:     by_value
      - .offset:         124
        .size:           4
        .value_kind:     by_value
      - .offset:         128
        .size:           4
        .value_kind:     by_value
      - .offset:         132
        .size:           4
        .value_kind:     by_value
      - .offset:         136
        .size:           4
        .value_kind:     by_value
      - .offset:         140
        .size:           4
        .value_kind:     by_value
      - .offset:         144
        .size:           4
        .value_kind:     by_value
      - .offset:         152
        .size:           8
        .value_kind:     by_value
      - .offset:         160
        .size:           4
        .value_kind:     by_value
      - .offset:         164
        .size:           4
        .value_kind:     by_value
      - .offset:         168
        .size:           8
        .value_kind:     by_value
      - .offset:         176
        .size:           4
        .value_kind:     by_value
      - .offset:         180
        .size:           4
        .value_kind:     by_value
      - .offset:         184
        .size:           4
        .value_kind:     by_value
      - .offset:         188
        .size:           4
        .value_kind:     by_value
      - .offset:         192
        .size:           4
        .value_kind:     by_value
      - .offset:         200
        .size:           8
        .value_kind:     by_value
      - .offset:         208
        .size:           4
        .value_kind:     hidden_block_count_x
      - .offset:         212
        .size:           4
        .value_kind:     hidden_block_count_y
      - .offset:         216
        .size:           4
        .value_kind:     hidden_block_count_z
      - .offset:         220
        .size:           2
        .value_kind:     hidden_group_size_x
      - .offset:         222
        .size:           2
        .value_kind:     hidden_group_size_y
      - .offset:         224
        .size:           2
        .value_kind:     hidden_group_size_z
      - .offset:         226
        .size:           2
        .value_kind:     hidden_remainder_x
      - .offset:         228
        .size:           2
        .value_kind:     hidden_remainder_y
      - .offset:         230
        .size:           2
        .value_kind:     hidden_remainder_z
      - .offset:         248
        .size:           8
        .value_kind:     hidden_global_offset_x
      - .offset:         256
        .size:           8
        .value_kind:     hidden_global_offset_y
      - .offset:         264
        .size:           8
        .value_kind:     hidden_global_offset_z
      - .offset:         272
        .size:           2
        .value_kind:     hidden_grid_dims
      - .offset:         288
        .size:           8
        .value_kind:     hidden_hostcall_buffer
    .group_segment_fixed_size: 0
    .kernarg_segment_align: 8
    .kernarg_segment_size: 464
    .language:       OpenCL C
    .language_version:
      - 2
      - 0
    .max_flat_workgroup_size: 64
    .name:           _ZL18flash_attn_ext_f16ILi112ELi112ELi8ELi2ELb1ELb0EEvPKcS1_S1_S1_S1_PKiPfP15HIP_vector_typeIfLj2EEffffjfiS5_IjLj3EEiiiiiiiiiiiliiliiiiil
    .private_segment_fixed_size: 16
    .sgpr_count:     36
    .sgpr_spill_count: 0
    .symbol:         _ZL18flash_attn_ext_f16ILi112ELi112ELi8ELi2ELb1ELb0EEvPKcS1_S1_S1_S1_PKiPfP15HIP_vector_typeIfLj2EEffffjfiS5_IjLj3EEiiiiiiiiiiiliiliiiiil.kd
    .uniform_work_group_size: 1
    .uses_dynamic_stack: false
    .vgpr_count:     40
    .vgpr_spill_count: 0
    .wavefront_size: 32
    .workgroup_processor_mode: 1
  - .args:
      - .address_space:  global
        .offset:         0
        .size:           8
        .value_kind:     global_buffer
      - .address_space:  global
        .offset:         8
        .size:           8
        .value_kind:     global_buffer
      - .offset:         16
        .size:           4
        .value_kind:     by_value
      - .offset:         20
        .size:           4
        .value_kind:     by_value
      - .offset:         24
        .size:           4
        .value_kind:     by_value
      - .offset:         28
        .size:           4
        .value_kind:     by_value
      - .offset:         32
        .size:           4
        .value_kind:     by_value
      - .offset:         36
        .size:           4
        .value_kind:     by_value
      - .offset:         40
        .size:           12
        .value_kind:     by_value
      - .offset:         52
        .size:           12
        .value_kind:     by_value
      - .offset:         64
        .size:           12
        .value_kind:     by_value
    .group_segment_fixed_size: 0
    .kernarg_segment_align: 8
    .kernarg_segment_size: 76
    .language:       OpenCL C
    .language_version:
      - 2
      - 0
    .max_flat_workgroup_size: 112
    .name:           _ZL33flash_attn_stream_k_fixup_uniformILi112ELi8ELi2EEvPfPK15HIP_vector_typeIfLj2EEiiiiiiS1_IjLj3EES5_S5_
    .private_segment_fixed_size: 0
    .sgpr_count:     18
    .sgpr_spill_count: 0
    .symbol:         _ZL33flash_attn_stream_k_fixup_uniformILi112ELi8ELi2EEvPfPK15HIP_vector_typeIfLj2EEiiiiiiS1_IjLj3EES5_S5_.kd
    .uniform_work_group_size: 1
    .uses_dynamic_stack: false
    .vgpr_count:     11
    .vgpr_spill_count: 0
    .wavefront_size: 32
    .workgroup_processor_mode: 1
  - .args:
      - .address_space:  global
        .offset:         0
        .size:           8
        .value_kind:     global_buffer
      - .address_space:  global
        .offset:         8
        .size:           8
        .value_kind:     global_buffer
      - .offset:         16
        .size:           4
        .value_kind:     by_value
      - .offset:         20
        .size:           4
        .value_kind:     by_value
      - .offset:         24
        .size:           4
        .value_kind:     by_value
      - .offset:         28
        .size:           4
        .value_kind:     by_value
      - .offset:         32
        .size:           12
        .value_kind:     by_value
      - .offset:         44
        .size:           12
        .value_kind:     by_value
      - .offset:         56
        .size:           12
        .value_kind:     by_value
      - .offset:         68
        .size:           12
        .value_kind:     by_value
      - .offset:         80
        .size:           4
        .value_kind:     hidden_block_count_x
      - .offset:         84
        .size:           4
        .value_kind:     hidden_block_count_y
      - .offset:         88
        .size:           4
        .value_kind:     hidden_block_count_z
      - .offset:         92
        .size:           2
        .value_kind:     hidden_group_size_x
      - .offset:         94
        .size:           2
        .value_kind:     hidden_group_size_y
      - .offset:         96
        .size:           2
        .value_kind:     hidden_group_size_z
      - .offset:         98
        .size:           2
        .value_kind:     hidden_remainder_x
      - .offset:         100
        .size:           2
        .value_kind:     hidden_remainder_y
      - .offset:         102
        .size:           2
        .value_kind:     hidden_remainder_z
      - .offset:         120
        .size:           8
        .value_kind:     hidden_global_offset_x
      - .offset:         128
        .size:           8
        .value_kind:     hidden_global_offset_y
      - .offset:         136
        .size:           8
        .value_kind:     hidden_global_offset_z
      - .offset:         144
        .size:           2
        .value_kind:     hidden_grid_dims
    .group_segment_fixed_size: 0
    .kernarg_segment_align: 8
    .kernarg_segment_size: 336
    .language:       OpenCL C
    .language_version:
      - 2
      - 0
    .max_flat_workgroup_size: 112
    .name:           _ZL33flash_attn_stream_k_fixup_generalILi112ELi8ELi2EEvPfPK15HIP_vector_typeIfLj2EEiiiiS1_IjLj3EES5_S5_S5_
    .private_segment_fixed_size: 0
    .sgpr_count:     46
    .sgpr_spill_count: 0
    .symbol:         _ZL33flash_attn_stream_k_fixup_generalILi112ELi8ELi2EEvPfPK15HIP_vector_typeIfLj2EEiiiiS1_IjLj3EES5_S5_S5_.kd
    .uniform_work_group_size: 1
    .uses_dynamic_stack: false
    .vgpr_count:     9
    .vgpr_spill_count: 0
    .wavefront_size: 32
    .workgroup_processor_mode: 1
  - .args:
      - .address_space:  global
        .offset:         0
        .size:           8
        .value_kind:     global_buffer
      - .address_space:  global
        .offset:         8
        .size:           8
        .value_kind:     global_buffer
      - .address_space:  global
        .offset:         16
        .size:           8
        .value_kind:     global_buffer
      - .offset:         24
        .size:           4
        .value_kind:     by_value
      - .offset:         32
        .size:           4
        .value_kind:     hidden_block_count_x
      - .offset:         36
        .size:           4
        .value_kind:     hidden_block_count_y
      - .offset:         40
        .size:           4
        .value_kind:     hidden_block_count_z
      - .offset:         44
        .size:           2
        .value_kind:     hidden_group_size_x
      - .offset:         46
        .size:           2
        .value_kind:     hidden_group_size_y
      - .offset:         48
        .size:           2
        .value_kind:     hidden_group_size_z
      - .offset:         50
        .size:           2
        .value_kind:     hidden_remainder_x
      - .offset:         52
        .size:           2
        .value_kind:     hidden_remainder_y
      - .offset:         54
        .size:           2
        .value_kind:     hidden_remainder_z
      - .offset:         72
        .size:           8
        .value_kind:     hidden_global_offset_x
      - .offset:         80
        .size:           8
        .value_kind:     hidden_global_offset_y
      - .offset:         88
        .size:           8
        .value_kind:     hidden_global_offset_z
      - .offset:         96
        .size:           2
        .value_kind:     hidden_grid_dims
      - .offset:         152
        .size:           4
        .value_kind:     hidden_dynamic_lds_size
    .group_segment_fixed_size: 0
    .kernarg_segment_align: 8
    .kernarg_segment_size: 288
    .language:       OpenCL C
    .language_version:
      - 2
      - 0
    .max_flat_workgroup_size: 112
    .name:           _ZL26flash_attn_combine_resultsILi112EEvPKfPK15HIP_vector_typeIfLj2EEPfi
    .private_segment_fixed_size: 0
    .sgpr_count:     21
    .sgpr_spill_count: 0
    .symbol:         _ZL26flash_attn_combine_resultsILi112EEvPKfPK15HIP_vector_typeIfLj2EEPfi.kd
    .uniform_work_group_size: 1
    .uses_dynamic_stack: false
    .vgpr_count:     55
    .vgpr_spill_count: 0
    .wavefront_size: 32
    .workgroup_processor_mode: 1
  - .args:
      - .address_space:  global
        .offset:         0
        .size:           8
        .value_kind:     global_buffer
      - .address_space:  global
        .offset:         8
        .size:           8
        .value_kind:     global_buffer
      - .address_space:  global
        .offset:         16
        .size:           8
        .value_kind:     global_buffer
      - .address_space:  global
        .offset:         24
        .size:           8
        .value_kind:     global_buffer
      - .address_space:  global
        .offset:         32
        .size:           8
        .value_kind:     global_buffer
      - .address_space:  global
        .offset:         40
        .size:           8
        .value_kind:     global_buffer
      - .address_space:  global
        .offset:         48
        .size:           8
        .value_kind:     global_buffer
      - .address_space:  global
        .offset:         56
        .size:           8
        .value_kind:     global_buffer
      - .offset:         64
        .size:           4
        .value_kind:     by_value
      - .offset:         68
        .size:           4
        .value_kind:     by_value
      - .offset:         72
        .size:           4
        .value_kind:     by_value
      - .offset:         76
        .size:           4
        .value_kind:     by_value
      - .offset:         80
        .size:           4
        .value_kind:     by_value
      - .offset:         84
        .size:           4
        .value_kind:     by_value
      - .offset:         88
        .size:           4
        .value_kind:     by_value
      - .offset:         92
        .size:           12
        .value_kind:     by_value
      - .offset:         104
        .size:           4
        .value_kind:     by_value
      - .offset:         108
        .size:           4
        .value_kind:     by_value
      - .offset:         112
        .size:           4
        .value_kind:     by_value
      - .offset:         116
        .size:           4
        .value_kind:     by_value
      - .offset:         120
        .size:           4
        .value_kind:     by_value
      - .offset:         124
        .size:           4
        .value_kind:     by_value
      - .offset:         128
        .size:           4
        .value_kind:     by_value
      - .offset:         132
        .size:           4
        .value_kind:     by_value
      - .offset:         136
        .size:           4
        .value_kind:     by_value
      - .offset:         140
        .size:           4
        .value_kind:     by_value
      - .offset:         144
        .size:           4
        .value_kind:     by_value
      - .offset:         152
        .size:           8
        .value_kind:     by_value
      - .offset:         160
        .size:           4
        .value_kind:     by_value
      - .offset:         164
        .size:           4
        .value_kind:     by_value
      - .offset:         168
        .size:           8
        .value_kind:     by_value
      - .offset:         176
        .size:           4
        .value_kind:     by_value
      - .offset:         180
        .size:           4
        .value_kind:     by_value
      - .offset:         184
        .size:           4
        .value_kind:     by_value
      - .offset:         188
        .size:           4
        .value_kind:     by_value
      - .offset:         192
        .size:           4
        .value_kind:     by_value
      - .offset:         200
        .size:           8
        .value_kind:     by_value
      - .offset:         208
        .size:           4
        .value_kind:     hidden_block_count_x
      - .offset:         212
        .size:           4
        .value_kind:     hidden_block_count_y
      - .offset:         216
        .size:           4
        .value_kind:     hidden_block_count_z
      - .offset:         220
        .size:           2
        .value_kind:     hidden_group_size_x
      - .offset:         222
        .size:           2
        .value_kind:     hidden_group_size_y
      - .offset:         224
        .size:           2
        .value_kind:     hidden_group_size_z
      - .offset:         226
        .size:           2
        .value_kind:     hidden_remainder_x
      - .offset:         228
        .size:           2
        .value_kind:     hidden_remainder_y
      - .offset:         230
        .size:           2
        .value_kind:     hidden_remainder_z
      - .offset:         248
        .size:           8
        .value_kind:     hidden_global_offset_x
      - .offset:         256
        .size:           8
        .value_kind:     hidden_global_offset_y
      - .offset:         264
        .size:           8
        .value_kind:     hidden_global_offset_z
      - .offset:         272
        .size:           2
        .value_kind:     hidden_grid_dims
      - .offset:         328
        .size:           4
        .value_kind:     hidden_dynamic_lds_size
    .group_segment_fixed_size: 0
    .kernarg_segment_align: 8
    .kernarg_segment_size: 464
    .language:       OpenCL C
    .language_version:
      - 2
      - 0
    .max_flat_workgroup_size: 64
    .name:           _ZL18flash_attn_ext_f16ILi128ELi128ELi8ELi2ELb0ELb0EEvPKcS1_S1_S1_S1_PKiPfP15HIP_vector_typeIfLj2EEffffjfiS5_IjLj3EEiiiiiiiiiiiliiliiiiil
    .private_segment_fixed_size: 344
    .sgpr_count:     107
    .sgpr_spill_count: 11
    .symbol:         _ZL18flash_attn_ext_f16ILi128ELi128ELi8ELi2ELb0ELb0EEvPKcS1_S1_S1_S1_PKiPfP15HIP_vector_typeIfLj2EEffffjfiS5_IjLj3EEiiiiiiiiiiiliiliiiiil.kd
    .uniform_work_group_size: 1
    .uses_dynamic_stack: false
    .vgpr_count:     256
    .vgpr_spill_count: 85
    .wavefront_size: 32
    .workgroup_processor_mode: 1
  - .args:
      - .address_space:  global
        .offset:         0
        .size:           8
        .value_kind:     global_buffer
      - .address_space:  global
        .offset:         8
        .size:           8
        .value_kind:     global_buffer
      - .address_space:  global
        .offset:         16
        .size:           8
        .value_kind:     global_buffer
      - .address_space:  global
        .offset:         24
        .size:           8
        .value_kind:     global_buffer
      - .address_space:  global
        .offset:         32
        .size:           8
        .value_kind:     global_buffer
      - .address_space:  global
        .offset:         40
        .size:           8
        .value_kind:     global_buffer
      - .address_space:  global
        .offset:         48
        .size:           8
        .value_kind:     global_buffer
      - .address_space:  global
        .offset:         56
        .size:           8
        .value_kind:     global_buffer
      - .offset:         64
        .size:           4
        .value_kind:     by_value
      - .offset:         68
        .size:           4
        .value_kind:     by_value
      - .offset:         72
        .size:           4
        .value_kind:     by_value
      - .offset:         76
        .size:           4
        .value_kind:     by_value
      - .offset:         80
        .size:           4
        .value_kind:     by_value
      - .offset:         84
        .size:           4
        .value_kind:     by_value
      - .offset:         88
        .size:           4
        .value_kind:     by_value
      - .offset:         92
        .size:           12
        .value_kind:     by_value
      - .offset:         104
        .size:           4
        .value_kind:     by_value
      - .offset:         108
        .size:           4
        .value_kind:     by_value
      - .offset:         112
        .size:           4
        .value_kind:     by_value
      - .offset:         116
        .size:           4
        .value_kind:     by_value
      - .offset:         120
        .size:           4
        .value_kind:     by_value
      - .offset:         124
        .size:           4
        .value_kind:     by_value
      - .offset:         128
        .size:           4
        .value_kind:     by_value
      - .offset:         132
        .size:           4
        .value_kind:     by_value
      - .offset:         136
        .size:           4
        .value_kind:     by_value
      - .offset:         140
        .size:           4
        .value_kind:     by_value
      - .offset:         144
        .size:           4
        .value_kind:     by_value
      - .offset:         152
        .size:           8
        .value_kind:     by_value
      - .offset:         160
        .size:           4
        .value_kind:     by_value
      - .offset:         164
        .size:           4
        .value_kind:     by_value
      - .offset:         168
        .size:           8
        .value_kind:     by_value
      - .offset:         176
        .size:           4
        .value_kind:     by_value
      - .offset:         180
        .size:           4
        .value_kind:     by_value
      - .offset:         184
        .size:           4
        .value_kind:     by_value
      - .offset:         188
        .size:           4
        .value_kind:     by_value
      - .offset:         192
        .size:           4
        .value_kind:     by_value
      - .offset:         200
        .size:           8
        .value_kind:     by_value
      - .offset:         208
        .size:           4
        .value_kind:     hidden_block_count_x
      - .offset:         212
        .size:           4
        .value_kind:     hidden_block_count_y
      - .offset:         216
        .size:           4
        .value_kind:     hidden_block_count_z
      - .offset:         220
        .size:           2
        .value_kind:     hidden_group_size_x
      - .offset:         222
        .size:           2
        .value_kind:     hidden_group_size_y
      - .offset:         224
        .size:           2
        .value_kind:     hidden_group_size_z
      - .offset:         226
        .size:           2
        .value_kind:     hidden_remainder_x
      - .offset:         228
        .size:           2
        .value_kind:     hidden_remainder_y
      - .offset:         230
        .size:           2
        .value_kind:     hidden_remainder_z
      - .offset:         248
        .size:           8
        .value_kind:     hidden_global_offset_x
      - .offset:         256
        .size:           8
        .value_kind:     hidden_global_offset_y
      - .offset:         264
        .size:           8
        .value_kind:     hidden_global_offset_z
      - .offset:         272
        .size:           2
        .value_kind:     hidden_grid_dims
      - .offset:         328
        .size:           4
        .value_kind:     hidden_dynamic_lds_size
    .group_segment_fixed_size: 0
    .kernarg_segment_align: 8
    .kernarg_segment_size: 464
    .language:       OpenCL C
    .language_version:
      - 2
      - 0
    .max_flat_workgroup_size: 64
    .name:           _ZL18flash_attn_ext_f16ILi128ELi128ELi8ELi2ELb1ELb0EEvPKcS1_S1_S1_S1_PKiPfP15HIP_vector_typeIfLj2EEffffjfiS5_IjLj3EEiiiiiiiiiiiliiliiiiil
    .private_segment_fixed_size: 340
    .sgpr_count:     107
    .sgpr_spill_count: 13
    .symbol:         _ZL18flash_attn_ext_f16ILi128ELi128ELi8ELi2ELb1ELb0EEvPKcS1_S1_S1_S1_PKiPfP15HIP_vector_typeIfLj2EEffffjfiS5_IjLj3EEiiiiiiiiiiiliiliiiiil.kd
    .uniform_work_group_size: 1
    .uses_dynamic_stack: false
    .vgpr_count:     256
    .vgpr_spill_count: 84
    .wavefront_size: 32
    .workgroup_processor_mode: 1
  - .args:
      - .address_space:  global
        .offset:         0
        .size:           8
        .value_kind:     global_buffer
      - .address_space:  global
        .offset:         8
        .size:           8
        .value_kind:     global_buffer
      - .offset:         16
        .size:           4
        .value_kind:     by_value
      - .offset:         20
        .size:           4
        .value_kind:     by_value
      - .offset:         24
        .size:           4
        .value_kind:     by_value
      - .offset:         28
        .size:           4
        .value_kind:     by_value
      - .offset:         32
        .size:           4
        .value_kind:     by_value
      - .offset:         36
        .size:           4
        .value_kind:     by_value
      - .offset:         40
        .size:           12
        .value_kind:     by_value
      - .offset:         52
        .size:           12
        .value_kind:     by_value
      - .offset:         64
        .size:           12
        .value_kind:     by_value
    .group_segment_fixed_size: 0
    .kernarg_segment_align: 8
    .kernarg_segment_size: 76
    .language:       OpenCL C
    .language_version:
      - 2
      - 0
    .max_flat_workgroup_size: 128
    .name:           _ZL33flash_attn_stream_k_fixup_uniformILi128ELi8ELi2EEvPfPK15HIP_vector_typeIfLj2EEiiiiiiS1_IjLj3EES5_S5_
    .private_segment_fixed_size: 0
    .sgpr_count:     18
    .sgpr_spill_count: 0
    .symbol:         _ZL33flash_attn_stream_k_fixup_uniformILi128ELi8ELi2EEvPfPK15HIP_vector_typeIfLj2EEiiiiiiS1_IjLj3EES5_S5_.kd
    .uniform_work_group_size: 1
    .uses_dynamic_stack: false
    .vgpr_count:     11
    .vgpr_spill_count: 0
    .wavefront_size: 32
    .workgroup_processor_mode: 1
  - .args:
      - .address_space:  global
        .offset:         0
        .size:           8
        .value_kind:     global_buffer
      - .address_space:  global
        .offset:         8
        .size:           8
        .value_kind:     global_buffer
      - .offset:         16
        .size:           4
        .value_kind:     by_value
      - .offset:         20
        .size:           4
        .value_kind:     by_value
      - .offset:         24
        .size:           4
        .value_kind:     by_value
      - .offset:         28
        .size:           4
        .value_kind:     by_value
      - .offset:         32
        .size:           12
        .value_kind:     by_value
      - .offset:         44
        .size:           12
        .value_kind:     by_value
      - .offset:         56
        .size:           12
        .value_kind:     by_value
      - .offset:         68
        .size:           12
        .value_kind:     by_value
      - .offset:         80
        .size:           4
        .value_kind:     hidden_block_count_x
      - .offset:         84
        .size:           4
        .value_kind:     hidden_block_count_y
      - .offset:         88
        .size:           4
        .value_kind:     hidden_block_count_z
      - .offset:         92
        .size:           2
        .value_kind:     hidden_group_size_x
      - .offset:         94
        .size:           2
        .value_kind:     hidden_group_size_y
      - .offset:         96
        .size:           2
        .value_kind:     hidden_group_size_z
      - .offset:         98
        .size:           2
        .value_kind:     hidden_remainder_x
      - .offset:         100
        .size:           2
        .value_kind:     hidden_remainder_y
      - .offset:         102
        .size:           2
        .value_kind:     hidden_remainder_z
      - .offset:         120
        .size:           8
        .value_kind:     hidden_global_offset_x
      - .offset:         128
        .size:           8
        .value_kind:     hidden_global_offset_y
      - .offset:         136
        .size:           8
        .value_kind:     hidden_global_offset_z
      - .offset:         144
        .size:           2
        .value_kind:     hidden_grid_dims
    .group_segment_fixed_size: 0
    .kernarg_segment_align: 8
    .kernarg_segment_size: 336
    .language:       OpenCL C
    .language_version:
      - 2
      - 0
    .max_flat_workgroup_size: 128
    .name:           _ZL33flash_attn_stream_k_fixup_generalILi128ELi8ELi2EEvPfPK15HIP_vector_typeIfLj2EEiiiiS1_IjLj3EES5_S5_S5_
    .private_segment_fixed_size: 0
    .sgpr_count:     46
    .sgpr_spill_count: 0
    .symbol:         _ZL33flash_attn_stream_k_fixup_generalILi128ELi8ELi2EEvPfPK15HIP_vector_typeIfLj2EEiiiiS1_IjLj3EES5_S5_S5_.kd
    .uniform_work_group_size: 1
    .uses_dynamic_stack: false
    .vgpr_count:     9
    .vgpr_spill_count: 0
    .wavefront_size: 32
    .workgroup_processor_mode: 1
  - .args:
      - .address_space:  global
        .offset:         0
        .size:           8
        .value_kind:     global_buffer
      - .address_space:  global
        .offset:         8
        .size:           8
        .value_kind:     global_buffer
      - .address_space:  global
        .offset:         16
        .size:           8
        .value_kind:     global_buffer
      - .offset:         24
        .size:           4
        .value_kind:     by_value
      - .offset:         32
        .size:           4
        .value_kind:     hidden_block_count_x
      - .offset:         36
        .size:           4
        .value_kind:     hidden_block_count_y
      - .offset:         40
        .size:           4
        .value_kind:     hidden_block_count_z
      - .offset:         44
        .size:           2
        .value_kind:     hidden_group_size_x
      - .offset:         46
        .size:           2
        .value_kind:     hidden_group_size_y
      - .offset:         48
        .size:           2
        .value_kind:     hidden_group_size_z
      - .offset:         50
        .size:           2
        .value_kind:     hidden_remainder_x
      - .offset:         52
        .size:           2
        .value_kind:     hidden_remainder_y
      - .offset:         54
        .size:           2
        .value_kind:     hidden_remainder_z
      - .offset:         72
        .size:           8
        .value_kind:     hidden_global_offset_x
      - .offset:         80
        .size:           8
        .value_kind:     hidden_global_offset_y
      - .offset:         88
        .size:           8
        .value_kind:     hidden_global_offset_z
      - .offset:         96
        .size:           2
        .value_kind:     hidden_grid_dims
      - .offset:         152
        .size:           4
        .value_kind:     hidden_dynamic_lds_size
    .group_segment_fixed_size: 0
    .kernarg_segment_align: 8
    .kernarg_segment_size: 288
    .language:       OpenCL C
    .language_version:
      - 2
      - 0
    .max_flat_workgroup_size: 128
    .name:           _ZL26flash_attn_combine_resultsILi128EEvPKfPK15HIP_vector_typeIfLj2EEPfi
    .private_segment_fixed_size: 0
    .sgpr_count:     18
    .sgpr_spill_count: 0
    .symbol:         _ZL26flash_attn_combine_resultsILi128EEvPKfPK15HIP_vector_typeIfLj2EEPfi.kd
    .uniform_work_group_size: 1
    .uses_dynamic_stack: false
    .vgpr_count:     55
    .vgpr_spill_count: 0
    .wavefront_size: 32
    .workgroup_processor_mode: 1
  - .args:
      - .address_space:  global
        .offset:         0
        .size:           8
        .value_kind:     global_buffer
      - .address_space:  global
        .offset:         8
        .size:           8
        .value_kind:     global_buffer
      - .address_space:  global
        .offset:         16
        .size:           8
        .value_kind:     global_buffer
      - .address_space:  global
        .offset:         24
        .size:           8
        .value_kind:     global_buffer
      - .address_space:  global
        .offset:         32
        .size:           8
        .value_kind:     global_buffer
      - .address_space:  global
        .offset:         40
        .size:           8
        .value_kind:     global_buffer
      - .address_space:  global
        .offset:         48
        .size:           8
        .value_kind:     global_buffer
      - .address_space:  global
        .offset:         56
        .size:           8
        .value_kind:     global_buffer
      - .offset:         64
        .size:           4
        .value_kind:     by_value
      - .offset:         68
        .size:           4
        .value_kind:     by_value
      - .offset:         72
        .size:           4
        .value_kind:     by_value
      - .offset:         76
        .size:           4
        .value_kind:     by_value
      - .offset:         80
        .size:           4
        .value_kind:     by_value
      - .offset:         84
        .size:           4
        .value_kind:     by_value
      - .offset:         88
        .size:           4
        .value_kind:     by_value
      - .offset:         92
        .size:           12
        .value_kind:     by_value
      - .offset:         104
        .size:           4
        .value_kind:     by_value
      - .offset:         108
        .size:           4
        .value_kind:     by_value
      - .offset:         112
        .size:           4
        .value_kind:     by_value
      - .offset:         116
        .size:           4
        .value_kind:     by_value
      - .offset:         120
        .size:           4
        .value_kind:     by_value
      - .offset:         124
        .size:           4
        .value_kind:     by_value
      - .offset:         128
        .size:           4
        .value_kind:     by_value
      - .offset:         132
        .size:           4
        .value_kind:     by_value
      - .offset:         136
        .size:           4
        .value_kind:     by_value
      - .offset:         140
        .size:           4
        .value_kind:     by_value
      - .offset:         144
        .size:           4
        .value_kind:     by_value
      - .offset:         152
        .size:           8
        .value_kind:     by_value
      - .offset:         160
        .size:           4
        .value_kind:     by_value
      - .offset:         164
        .size:           4
        .value_kind:     by_value
      - .offset:         168
        .size:           8
        .value_kind:     by_value
      - .offset:         176
        .size:           4
        .value_kind:     by_value
      - .offset:         180
        .size:           4
        .value_kind:     by_value
      - .offset:         184
        .size:           4
        .value_kind:     by_value
      - .offset:         188
        .size:           4
        .value_kind:     by_value
      - .offset:         192
        .size:           4
        .value_kind:     by_value
      - .offset:         200
        .size:           8
        .value_kind:     by_value
      - .offset:         208
        .size:           4
        .value_kind:     hidden_block_count_x
      - .offset:         212
        .size:           4
        .value_kind:     hidden_block_count_y
      - .offset:         216
        .size:           4
        .value_kind:     hidden_block_count_z
      - .offset:         220
        .size:           2
        .value_kind:     hidden_group_size_x
      - .offset:         222
        .size:           2
        .value_kind:     hidden_group_size_y
      - .offset:         224
        .size:           2
        .value_kind:     hidden_group_size_z
      - .offset:         226
        .size:           2
        .value_kind:     hidden_remainder_x
      - .offset:         228
        .size:           2
        .value_kind:     hidden_remainder_y
      - .offset:         230
        .size:           2
        .value_kind:     hidden_remainder_z
      - .offset:         248
        .size:           8
        .value_kind:     hidden_global_offset_x
      - .offset:         256
        .size:           8
        .value_kind:     hidden_global_offset_y
      - .offset:         264
        .size:           8
        .value_kind:     hidden_global_offset_z
      - .offset:         272
        .size:           2
        .value_kind:     hidden_grid_dims
      - .offset:         288
        .size:           8
        .value_kind:     hidden_hostcall_buffer
    .group_segment_fixed_size: 0
    .kernarg_segment_align: 8
    .kernarg_segment_size: 464
    .language:       OpenCL C
    .language_version:
      - 2
      - 0
    .max_flat_workgroup_size: 64
    .name:           _ZL18flash_attn_ext_f16ILi256ELi256ELi8ELi2ELb0ELb0EEvPKcS1_S1_S1_S1_PKiPfP15HIP_vector_typeIfLj2EEffffjfiS5_IjLj3EEiiiiiiiiiiiliiliiiiil
    .private_segment_fixed_size: 16
    .sgpr_count:     36
    .sgpr_spill_count: 0
    .symbol:         _ZL18flash_attn_ext_f16ILi256ELi256ELi8ELi2ELb0ELb0EEvPKcS1_S1_S1_S1_PKiPfP15HIP_vector_typeIfLj2EEffffjfiS5_IjLj3EEiiiiiiiiiiiliiliiiiil.kd
    .uniform_work_group_size: 1
    .uses_dynamic_stack: false
    .vgpr_count:     40
    .vgpr_spill_count: 0
    .wavefront_size: 32
    .workgroup_processor_mode: 1
  - .args:
      - .address_space:  global
        .offset:         0
        .size:           8
        .value_kind:     global_buffer
      - .address_space:  global
        .offset:         8
        .size:           8
        .value_kind:     global_buffer
      - .address_space:  global
        .offset:         16
        .size:           8
        .value_kind:     global_buffer
      - .address_space:  global
        .offset:         24
        .size:           8
        .value_kind:     global_buffer
      - .address_space:  global
        .offset:         32
        .size:           8
        .value_kind:     global_buffer
      - .address_space:  global
        .offset:         40
        .size:           8
        .value_kind:     global_buffer
      - .address_space:  global
        .offset:         48
        .size:           8
        .value_kind:     global_buffer
      - .address_space:  global
        .offset:         56
        .size:           8
        .value_kind:     global_buffer
      - .offset:         64
        .size:           4
        .value_kind:     by_value
      - .offset:         68
        .size:           4
        .value_kind:     by_value
      - .offset:         72
        .size:           4
        .value_kind:     by_value
      - .offset:         76
        .size:           4
        .value_kind:     by_value
      - .offset:         80
        .size:           4
        .value_kind:     by_value
      - .offset:         84
        .size:           4
        .value_kind:     by_value
      - .offset:         88
        .size:           4
        .value_kind:     by_value
      - .offset:         92
        .size:           12
        .value_kind:     by_value
      - .offset:         104
        .size:           4
        .value_kind:     by_value
      - .offset:         108
        .size:           4
        .value_kind:     by_value
      - .offset:         112
        .size:           4
        .value_kind:     by_value
      - .offset:         116
        .size:           4
        .value_kind:     by_value
      - .offset:         120
        .size:           4
        .value_kind:     by_value
      - .offset:         124
        .size:           4
        .value_kind:     by_value
      - .offset:         128
        .size:           4
        .value_kind:     by_value
      - .offset:         132
        .size:           4
        .value_kind:     by_value
      - .offset:         136
        .size:           4
        .value_kind:     by_value
      - .offset:         140
        .size:           4
        .value_kind:     by_value
      - .offset:         144
        .size:           4
        .value_kind:     by_value
      - .offset:         152
        .size:           8
        .value_kind:     by_value
      - .offset:         160
        .size:           4
        .value_kind:     by_value
      - .offset:         164
        .size:           4
        .value_kind:     by_value
      - .offset:         168
        .size:           8
        .value_kind:     by_value
      - .offset:         176
        .size:           4
        .value_kind:     by_value
      - .offset:         180
        .size:           4
        .value_kind:     by_value
      - .offset:         184
        .size:           4
        .value_kind:     by_value
      - .offset:         188
        .size:           4
        .value_kind:     by_value
      - .offset:         192
        .size:           4
        .value_kind:     by_value
      - .offset:         200
        .size:           8
        .value_kind:     by_value
      - .offset:         208
        .size:           4
        .value_kind:     hidden_block_count_x
      - .offset:         212
        .size:           4
        .value_kind:     hidden_block_count_y
      - .offset:         216
        .size:           4
        .value_kind:     hidden_block_count_z
      - .offset:         220
        .size:           2
        .value_kind:     hidden_group_size_x
      - .offset:         222
        .size:           2
        .value_kind:     hidden_group_size_y
      - .offset:         224
        .size:           2
        .value_kind:     hidden_group_size_z
      - .offset:         226
        .size:           2
        .value_kind:     hidden_remainder_x
      - .offset:         228
        .size:           2
        .value_kind:     hidden_remainder_y
      - .offset:         230
        .size:           2
        .value_kind:     hidden_remainder_z
      - .offset:         248
        .size:           8
        .value_kind:     hidden_global_offset_x
      - .offset:         256
        .size:           8
        .value_kind:     hidden_global_offset_y
      - .offset:         264
        .size:           8
        .value_kind:     hidden_global_offset_z
      - .offset:         272
        .size:           2
        .value_kind:     hidden_grid_dims
      - .offset:         288
        .size:           8
        .value_kind:     hidden_hostcall_buffer
    .group_segment_fixed_size: 0
    .kernarg_segment_align: 8
    .kernarg_segment_size: 464
    .language:       OpenCL C
    .language_version:
      - 2
      - 0
    .max_flat_workgroup_size: 64
    .name:           _ZL18flash_attn_ext_f16ILi256ELi256ELi8ELi2ELb1ELb0EEvPKcS1_S1_S1_S1_PKiPfP15HIP_vector_typeIfLj2EEffffjfiS5_IjLj3EEiiiiiiiiiiiliiliiiiil
    .private_segment_fixed_size: 16
    .sgpr_count:     36
    .sgpr_spill_count: 0
    .symbol:         _ZL18flash_attn_ext_f16ILi256ELi256ELi8ELi2ELb1ELb0EEvPKcS1_S1_S1_S1_PKiPfP15HIP_vector_typeIfLj2EEffffjfiS5_IjLj3EEiiiiiiiiiiiliiliiiiil.kd
    .uniform_work_group_size: 1
    .uses_dynamic_stack: false
    .vgpr_count:     40
    .vgpr_spill_count: 0
    .wavefront_size: 32
    .workgroup_processor_mode: 1
  - .args:
      - .address_space:  global
        .offset:         0
        .size:           8
        .value_kind:     global_buffer
      - .address_space:  global
        .offset:         8
        .size:           8
        .value_kind:     global_buffer
      - .offset:         16
        .size:           4
        .value_kind:     by_value
      - .offset:         20
        .size:           4
        .value_kind:     by_value
      - .offset:         24
        .size:           4
        .value_kind:     by_value
      - .offset:         28
        .size:           4
        .value_kind:     by_value
      - .offset:         32
        .size:           4
        .value_kind:     by_value
      - .offset:         36
        .size:           4
        .value_kind:     by_value
      - .offset:         40
        .size:           12
        .value_kind:     by_value
      - .offset:         52
        .size:           12
        .value_kind:     by_value
      - .offset:         64
        .size:           12
        .value_kind:     by_value
    .group_segment_fixed_size: 0
    .kernarg_segment_align: 8
    .kernarg_segment_size: 76
    .language:       OpenCL C
    .language_version:
      - 2
      - 0
    .max_flat_workgroup_size: 256
    .name:           _ZL33flash_attn_stream_k_fixup_uniformILi256ELi8ELi2EEvPfPK15HIP_vector_typeIfLj2EEiiiiiiS1_IjLj3EES5_S5_
    .private_segment_fixed_size: 0
    .sgpr_count:     18
    .sgpr_spill_count: 0
    .symbol:         _ZL33flash_attn_stream_k_fixup_uniformILi256ELi8ELi2EEvPfPK15HIP_vector_typeIfLj2EEiiiiiiS1_IjLj3EES5_S5_.kd
    .uniform_work_group_size: 1
    .uses_dynamic_stack: false
    .vgpr_count:     11
    .vgpr_spill_count: 0
    .wavefront_size: 32
    .workgroup_processor_mode: 1
  - .args:
      - .address_space:  global
        .offset:         0
        .size:           8
        .value_kind:     global_buffer
      - .address_space:  global
        .offset:         8
        .size:           8
        .value_kind:     global_buffer
      - .offset:         16
        .size:           4
        .value_kind:     by_value
      - .offset:         20
        .size:           4
        .value_kind:     by_value
      - .offset:         24
        .size:           4
        .value_kind:     by_value
      - .offset:         28
        .size:           4
        .value_kind:     by_value
      - .offset:         32
        .size:           12
        .value_kind:     by_value
      - .offset:         44
        .size:           12
        .value_kind:     by_value
      - .offset:         56
        .size:           12
        .value_kind:     by_value
      - .offset:         68
        .size:           12
        .value_kind:     by_value
      - .offset:         80
        .size:           4
        .value_kind:     hidden_block_count_x
      - .offset:         84
        .size:           4
        .value_kind:     hidden_block_count_y
      - .offset:         88
        .size:           4
        .value_kind:     hidden_block_count_z
      - .offset:         92
        .size:           2
        .value_kind:     hidden_group_size_x
      - .offset:         94
        .size:           2
        .value_kind:     hidden_group_size_y
      - .offset:         96
        .size:           2
        .value_kind:     hidden_group_size_z
      - .offset:         98
        .size:           2
        .value_kind:     hidden_remainder_x
      - .offset:         100
        .size:           2
        .value_kind:     hidden_remainder_y
      - .offset:         102
        .size:           2
        .value_kind:     hidden_remainder_z
      - .offset:         120
        .size:           8
        .value_kind:     hidden_global_offset_x
      - .offset:         128
        .size:           8
        .value_kind:     hidden_global_offset_y
      - .offset:         136
        .size:           8
        .value_kind:     hidden_global_offset_z
      - .offset:         144
        .size:           2
        .value_kind:     hidden_grid_dims
    .group_segment_fixed_size: 0
    .kernarg_segment_align: 8
    .kernarg_segment_size: 336
    .language:       OpenCL C
    .language_version:
      - 2
      - 0
    .max_flat_workgroup_size: 256
    .name:           _ZL33flash_attn_stream_k_fixup_generalILi256ELi8ELi2EEvPfPK15HIP_vector_typeIfLj2EEiiiiS1_IjLj3EES5_S5_S5_
    .private_segment_fixed_size: 0
    .sgpr_count:     46
    .sgpr_spill_count: 0
    .symbol:         _ZL33flash_attn_stream_k_fixup_generalILi256ELi8ELi2EEvPfPK15HIP_vector_typeIfLj2EEiiiiS1_IjLj3EES5_S5_S5_.kd
    .uniform_work_group_size: 1
    .uses_dynamic_stack: false
    .vgpr_count:     9
    .vgpr_spill_count: 0
    .wavefront_size: 32
    .workgroup_processor_mode: 1
  - .args:
      - .address_space:  global
        .offset:         0
        .size:           8
        .value_kind:     global_buffer
      - .address_space:  global
        .offset:         8
        .size:           8
        .value_kind:     global_buffer
      - .address_space:  global
        .offset:         16
        .size:           8
        .value_kind:     global_buffer
      - .offset:         24
        .size:           4
        .value_kind:     by_value
      - .offset:         32
        .size:           4
        .value_kind:     hidden_block_count_x
      - .offset:         36
        .size:           4
        .value_kind:     hidden_block_count_y
      - .offset:         40
        .size:           4
        .value_kind:     hidden_block_count_z
      - .offset:         44
        .size:           2
        .value_kind:     hidden_group_size_x
      - .offset:         46
        .size:           2
        .value_kind:     hidden_group_size_y
      - .offset:         48
        .size:           2
        .value_kind:     hidden_group_size_z
      - .offset:         50
        .size:           2
        .value_kind:     hidden_remainder_x
      - .offset:         52
        .size:           2
        .value_kind:     hidden_remainder_y
      - .offset:         54
        .size:           2
        .value_kind:     hidden_remainder_z
      - .offset:         72
        .size:           8
        .value_kind:     hidden_global_offset_x
      - .offset:         80
        .size:           8
        .value_kind:     hidden_global_offset_y
      - .offset:         88
        .size:           8
        .value_kind:     hidden_global_offset_z
      - .offset:         96
        .size:           2
        .value_kind:     hidden_grid_dims
      - .offset:         152
        .size:           4
        .value_kind:     hidden_dynamic_lds_size
    .group_segment_fixed_size: 0
    .kernarg_segment_align: 8
    .kernarg_segment_size: 288
    .language:       OpenCL C
    .language_version:
      - 2
      - 0
    .max_flat_workgroup_size: 256
    .name:           _ZL26flash_attn_combine_resultsILi256EEvPKfPK15HIP_vector_typeIfLj2EEPfi
    .private_segment_fixed_size: 0
    .sgpr_count:     18
    .sgpr_spill_count: 0
    .symbol:         _ZL26flash_attn_combine_resultsILi256EEvPKfPK15HIP_vector_typeIfLj2EEPfi.kd
    .uniform_work_group_size: 1
    .uses_dynamic_stack: false
    .vgpr_count:     55
    .vgpr_spill_count: 0
    .wavefront_size: 32
    .workgroup_processor_mode: 1
amdhsa.target:   amdgcn-amd-amdhsa--gfx1201
amdhsa.version:
  - 1
  - 2
...

	.end_amdgpu_metadata
